;; amdgpu-corpus repo=ROCm/rocBLAS kind=compiled arch=gfx90a opt=O3
	.text
	.amdgcn_target "amdgcn-amd-amdhsa--gfx90a"
	.amdhsa_code_object_version 6
	.section	.text._ZL30rocblas_trmm_outofplace_kernelIfLi32ELi2ELb1ELb0ELb0ELb0EPKfS0_fEv17rocblas_diagonal_iiT6_lPT7_lllS5_lllPT8_llli,"axG",@progbits,_ZL30rocblas_trmm_outofplace_kernelIfLi32ELi2ELb1ELb0ELb0ELb0EPKfS0_fEv17rocblas_diagonal_iiT6_lPT7_lllS5_lllPT8_llli,comdat
	.globl	_ZL30rocblas_trmm_outofplace_kernelIfLi32ELi2ELb1ELb0ELb0ELb0EPKfS0_fEv17rocblas_diagonal_iiT6_lPT7_lllS5_lllPT8_llli ; -- Begin function _ZL30rocblas_trmm_outofplace_kernelIfLi32ELi2ELb1ELb0ELb0ELb0EPKfS0_fEv17rocblas_diagonal_iiT6_lPT7_lllS5_lllPT8_llli
	.p2align	8
	.type	_ZL30rocblas_trmm_outofplace_kernelIfLi32ELi2ELb1ELb0ELb0ELb0EPKfS0_fEv17rocblas_diagonal_iiT6_lPT7_lllS5_lllPT8_llli,@function
_ZL30rocblas_trmm_outofplace_kernelIfLi32ELi2ELb1ELb0ELb0ELb0EPKfS0_fEv17rocblas_diagonal_iiT6_lPT7_lllS5_lllPT8_llli: ; @_ZL30rocblas_trmm_outofplace_kernelIfLi32ELi2ELb1ELb0ELb0ELb0EPKfS0_fEv17rocblas_diagonal_iiT6_lPT7_lllS5_lllPT8_llli
; %bb.0:
	s_load_dwordx16 s[12:27], s[4:5], 0x10
	s_waitcnt lgkmcnt(0)
	s_mul_i32 s0, s8, s15
	s_mul_hi_u32 s1, s8, s14
	s_add_i32 s1, s1, s0
	s_mul_i32 s0, s8, s14
	s_lshl_b64 s[0:1], s[0:1], 2
	s_add_u32 s0, s12, s0
	s_addc_u32 s1, s13, s1
	s_load_dword s33, s[0:1], 0x0
	s_waitcnt lgkmcnt(0)
	v_cmp_eq_f32_e64 s[0:1], s33, 0
	s_and_b64 vcc, exec, s[0:1]
	s_cbranch_vccnz .LBB0_63
; %bb.1:
	s_load_dwordx4 s[28:31], s[4:5], 0x0
	s_waitcnt lgkmcnt(0)
	s_add_i32 s0, s30, -1
	s_ashr_i32 s1, s0, 31
	s_lshr_b32 s1, s1, 27
	s_add_i32 s0, s0, s1
	s_ashr_i32 s31, s0, 5
	s_cmp_gt_i32 s7, s31
	s_cbranch_scc1 .LBB0_63
; %bb.2:
	s_mul_i32 s0, s8, s23
	s_mul_hi_u32 s1, s8, s22
	s_add_i32 s1, s1, s0
	s_mul_i32 s0, s8, s22
	s_load_dwordx4 s[44:47], s[4:5], 0x70
	s_load_dword s48, s[4:5], 0x8c
	s_lshl_b64 s[10:11], s[0:1], 2
	s_add_u32 s0, s16, s10
	s_load_dwordx8 s[36:43], s[4:5], 0x50
	s_addc_u32 s1, s17, s11
	s_lshl_b64 s[12:13], s[18:19], 2
	s_add_u32 s2, s0, s12
	s_addc_u32 s3, s1, s13
	s_waitcnt lgkmcnt(0)
	s_mul_i32 s0, s8, s47
	s_mul_hi_u32 s1, s8, s46
	s_add_i32 s1, s1, s0
	s_mul_i32 s0, s8, s46
	s_lshl_b64 s[0:1], s[0:1], 2
	s_add_u32 s4, s40, s0
	s_addc_u32 s5, s41, s1
	s_lshl_b64 s[0:1], s[42:43], 2
	v_bfe_u32 v8, v0, 10, 10
	s_add_u32 s49, s4, s0
	s_addc_u32 s50, s5, s1
	v_and_b32_e32 v10, 0x3ff, v0
	v_mad_u64_u32 v[0:1], s[0:1], v8, s20, 0
	v_mov_b32_e32 v2, v1
	v_mad_u64_u32 v[2:3], s[0:1], v8, s21, v[2:3]
	v_mov_b32_e32 v1, v2
	s_lshl_b32 s51, s6, 5
	v_lshlrev_b64 v[0:1], 2, v[0:1]
	v_mov_b32_e32 v2, s3
	v_add_co_u32_e32 v14, vcc, s2, v0
	s_cmp_gt_i32 s6, -1
	v_add_u32_e32 v12, s51, v10
	v_addc_co_u32_e32 v15, vcc, v2, v1, vcc
	s_cselect_b64 s[18:19], -1, 0
	s_cmpk_eq_i32 s28, 0x84
	v_ashrrev_i32_e32 v13, 31, v12
	s_cselect_b64 s[22:23], -1, 0
	s_ashr_i32 s35, s29, 31
	s_ashr_i32 s6, s30, 31
	s_lshl_b64 s[40:41], s[20:21], 7
	v_add_co_u32_e32 v16, vcc, 16, v12
	v_addc_co_u32_e32 v17, vcc, 0, v13, vcc
	s_add_u32 s42, s29, -16
	s_mul_i32 s9, s39, s8
	s_mul_hi_u32 s28, s38, s8
	s_addc_u32 s43, s35, -1
	v_sub_co_u32_e32 v20, vcc, v12, v8
	s_add_i32 s9, s28, s9
	s_mul_i32 s8, s38, s8
	v_subbrev_co_u32_e32 v21, vcc, 0, v13, vcc
	s_lshl_b64 s[8:9], s[8:9], 2
	s_lshl_b64 s[26:27], s[26:27], 2
	v_add_co_u32_e32 v22, vcc, 16, v20
	s_add_u32 s8, s8, s26
	v_addc_co_u32_e32 v23, vcc, 0, v21, vcc
	s_addc_u32 s9, s9, s27
	v_add_co_u32_e32 v24, vcc, -16, v20
	s_add_u32 s8, s24, s8
	v_lshlrev_b32_e32 v11, 2, v10
	v_addc_co_u32_e32 v25, vcc, -1, v21, vcc
	s_addc_u32 s9, s25, s9
	s_lshl_b64 s[24:25], s[36:37], 2
	s_lshl_b32 s52, s48, 5
	v_lshlrev_b32_e32 v0, 7, v8
	v_add_co_u32_e32 v1, vcc, s8, v11
	s_add_u32 s8, s16, s12
	v_add_u32_e32 v42, v11, v0
	v_add_u32_e32 v43, 0x1000, v0
	v_mov_b32_e32 v0, s9
	s_addc_u32 s9, s17, s13
	v_addc_co_u32_e32 v0, vcc, 0, v0, vcc
	s_add_u32 s8, s8, s10
	v_add_co_u32_e32 v26, vcc, 64, v1
	s_addc_u32 s9, s9, s11
	v_addc_co_u32_e32 v27, vcc, 0, v0, vcc
	v_lshl_add_u32 v2, v8, 2, 64
	v_pk_mov_b32 v[0:1], s[8:9], s[8:9] op_sel:[0,1]
	v_mad_u64_u32 v[32:33], s[8:9], s20, v2, v[0:1]
	v_mov_b32_e32 v0, v33
	s_mov_b32 s34, s29
	v_add_u32_e32 v18, 16, v12
	v_mad_u64_u32 v[0:1], s[8:9], s21, v2, v[0:1]
	v_mov_b32_e32 v9, 0
	v_cmp_le_i32_e64 s[0:1], s29, v12
	v_cmp_le_i64_e64 s[2:3], s[34:35], v[16:17]
	v_add_u32_e32 v44, v43, v11
	v_cmp_gt_i32_e64 s[4:5], s29, v12
	v_cmp_gt_i32_e64 s[14:15], s29, v18
	v_ashrrev_i32_e32 v19, 31, v18
	v_lshl_add_u32 v28, s7, 5, v8
	v_lshlrev_b64 v[30:31], 2, v[12:13]
	v_mov_b32_e32 v33, v0
	v_mov_b32_e32 v45, 1.0
	s_movk_i32 s53, 0x80
	s_branch .LBB0_4
.LBB0_3:                                ;   in Loop: Header=BB0_4 Depth=1
	s_or_b64 exec, exec, s[8:9]
	s_add_i32 s7, s48, s7
	s_cmp_le_i32 s7, s31
	v_add_u32_e32 v28, s52, v28
	s_cbranch_scc0 .LBB0_63
.LBB0_4:                                ; =>This Loop Header: Depth=1
                                        ;     Child Loop BB0_7 Depth 2
	v_lshl_add_u32 v46, s7, 5, v8
	v_ashrrev_i32_e32 v48, 31, v46
	s_andn2_b64 vcc, exec, s[18:19]
	v_mov_b32_e32 v50, 0
	v_mov_b32_e32 v49, 0
	;; [unrolled: 1-line block ×4, first 2 shown]
	s_cbranch_vccnz .LBB0_55
; %bb.5:                                ;   in Loop: Header=BB0_4 Depth=1
	v_ashrrev_i32_e32 v29, 31, v28
	v_mad_u64_u32 v[34:35], s[8:9], s24, v28, v[26:27]
	v_mul_lo_u32 v0, s25, v28
	v_mul_lo_u32 v1, s24, v29
	v_add3_u32 v35, v0, v35, v1
	v_lshlrev_b64 v[0:1], 2, v[28:29]
	v_add_co_u32_e32 v0, vcc, 64, v0
	v_addc_co_u32_e32 v1, vcc, 0, v1, vcc
	v_mul_lo_u32 v1, s36, v1
	v_mul_lo_u32 v2, s37, v0
	v_mad_u64_u32 v[36:37], s[8:9], s36, v0, v[26:27]
	v_add3_u32 v37, v2, v37, v1
	v_mov_b32_e32 v1, s6
	v_sub_co_u32_e32 v0, vcc, s30, v46
	v_subb_co_u32_e32 v1, vcc, v1, v48, vcc
	s_mov_b64 s[20:21], 0
	v_cmp_lt_i64_e64 s[8:9], 0, v[0:1]
	v_cmp_lt_i64_e64 s[10:11], 16, v[0:1]
	v_mov_b32_e32 v29, 0
	v_pk_mov_b32 v[38:39], v[32:33], v[32:33] op_sel:[0,1]
	v_pk_mov_b32 v[40:41], v[14:15], v[14:15] op_sel:[0,1]
	v_mov_b32_e32 v47, 0
	v_mov_b32_e32 v49, 0
	;; [unrolled: 1-line block ×3, first 2 shown]
	s_branch .LBB0_7
.LBB0_6:                                ;   in Loop: Header=BB0_7 Depth=2
	s_or_b64 exec, exec, s[12:13]
	s_waitcnt lgkmcnt(0)
	s_barrier
	ds_read2_b32 v[68:69], v11 offset1:16
	ds_read_b128 v[52:55], v43
	ds_read_b128 v[56:59], v43 offset:16
	ds_read_b128 v[4:7], v43 offset:32
	;; [unrolled: 1-line block ×4, first 2 shown]
	ds_read2_b32 v[70:71], v11 offset0:32 offset1:48
	s_waitcnt lgkmcnt(5)
	v_fmac_f32_e32 v50, v68, v52
	v_fmac_f32_e32 v49, v69, v52
	ds_read_b128 v[64:67], v43 offset:2064
	s_waitcnt lgkmcnt(2)
	v_fmac_f32_e32 v47, v68, v60
	v_fmac_f32_e32 v29, v69, v60
	ds_read2_b32 v[68:69], v11 offset0:64 offset1:80
	s_waitcnt lgkmcnt(2)
	v_fmac_f32_e32 v50, v70, v53
	v_fmac_f32_e32 v49, v71, v53
	ds_read2_b32 v[52:53], v11 offset0:96 offset1:112
	v_fmac_f32_e32 v47, v70, v61
	v_fmac_f32_e32 v29, v71, v61
	s_waitcnt lgkmcnt(1)
	v_fmac_f32_e32 v50, v68, v54
	v_fmac_f32_e32 v49, v69, v54
	v_fmac_f32_e32 v47, v68, v62
	v_fmac_f32_e32 v29, v69, v62
	ds_read2_b32 v[60:61], v11 offset0:128 offset1:144
	s_waitcnt lgkmcnt(1)
	v_fmac_f32_e32 v50, v52, v55
	v_fmac_f32_e32 v49, v53, v55
	v_fmac_f32_e32 v47, v52, v63
	v_fmac_f32_e32 v29, v53, v63
	ds_read2_b32 v[52:53], v11 offset0:160 offset1:176
	;; [unrolled: 6-line block ×4, first 2 shown]
	s_waitcnt lgkmcnt(1)
	v_fmac_f32_e32 v50, v54, v58
	v_fmac_f32_e32 v49, v55, v58
	;; [unrolled: 1-line block ×4, first 2 shown]
	v_add_u32_e32 v51, 0x400, v11
	s_waitcnt lgkmcnt(0)
	v_fmac_f32_e32 v50, v52, v59
	ds_read2_b32 v[60:61], v51 offset1:16
	v_fmac_f32_e32 v49, v53, v59
	v_fmac_f32_e32 v47, v52, v67
	;; [unrolled: 1-line block ×3, first 2 shown]
	ds_read_b128 v[52:55], v43 offset:2080
	ds_read_b128 v[56:59], v43 offset:2096
	ds_read2_b32 v[62:63], v51 offset0:32 offset1:48
	s_waitcnt lgkmcnt(3)
	v_fmac_f32_e32 v50, v60, v4
	v_fmac_f32_e32 v49, v61, v4
	s_waitcnt lgkmcnt(2)
	v_fmac_f32_e32 v47, v60, v52
	v_fmac_f32_e32 v29, v61, v52
	ds_read2_b32 v[60:61], v51 offset0:64 offset1:80
	s_waitcnt lgkmcnt(1)
	v_fmac_f32_e32 v50, v62, v5
	v_fmac_f32_e32 v49, v63, v5
	ds_read2_b32 v[4:5], v51 offset0:96 offset1:112
	v_fmac_f32_e32 v47, v62, v53
	v_fmac_f32_e32 v29, v63, v53
	s_waitcnt lgkmcnt(1)
	v_fmac_f32_e32 v50, v60, v6
	v_fmac_f32_e32 v49, v61, v6
	v_fmac_f32_e32 v47, v60, v54
	v_fmac_f32_e32 v29, v61, v54
	ds_read2_b32 v[52:53], v51 offset0:128 offset1:144
	s_waitcnt lgkmcnt(1)
	v_fmac_f32_e32 v50, v4, v7
	v_fmac_f32_e32 v49, v5, v7
	v_fmac_f32_e32 v47, v4, v55
	v_fmac_f32_e32 v29, v5, v55
	ds_read2_b32 v[4:5], v51 offset0:160 offset1:176
	;; [unrolled: 6-line block ×4, first 2 shown]
	s_waitcnt lgkmcnt(1)
	v_fmac_f32_e32 v50, v6, v2
	v_fmac_f32_e32 v49, v7, v2
	;; [unrolled: 1-line block ×4, first 2 shown]
	v_add_u32_e32 v51, 0x800, v11
	s_waitcnt lgkmcnt(0)
	v_fmac_f32_e32 v50, v4, v3
	v_fmac_f32_e32 v49, v5, v3
	ds_read2_b32 v[60:61], v51 offset1:16
	ds_read_b128 v[0:3], v43 offset:64
	v_fmac_f32_e32 v47, v4, v59
	v_fmac_f32_e32 v29, v5, v59
	ds_read_b128 v[4:7], v43 offset:80
	ds_read_b128 v[52:55], v43 offset:2112
	ds_read2_b32 v[62:63], v51 offset0:32 offset1:48
	s_waitcnt lgkmcnt(3)
	v_fmac_f32_e32 v50, v60, v0
	v_fmac_f32_e32 v49, v61, v0
	ds_read_b128 v[56:59], v43 offset:2128
	s_waitcnt lgkmcnt(2)
	v_fmac_f32_e32 v47, v60, v52
	v_fmac_f32_e32 v29, v61, v52
	ds_read2_b32 v[60:61], v51 offset0:64 offset1:80
	s_waitcnt lgkmcnt(2)
	v_fmac_f32_e32 v50, v62, v1
	v_fmac_f32_e32 v49, v63, v1
	ds_read2_b32 v[0:1], v51 offset0:96 offset1:112
	v_fmac_f32_e32 v47, v62, v53
	v_fmac_f32_e32 v29, v63, v53
	s_waitcnt lgkmcnt(1)
	v_fmac_f32_e32 v50, v60, v2
	v_fmac_f32_e32 v49, v61, v2
	v_fmac_f32_e32 v47, v60, v54
	v_fmac_f32_e32 v29, v61, v54
	ds_read2_b32 v[52:53], v51 offset0:128 offset1:144
	s_waitcnt lgkmcnt(1)
	v_fmac_f32_e32 v50, v0, v3
	v_fmac_f32_e32 v49, v1, v3
	;; [unrolled: 1-line block ×4, first 2 shown]
	ds_read2_b32 v[0:1], v51 offset0:160 offset1:176
	s_waitcnt lgkmcnt(1)
	v_fmac_f32_e32 v50, v52, v4
	v_fmac_f32_e32 v49, v53, v4
	ds_read2_b32 v[2:3], v51 offset0:192 offset1:208
	v_fmac_f32_e32 v47, v52, v56
	s_waitcnt lgkmcnt(1)
	v_fmac_f32_e32 v50, v0, v5
	v_fmac_f32_e32 v49, v1, v5
	ds_read2_b32 v[4:5], v51 offset0:224 offset1:240
	v_fmac_f32_e32 v29, v53, v56
	v_fmac_f32_e32 v47, v0, v57
	;; [unrolled: 1-line block ×3, first 2 shown]
	s_waitcnt lgkmcnt(1)
	v_fmac_f32_e32 v50, v2, v6
	v_fmac_f32_e32 v49, v3, v6
	;; [unrolled: 1-line block ×4, first 2 shown]
	v_add_u32_e32 v51, 0xc00, v11
	s_waitcnt lgkmcnt(0)
	v_fmac_f32_e32 v50, v4, v7
	v_fmac_f32_e32 v49, v5, v7
	ds_read2_b32 v[60:61], v51 offset1:16
	ds_read_b128 v[0:3], v43 offset:96
	v_fmac_f32_e32 v47, v4, v59
	v_fmac_f32_e32 v29, v5, v59
	ds_read_b128 v[4:7], v43 offset:112
	ds_read_b128 v[52:55], v43 offset:2144
	ds_read2_b32 v[62:63], v51 offset0:32 offset1:48
	s_waitcnt lgkmcnt(3)
	v_fmac_f32_e32 v50, v60, v0
	v_fmac_f32_e32 v49, v61, v0
	ds_read_b128 v[56:59], v43 offset:2160
	s_waitcnt lgkmcnt(2)
	v_fmac_f32_e32 v47, v60, v52
	v_fmac_f32_e32 v29, v61, v52
	ds_read2_b32 v[60:61], v51 offset0:64 offset1:80
	s_waitcnt lgkmcnt(2)
	v_fmac_f32_e32 v50, v62, v1
	v_fmac_f32_e32 v49, v63, v1
	ds_read2_b32 v[0:1], v51 offset0:96 offset1:112
	v_fmac_f32_e32 v47, v62, v53
	v_fmac_f32_e32 v29, v63, v53
	s_waitcnt lgkmcnt(1)
	v_fmac_f32_e32 v50, v60, v2
	v_fmac_f32_e32 v49, v61, v2
	v_fmac_f32_e32 v47, v60, v54
	v_fmac_f32_e32 v29, v61, v54
	ds_read2_b32 v[52:53], v51 offset0:128 offset1:144
	s_waitcnt lgkmcnt(1)
	v_fmac_f32_e32 v50, v0, v3
	v_fmac_f32_e32 v49, v1, v3
	v_fmac_f32_e32 v47, v0, v55
	v_fmac_f32_e32 v29, v1, v55
	ds_read2_b32 v[0:1], v51 offset0:160 offset1:176
	;; [unrolled: 6-line block ×4, first 2 shown]
	v_add_co_u32_e32 v34, vcc, s53, v34
	s_waitcnt lgkmcnt(1)
	v_fmac_f32_e32 v50, v2, v6
	v_fmac_f32_e32 v47, v2, v58
	v_addc_co_u32_e32 v35, vcc, 0, v35, vcc
	s_waitcnt lgkmcnt(0)
	v_fmac_f32_e32 v50, v0, v7
	v_fmac_f32_e32 v47, v0, v59
	v_mov_b32_e32 v0, s41
	v_add_co_u32_e32 v40, vcc, s40, v40
	v_addc_co_u32_e32 v41, vcc, v41, v0, vcc
	v_add_co_u32_e32 v38, vcc, s40, v38
	s_add_u32 s20, s20, 32
	v_addc_co_u32_e32 v39, vcc, v39, v0, vcc
	v_fmac_f32_e32 v49, v3, v6
	v_fmac_f32_e32 v29, v3, v58
	s_addc_u32 s21, s21, 0
	s_sub_i32 s12, s20, 32
	v_add_co_u32_e32 v36, vcc, 0x80, v36
	v_fmac_f32_e32 v49, v1, v7
	v_fmac_f32_e32 v29, v1, v59
	s_cmp_ge_i32 s12, s51
	v_addc_co_u32_e32 v37, vcc, 0, v37, vcc
	s_barrier
	s_cbranch_scc1 .LBB0_55
.LBB0_7:                                ;   Parent Loop BB0_4 Depth=1
                                        ; =>  This Inner Loop Header: Depth=2
	v_mov_b32_e32 v1, s21
	v_add_co_u32_e32 v0, vcc, s20, v8
	v_addc_co_u32_e32 v1, vcc, 0, v1, vcc
	v_add_co_u32_e32 v2, vcc, v40, v30
	v_addc_co_u32_e32 v3, vcc, v41, v31, vcc
	v_cmp_eq_u64_e32 vcc, s[20:21], v[20:21]
	v_cmp_le_i64_e64 s[12:13], s[34:35], v[0:1]
	s_and_b64 s[28:29], s[22:23], vcc
	v_cmp_gt_i64_e32 vcc, v[0:1], v[12:13]
	s_or_b64 s[16:17], s[12:13], vcc
	s_or_b64 s[16:17], s[16:17], s[28:29]
	s_or_b64 s[16:17], s[0:1], s[16:17]
	s_xor_b64 s[16:17], s[16:17], -1
	s_and_saveexec_b64 s[26:27], s[16:17]
	s_xor_b64 s[16:17], exec, s[26:27]
	s_cbranch_execz .LBB0_9
; %bb.8:                                ;   in Loop: Header=BB0_7 Depth=2
	global_load_dword v4, v[2:3], off
	s_waitcnt vmcnt(0)
	ds_write_b32 v42, v4
.LBB0_9:                                ;   in Loop: Header=BB0_7 Depth=2
	s_or_saveexec_b64 s[16:17], s[16:17]
	s_xor_b64 s[26:27], s[28:29], -1
	s_xor_b64 exec, exec, s[16:17]
	s_cbranch_execz .LBB0_15
; %bb.10:                               ;   in Loop: Header=BB0_7 Depth=2
	s_and_saveexec_b64 s[38:39], s[26:27]
	s_xor_b64 s[38:39], exec, s[38:39]
	s_cbranch_execz .LBB0_12
; %bb.11:                               ;   in Loop: Header=BB0_7 Depth=2
	ds_write_b32 v42, v9
.LBB0_12:                               ;   in Loop: Header=BB0_7 Depth=2
	s_andn2_saveexec_b64 s[38:39], s[38:39]
	s_cbranch_execz .LBB0_14
; %bb.13:                               ;   in Loop: Header=BB0_7 Depth=2
	ds_write_b32 v42, v45
.LBB0_14:                               ;   in Loop: Header=BB0_7 Depth=2
	s_or_b64 exec, exec, s[38:39]
.LBB0_15:                               ;   in Loop: Header=BB0_7 Depth=2
	s_or_b64 exec, exec, s[16:17]
	v_cmp_eq_u64_e64 s[16:17], s[20:21], v[22:23]
	s_and_b64 s[38:39], s[22:23], s[16:17]
	v_cmp_lt_i64_e64 s[16:17], v[16:17], v[0:1]
	s_or_b64 s[12:13], s[12:13], s[16:17]
	s_or_b64 s[12:13], s[12:13], s[38:39]
	;; [unrolled: 1-line block ×3, first 2 shown]
	s_xor_b64 s[12:13], s[12:13], -1
	s_and_saveexec_b64 s[16:17], s[12:13]
	s_xor_b64 s[12:13], exec, s[16:17]
	s_cbranch_execz .LBB0_17
; %bb.16:                               ;   in Loop: Header=BB0_7 Depth=2
	global_load_dword v2, v[2:3], off offset:64
	s_waitcnt vmcnt(0)
	ds_write_b32 v42, v2 offset:64
.LBB0_17:                               ;   in Loop: Header=BB0_7 Depth=2
	s_andn2_saveexec_b64 s[12:13], s[12:13]
	s_cbranch_execz .LBB0_23
; %bb.18:                               ;   in Loop: Header=BB0_7 Depth=2
	s_xor_b64 s[16:17], s[38:39], -1
	s_and_saveexec_b64 s[38:39], s[16:17]
	s_xor_b64 s[16:17], exec, s[38:39]
	s_cbranch_execz .LBB0_20
; %bb.19:                               ;   in Loop: Header=BB0_7 Depth=2
	ds_write_b32 v42, v9 offset:64
.LBB0_20:                               ;   in Loop: Header=BB0_7 Depth=2
	s_andn2_saveexec_b64 s[16:17], s[16:17]
	s_cbranch_execz .LBB0_22
; %bb.21:                               ;   in Loop: Header=BB0_7 Depth=2
	ds_write_b32 v42, v45 offset:64
.LBB0_22:                               ;   in Loop: Header=BB0_7 Depth=2
	s_or_b64 exec, exec, s[16:17]
.LBB0_23:                               ;   in Loop: Header=BB0_7 Depth=2
	s_or_b64 exec, exec, s[12:13]
	v_add_co_u32_e64 v0, s[12:13], 16, v0
	v_addc_co_u32_e64 v1, s[12:13], 0, v1, s[12:13]
	v_cmp_eq_u64_e64 s[16:17], s[20:21], v[24:25]
	v_cmp_le_i64_e64 s[12:13], s[34:35], v[0:1]
	s_and_b64 s[38:39], s[22:23], s[16:17]
	v_cmp_gt_i64_e64 s[16:17], v[0:1], v[12:13]
	s_or_b64 s[16:17], s[12:13], s[16:17]
	s_or_b64 s[16:17], s[16:17], s[38:39]
	;; [unrolled: 1-line block ×3, first 2 shown]
	s_xor_b64 s[16:17], s[16:17], -1
	s_and_saveexec_b64 s[46:47], s[16:17]
	s_xor_b64 s[46:47], exec, s[46:47]
	s_cbranch_execz .LBB0_25
; %bb.24:                               ;   in Loop: Header=BB0_7 Depth=2
	v_add_co_u32_e64 v0, s[16:17], v38, v30
	v_addc_co_u32_e64 v1, s[16:17], v39, v31, s[16:17]
	global_load_dword v0, v[0:1], off
	s_waitcnt vmcnt(0)
	ds_write_b32 v42, v0 offset:2048
.LBB0_25:                               ;   in Loop: Header=BB0_7 Depth=2
	s_andn2_saveexec_b64 s[16:17], s[46:47]
	s_cbranch_execz .LBB0_31
; %bb.26:                               ;   in Loop: Header=BB0_7 Depth=2
	s_xor_b64 s[38:39], s[38:39], -1
	s_and_saveexec_b64 s[46:47], s[38:39]
	s_xor_b64 s[38:39], exec, s[46:47]
	s_cbranch_execz .LBB0_28
; %bb.27:                               ;   in Loop: Header=BB0_7 Depth=2
	ds_write_b32 v42, v9 offset:2048
.LBB0_28:                               ;   in Loop: Header=BB0_7 Depth=2
	s_andn2_saveexec_b64 s[38:39], s[38:39]
	s_cbranch_execz .LBB0_30
; %bb.29:                               ;   in Loop: Header=BB0_7 Depth=2
	ds_write_b32 v42, v45 offset:2048
.LBB0_30:                               ;   in Loop: Header=BB0_7 Depth=2
	s_or_b64 exec, exec, s[38:39]
.LBB0_31:                               ;   in Loop: Header=BB0_7 Depth=2
	s_or_b64 exec, exec, s[16:17]
	s_or_b64 s[12:13], s[12:13], vcc
	s_or_b64 s[12:13], s[12:13], s[28:29]
	s_or_b64 s[12:13], s[2:3], s[12:13]
	s_xor_b64 s[12:13], s[12:13], -1
	s_and_saveexec_b64 s[16:17], s[12:13]
	s_xor_b64 s[12:13], exec, s[16:17]
	s_cbranch_execz .LBB0_33
; %bb.32:                               ;   in Loop: Header=BB0_7 Depth=2
	v_add_co_u32_e32 v0, vcc, v38, v30
	v_addc_co_u32_e32 v1, vcc, v39, v31, vcc
	global_load_dword v0, v[0:1], off offset:64
	s_waitcnt vmcnt(0)
	ds_write_b32 v42, v0 offset:2112
.LBB0_33:                               ;   in Loop: Header=BB0_7 Depth=2
	s_andn2_saveexec_b64 s[12:13], s[12:13]
	s_cbranch_execz .LBB0_39
; %bb.34:                               ;   in Loop: Header=BB0_7 Depth=2
	s_and_saveexec_b64 s[16:17], s[26:27]
	s_xor_b64 s[16:17], exec, s[16:17]
	s_cbranch_execz .LBB0_36
; %bb.35:                               ;   in Loop: Header=BB0_7 Depth=2
	ds_write_b32 v42, v9 offset:2112
.LBB0_36:                               ;   in Loop: Header=BB0_7 Depth=2
	s_andn2_saveexec_b64 s[16:17], s[16:17]
	s_cbranch_execz .LBB0_38
; %bb.37:                               ;   in Loop: Header=BB0_7 Depth=2
	ds_write_b32 v42, v45 offset:2112
.LBB0_38:                               ;   in Loop: Header=BB0_7 Depth=2
	s_or_b64 exec, exec, s[16:17]
.LBB0_39:                               ;   in Loop: Header=BB0_7 Depth=2
	s_or_b64 exec, exec, s[12:13]
	v_mov_b32_e32 v1, s21
	v_add_co_u32_e32 v0, vcc, s20, v10
	v_addc_co_u32_e32 v1, vcc, 0, v1, vcc
	v_cmp_gt_i64_e32 vcc, s[34:35], v[0:1]
	s_and_b64 s[12:13], s[8:9], vcc
	s_xor_b64 s[12:13], s[12:13], -1
	s_and_saveexec_b64 s[16:17], s[12:13]
	s_xor_b64 s[12:13], exec, s[16:17]
	s_cbranch_execz .LBB0_41
; %bb.40:                               ;   in Loop: Header=BB0_7 Depth=2
	ds_write_b32 v44, v9
.LBB0_41:                               ;   in Loop: Header=BB0_7 Depth=2
	s_andn2_saveexec_b64 s[12:13], s[12:13]
	s_cbranch_execz .LBB0_43
; %bb.42:                               ;   in Loop: Header=BB0_7 Depth=2
	global_load_dword v2, v[34:35], off offset:-64
	s_waitcnt vmcnt(0)
	ds_write_b32 v44, v2
.LBB0_43:                               ;   in Loop: Header=BB0_7 Depth=2
	s_or_b64 exec, exec, s[12:13]
	v_cmp_gt_i64_e64 s[12:13], s[42:43], v[0:1]
	s_and_b64 s[16:17], s[8:9], s[12:13]
	s_xor_b64 s[16:17], s[16:17], -1
	s_and_saveexec_b64 s[26:27], s[16:17]
	s_xor_b64 s[16:17], exec, s[26:27]
	s_cbranch_execz .LBB0_45
; %bb.44:                               ;   in Loop: Header=BB0_7 Depth=2
	ds_write_b32 v44, v9 offset:64
.LBB0_45:                               ;   in Loop: Header=BB0_7 Depth=2
	s_andn2_saveexec_b64 s[16:17], s[16:17]
	s_cbranch_execz .LBB0_47
; %bb.46:                               ;   in Loop: Header=BB0_7 Depth=2
	global_load_dword v0, v[34:35], off
	s_waitcnt vmcnt(0)
	ds_write_b32 v44, v0 offset:64
.LBB0_47:                               ;   in Loop: Header=BB0_7 Depth=2
	s_or_b64 exec, exec, s[16:17]
	s_and_b64 s[16:17], s[10:11], vcc
	s_xor_b64 s[16:17], s[16:17], -1
	s_and_saveexec_b64 s[26:27], s[16:17]
	s_xor_b64 s[16:17], exec, s[26:27]
	s_cbranch_execz .LBB0_49
; %bb.48:                               ;   in Loop: Header=BB0_7 Depth=2
	ds_write_b32 v44, v9 offset:2048
.LBB0_49:                               ;   in Loop: Header=BB0_7 Depth=2
	s_andn2_saveexec_b64 s[16:17], s[16:17]
	s_cbranch_execz .LBB0_51
; %bb.50:                               ;   in Loop: Header=BB0_7 Depth=2
	global_load_dword v0, v[36:37], off offset:-64
	s_waitcnt vmcnt(0)
	ds_write_b32 v44, v0 offset:2048
.LBB0_51:                               ;   in Loop: Header=BB0_7 Depth=2
	s_or_b64 exec, exec, s[16:17]
	s_and_b64 s[12:13], s[10:11], s[12:13]
	s_xor_b64 s[12:13], s[12:13], -1
	s_and_saveexec_b64 s[16:17], s[12:13]
	s_xor_b64 s[12:13], exec, s[16:17]
	s_cbranch_execz .LBB0_53
; %bb.52:                               ;   in Loop: Header=BB0_7 Depth=2
	ds_write_b32 v44, v9 offset:2112
.LBB0_53:                               ;   in Loop: Header=BB0_7 Depth=2
	s_andn2_saveexec_b64 s[12:13], s[12:13]
	s_cbranch_execz .LBB0_6
; %bb.54:                               ;   in Loop: Header=BB0_7 Depth=2
	global_load_dword v0, v[36:37], off
	s_waitcnt vmcnt(0)
	ds_write_b32 v44, v0 offset:2112
	s_branch .LBB0_6
.LBB0_55:                               ;   in Loop: Header=BB0_4 Depth=1
	v_mul_lo_u32 v2, v48, s44
	v_mul_lo_u32 v3, v46, s45
	v_mad_u64_u32 v[0:1], s[8:9], v46, s44, 0
	v_add3_u32 v1, v1, v3, v2
	v_lshlrev_b64 v[0:1], 2, v[0:1]
	v_mov_b32_e32 v2, s50
	v_add_co_u32_e64 v0, s[8:9], s49, v0
	v_cmp_gt_i32_e32 vcc, s30, v46
	v_addc_co_u32_e64 v1, s[8:9], v2, v1, s[8:9]
	s_and_b64 s[8:9], s[4:5], vcc
	s_and_saveexec_b64 s[10:11], s[8:9]
	s_cbranch_execz .LBB0_57
; %bb.56:                               ;   in Loop: Header=BB0_4 Depth=1
	v_add_co_u32_e64 v2, s[8:9], v0, v30
	v_addc_co_u32_e64 v3, s[8:9], v1, v31, s[8:9]
	global_load_dword v4, v[2:3], off
	s_waitcnt vmcnt(0)
	v_fmac_f32_e32 v4, s33, v50
	global_store_dword v[2:3], v4, off
.LBB0_57:                               ;   in Loop: Header=BB0_4 Depth=1
	s_or_b64 exec, exec, s[10:11]
	s_and_b64 s[10:11], s[14:15], vcc
	s_and_saveexec_b64 s[8:9], s[10:11]
	s_cbranch_execz .LBB0_59
; %bb.58:                               ;   in Loop: Header=BB0_4 Depth=1
	v_lshlrev_b64 v[2:3], 2, v[18:19]
	v_add_co_u32_e32 v0, vcc, v0, v2
	v_addc_co_u32_e32 v1, vcc, v1, v3, vcc
	global_load_dword v2, v[0:1], off
	s_waitcnt vmcnt(0)
	v_fmac_f32_e32 v2, s33, v49
	global_store_dword v[0:1], v2, off
.LBB0_59:                               ;   in Loop: Header=BB0_4 Depth=1
	s_or_b64 exec, exec, s[8:9]
	v_add_u32_e32 v0, 16, v46
	v_ashrrev_i32_e32 v1, 31, v0
	v_cmp_gt_i32_e32 vcc, s30, v0
	v_mul_lo_u32 v2, v1, s44
	v_mul_lo_u32 v3, v0, s45
	v_mad_u64_u32 v[0:1], s[8:9], v0, s44, 0
	v_add3_u32 v1, v1, v3, v2
	v_lshlrev_b64 v[0:1], 2, v[0:1]
	v_mov_b32_e32 v2, s50
	v_add_co_u32_e64 v0, s[8:9], s49, v0
	v_addc_co_u32_e64 v1, s[8:9], v2, v1, s[8:9]
	s_and_b64 s[8:9], s[4:5], vcc
	s_and_saveexec_b64 s[10:11], s[8:9]
	s_cbranch_execz .LBB0_61
; %bb.60:                               ;   in Loop: Header=BB0_4 Depth=1
	v_add_co_u32_e64 v2, s[8:9], v0, v30
	v_addc_co_u32_e64 v3, s[8:9], v1, v31, s[8:9]
	global_load_dword v4, v[2:3], off
	s_waitcnt vmcnt(0)
	v_fmac_f32_e32 v4, s33, v47
	global_store_dword v[2:3], v4, off
.LBB0_61:                               ;   in Loop: Header=BB0_4 Depth=1
	s_or_b64 exec, exec, s[10:11]
	s_and_b64 s[10:11], s[14:15], vcc
	s_and_saveexec_b64 s[8:9], s[10:11]
	s_cbranch_execz .LBB0_3
; %bb.62:                               ;   in Loop: Header=BB0_4 Depth=1
	v_lshlrev_b64 v[2:3], 2, v[18:19]
	v_add_co_u32_e32 v0, vcc, v0, v2
	v_addc_co_u32_e32 v1, vcc, v1, v3, vcc
	global_load_dword v2, v[0:1], off
	s_waitcnt vmcnt(0)
	v_fmac_f32_e32 v2, s33, v29
	global_store_dword v[0:1], v2, off
	s_branch .LBB0_3
.LBB0_63:
	s_endpgm
	.section	.rodata,"a",@progbits
	.p2align	6, 0x0
	.amdhsa_kernel _ZL30rocblas_trmm_outofplace_kernelIfLi32ELi2ELb1ELb0ELb0ELb0EPKfS0_fEv17rocblas_diagonal_iiT6_lPT7_lllS5_lllPT8_llli
		.amdhsa_group_segment_fixed_size 8192
		.amdhsa_private_segment_fixed_size 0
		.amdhsa_kernarg_size 392
		.amdhsa_user_sgpr_count 6
		.amdhsa_user_sgpr_private_segment_buffer 1
		.amdhsa_user_sgpr_dispatch_ptr 0
		.amdhsa_user_sgpr_queue_ptr 0
		.amdhsa_user_sgpr_kernarg_segment_ptr 1
		.amdhsa_user_sgpr_dispatch_id 0
		.amdhsa_user_sgpr_flat_scratch_init 0
		.amdhsa_user_sgpr_kernarg_preload_length 0
		.amdhsa_user_sgpr_kernarg_preload_offset 0
		.amdhsa_user_sgpr_private_segment_size 0
		.amdhsa_uses_dynamic_stack 0
		.amdhsa_system_sgpr_private_segment_wavefront_offset 0
		.amdhsa_system_sgpr_workgroup_id_x 1
		.amdhsa_system_sgpr_workgroup_id_y 1
		.amdhsa_system_sgpr_workgroup_id_z 1
		.amdhsa_system_sgpr_workgroup_info 0
		.amdhsa_system_vgpr_workitem_id 1
		.amdhsa_next_free_vgpr 72
		.amdhsa_next_free_sgpr 54
		.amdhsa_accum_offset 72
		.amdhsa_reserve_vcc 1
		.amdhsa_reserve_flat_scratch 0
		.amdhsa_float_round_mode_32 0
		.amdhsa_float_round_mode_16_64 0
		.amdhsa_float_denorm_mode_32 3
		.amdhsa_float_denorm_mode_16_64 3
		.amdhsa_dx10_clamp 1
		.amdhsa_ieee_mode 1
		.amdhsa_fp16_overflow 0
		.amdhsa_tg_split 0
		.amdhsa_exception_fp_ieee_invalid_op 0
		.amdhsa_exception_fp_denorm_src 0
		.amdhsa_exception_fp_ieee_div_zero 0
		.amdhsa_exception_fp_ieee_overflow 0
		.amdhsa_exception_fp_ieee_underflow 0
		.amdhsa_exception_fp_ieee_inexact 0
		.amdhsa_exception_int_div_zero 0
	.end_amdhsa_kernel
	.section	.text._ZL30rocblas_trmm_outofplace_kernelIfLi32ELi2ELb1ELb0ELb0ELb0EPKfS0_fEv17rocblas_diagonal_iiT6_lPT7_lllS5_lllPT8_llli,"axG",@progbits,_ZL30rocblas_trmm_outofplace_kernelIfLi32ELi2ELb1ELb0ELb0ELb0EPKfS0_fEv17rocblas_diagonal_iiT6_lPT7_lllS5_lllPT8_llli,comdat
.Lfunc_end0:
	.size	_ZL30rocblas_trmm_outofplace_kernelIfLi32ELi2ELb1ELb0ELb0ELb0EPKfS0_fEv17rocblas_diagonal_iiT6_lPT7_lllS5_lllPT8_llli, .Lfunc_end0-_ZL30rocblas_trmm_outofplace_kernelIfLi32ELi2ELb1ELb0ELb0ELb0EPKfS0_fEv17rocblas_diagonal_iiT6_lPT7_lllS5_lllPT8_llli
                                        ; -- End function
	.section	.AMDGPU.csdata,"",@progbits
; Kernel info:
; codeLenInByte = 3100
; NumSgprs: 58
; NumVgprs: 72
; NumAgprs: 0
; TotalNumVgprs: 72
; ScratchSize: 0
; MemoryBound: 0
; FloatMode: 240
; IeeeMode: 1
; LDSByteSize: 8192 bytes/workgroup (compile time only)
; SGPRBlocks: 7
; VGPRBlocks: 8
; NumSGPRsForWavesPerEU: 58
; NumVGPRsForWavesPerEU: 72
; AccumOffset: 72
; Occupancy: 7
; WaveLimiterHint : 0
; COMPUTE_PGM_RSRC2:SCRATCH_EN: 0
; COMPUTE_PGM_RSRC2:USER_SGPR: 6
; COMPUTE_PGM_RSRC2:TRAP_HANDLER: 0
; COMPUTE_PGM_RSRC2:TGID_X_EN: 1
; COMPUTE_PGM_RSRC2:TGID_Y_EN: 1
; COMPUTE_PGM_RSRC2:TGID_Z_EN: 1
; COMPUTE_PGM_RSRC2:TIDIG_COMP_CNT: 1
; COMPUTE_PGM_RSRC3_GFX90A:ACCUM_OFFSET: 17
; COMPUTE_PGM_RSRC3_GFX90A:TG_SPLIT: 0
	.section	.text._ZL30rocblas_trmm_outofplace_kernelIfLi32ELi2ELb1ELb0ELb0ELb0EfKffEv17rocblas_diagonal_iiT6_lPT7_lllS4_lllPT8_llli,"axG",@progbits,_ZL30rocblas_trmm_outofplace_kernelIfLi32ELi2ELb1ELb0ELb0ELb0EfKffEv17rocblas_diagonal_iiT6_lPT7_lllS4_lllPT8_llli,comdat
	.globl	_ZL30rocblas_trmm_outofplace_kernelIfLi32ELi2ELb1ELb0ELb0ELb0EfKffEv17rocblas_diagonal_iiT6_lPT7_lllS4_lllPT8_llli ; -- Begin function _ZL30rocblas_trmm_outofplace_kernelIfLi32ELi2ELb1ELb0ELb0ELb0EfKffEv17rocblas_diagonal_iiT6_lPT7_lllS4_lllPT8_llli
	.p2align	8
	.type	_ZL30rocblas_trmm_outofplace_kernelIfLi32ELi2ELb1ELb0ELb0ELb0EfKffEv17rocblas_diagonal_iiT6_lPT7_lllS4_lllPT8_llli,@function
_ZL30rocblas_trmm_outofplace_kernelIfLi32ELi2ELb1ELb0ELb0ELb0EfKffEv17rocblas_diagonal_iiT6_lPT7_lllS4_lllPT8_llli: ; @_ZL30rocblas_trmm_outofplace_kernelIfLi32ELi2ELb1ELb0ELb0ELb0EfKffEv17rocblas_diagonal_iiT6_lPT7_lllS4_lllPT8_llli
; %bb.0:
	s_load_dwordx4 s[28:31], s[4:5], 0x0
	s_waitcnt lgkmcnt(0)
	v_cmp_eq_f32_e64 s[0:1], s31, 0
	s_and_b64 vcc, exec, s[0:1]
	s_cbranch_vccnz .LBB1_63
; %bb.1:
	s_add_i32 s0, s30, -1
	s_ashr_i32 s1, s0, 31
	s_lshr_b32 s1, s1, 27
	s_add_i32 s0, s0, s1
	s_ashr_i32 s33, s0, 5
	s_cmp_gt_i32 s7, s33
	s_cbranch_scc1 .LBB1_63
; %bb.2:
	s_load_dwordx16 s[12:27], s[4:5], 0x18
	s_load_dwordx8 s[36:43], s[4:5], 0x58
	v_bfe_u32 v8, v0, 10, 10
	v_and_b32_e32 v10, 0x3ff, v0
	s_load_dword s52, s[4:5], 0x84
	s_waitcnt lgkmcnt(0)
	s_mul_i32 s1, s8, s19
	s_mul_hi_u32 s2, s8, s18
	s_mul_i32 s0, s8, s18
	s_add_i32 s1, s2, s1
	s_lshl_b64 s[10:11], s[0:1], 2
	s_add_u32 s0, s12, s10
	s_addc_u32 s1, s13, s11
	s_lshl_b64 s[44:45], s[14:15], 2
	s_add_u32 s2, s0, s44
	s_addc_u32 s3, s1, s45
	s_mul_i32 s0, s8, s43
	s_mul_hi_u32 s1, s8, s42
	s_add_i32 s1, s1, s0
	s_mul_i32 s0, s8, s42
	s_lshl_b64 s[0:1], s[0:1], 2
	s_add_u32 s9, s36, s0
	s_addc_u32 s14, s37, s1
	s_lshl_b64 s[0:1], s[38:39], 2
	s_add_u32 s48, s9, s0
	s_addc_u32 s49, s14, s1
	v_mad_u64_u32 v[0:1], s[0:1], v8, s16, 0
	v_mov_b32_e32 v2, v1
	v_mad_u64_u32 v[2:3], s[0:1], v8, s17, v[2:3]
	v_mov_b32_e32 v1, v2
	s_lshl_b32 s50, s6, 5
	v_lshlrev_b64 v[0:1], 2, v[0:1]
	v_mov_b32_e32 v2, s3
	v_add_co_u32_e32 v14, vcc, s2, v0
	s_cmp_gt_i32 s6, -1
	v_add_u32_e32 v12, s50, v10
	v_addc_co_u32_e32 v15, vcc, v2, v1, vcc
	s_cselect_b64 s[18:19], -1, 0
	s_cmpk_eq_i32 s28, 0x84
	v_ashrrev_i32_e32 v13, 31, v12
	s_cselect_b64 s[34:35], -1, 0
	s_ashr_i32 s37, s29, 31
	s_ashr_i32 s6, s30, 31
	s_lshl_b64 s[38:39], s[16:17], 7
	v_add_co_u32_e32 v16, vcc, 16, v12
	v_addc_co_u32_e32 v17, vcc, 0, v13, vcc
	s_add_u32 s42, s29, -16
	s_mul_i32 s9, s27, s8
	s_mul_hi_u32 s27, s26, s8
	s_addc_u32 s43, s37, -1
	v_sub_co_u32_e32 v20, vcc, v12, v8
	s_add_i32 s9, s27, s9
	s_mul_i32 s8, s26, s8
	v_subbrev_co_u32_e32 v21, vcc, 0, v13, vcc
	s_lshl_b64 s[8:9], s[8:9], 2
	s_lshl_b64 s[22:23], s[22:23], 2
	v_add_co_u32_e32 v22, vcc, 16, v20
	s_add_u32 s8, s8, s22
	v_addc_co_u32_e32 v23, vcc, 0, v21, vcc
	s_addc_u32 s9, s9, s23
	v_add_co_u32_e32 v24, vcc, -16, v20
	s_add_u32 s8, s20, s8
	v_lshlrev_b32_e32 v11, 2, v10
	v_addc_co_u32_e32 v25, vcc, -1, v21, vcc
	s_addc_u32 s9, s21, s9
	s_lshl_b64 s[20:21], s[24:25], 2
	s_lshl_b32 s53, s52, 5
	v_lshlrev_b32_e32 v0, 7, v8
	v_add_co_u32_e32 v1, vcc, s8, v11
	s_add_u32 s8, s12, s44
	v_add_u32_e32 v42, v11, v0
	v_add_u32_e32 v43, 0x1000, v0
	v_mov_b32_e32 v0, s9
	s_addc_u32 s9, s13, s45
	v_addc_co_u32_e32 v0, vcc, 0, v0, vcc
	s_add_u32 s8, s8, s10
	v_add_co_u32_e32 v26, vcc, 64, v1
	s_addc_u32 s9, s9, s11
	v_addc_co_u32_e32 v27, vcc, 0, v0, vcc
	v_lshl_add_u32 v2, v8, 2, 64
	v_pk_mov_b32 v[0:1], s[8:9], s[8:9] op_sel:[0,1]
	v_mad_u64_u32 v[32:33], s[8:9], s16, v2, v[0:1]
	v_mov_b32_e32 v0, v33
	s_mov_b32 s36, s29
	v_add_u32_e32 v18, 16, v12
	v_mad_u64_u32 v[0:1], s[8:9], s17, v2, v[0:1]
	v_mov_b32_e32 v9, 0
	s_mov_b32 s51, s30
	v_cmp_le_i32_e64 s[0:1], s29, v12
	v_cmp_le_i64_e64 s[2:3], s[36:37], v[16:17]
	v_add_u32_e32 v44, v43, v11
	v_cmp_gt_i32_e64 s[4:5], s29, v12
	v_cmp_gt_i32_e64 s[14:15], s29, v18
	v_ashrrev_i32_e32 v19, 31, v18
	v_lshl_add_u32 v28, s7, 5, v8
	v_lshlrev_b64 v[30:31], 2, v[12:13]
	v_mov_b32_e32 v33, v0
	v_mov_b32_e32 v45, 1.0
	s_movk_i32 s54, 0x80
	s_branch .LBB1_4
.LBB1_3:                                ;   in Loop: Header=BB1_4 Depth=1
	s_or_b64 exec, exec, s[8:9]
	s_add_i32 s7, s52, s7
	s_cmp_le_i32 s7, s33
	v_add_u32_e32 v28, s53, v28
	s_cbranch_scc0 .LBB1_63
.LBB1_4:                                ; =>This Loop Header: Depth=1
                                        ;     Child Loop BB1_7 Depth 2
	v_lshl_add_u32 v46, s7, 5, v8
	v_ashrrev_i32_e32 v48, 31, v46
	s_andn2_b64 vcc, exec, s[18:19]
	v_mov_b32_e32 v50, 0
	v_mov_b32_e32 v49, 0
	;; [unrolled: 1-line block ×4, first 2 shown]
	s_cbranch_vccnz .LBB1_55
; %bb.5:                                ;   in Loop: Header=BB1_4 Depth=1
	v_ashrrev_i32_e32 v29, 31, v28
	v_mad_u64_u32 v[34:35], s[8:9], s20, v28, v[26:27]
	v_mul_lo_u32 v0, s21, v28
	v_mul_lo_u32 v1, s20, v29
	v_add3_u32 v35, v0, v35, v1
	v_lshlrev_b64 v[0:1], 2, v[28:29]
	v_add_co_u32_e32 v0, vcc, 64, v0
	v_addc_co_u32_e32 v1, vcc, 0, v1, vcc
	v_mul_lo_u32 v1, s24, v1
	v_mul_lo_u32 v2, s25, v0
	v_mad_u64_u32 v[36:37], s[8:9], s24, v0, v[26:27]
	v_add3_u32 v37, v2, v37, v1
	v_mov_b32_e32 v1, s6
	v_sub_co_u32_e32 v0, vcc, s51, v46
	v_subb_co_u32_e32 v1, vcc, v1, v48, vcc
	s_mov_b64 s[22:23], 0
	v_cmp_lt_i64_e64 s[8:9], 0, v[0:1]
	v_cmp_lt_i64_e64 s[10:11], 16, v[0:1]
	v_mov_b32_e32 v29, 0
	v_pk_mov_b32 v[38:39], v[32:33], v[32:33] op_sel:[0,1]
	v_pk_mov_b32 v[40:41], v[14:15], v[14:15] op_sel:[0,1]
	v_mov_b32_e32 v47, 0
	v_mov_b32_e32 v49, 0
	;; [unrolled: 1-line block ×3, first 2 shown]
	s_branch .LBB1_7
.LBB1_6:                                ;   in Loop: Header=BB1_7 Depth=2
	s_or_b64 exec, exec, s[12:13]
	s_waitcnt lgkmcnt(0)
	s_barrier
	ds_read2_b32 v[68:69], v11 offset1:16
	ds_read_b128 v[52:55], v43
	ds_read_b128 v[56:59], v43 offset:16
	ds_read_b128 v[4:7], v43 offset:32
	;; [unrolled: 1-line block ×4, first 2 shown]
	ds_read2_b32 v[70:71], v11 offset0:32 offset1:48
	s_waitcnt lgkmcnt(5)
	v_fmac_f32_e32 v50, v68, v52
	v_fmac_f32_e32 v49, v69, v52
	ds_read_b128 v[64:67], v43 offset:2064
	s_waitcnt lgkmcnt(2)
	v_fmac_f32_e32 v47, v68, v60
	v_fmac_f32_e32 v29, v69, v60
	ds_read2_b32 v[68:69], v11 offset0:64 offset1:80
	s_waitcnt lgkmcnt(2)
	v_fmac_f32_e32 v50, v70, v53
	v_fmac_f32_e32 v49, v71, v53
	ds_read2_b32 v[52:53], v11 offset0:96 offset1:112
	v_fmac_f32_e32 v47, v70, v61
	v_fmac_f32_e32 v29, v71, v61
	s_waitcnt lgkmcnt(1)
	v_fmac_f32_e32 v50, v68, v54
	v_fmac_f32_e32 v49, v69, v54
	v_fmac_f32_e32 v47, v68, v62
	v_fmac_f32_e32 v29, v69, v62
	ds_read2_b32 v[60:61], v11 offset0:128 offset1:144
	s_waitcnt lgkmcnt(1)
	v_fmac_f32_e32 v50, v52, v55
	v_fmac_f32_e32 v49, v53, v55
	v_fmac_f32_e32 v47, v52, v63
	v_fmac_f32_e32 v29, v53, v63
	ds_read2_b32 v[52:53], v11 offset0:160 offset1:176
	;; [unrolled: 6-line block ×4, first 2 shown]
	s_waitcnt lgkmcnt(1)
	v_fmac_f32_e32 v50, v54, v58
	v_fmac_f32_e32 v49, v55, v58
	;; [unrolled: 1-line block ×4, first 2 shown]
	v_add_u32_e32 v51, 0x400, v11
	s_waitcnt lgkmcnt(0)
	v_fmac_f32_e32 v50, v52, v59
	ds_read2_b32 v[60:61], v51 offset1:16
	v_fmac_f32_e32 v49, v53, v59
	v_fmac_f32_e32 v47, v52, v67
	;; [unrolled: 1-line block ×3, first 2 shown]
	ds_read_b128 v[52:55], v43 offset:2080
	ds_read_b128 v[56:59], v43 offset:2096
	ds_read2_b32 v[62:63], v51 offset0:32 offset1:48
	s_waitcnt lgkmcnt(3)
	v_fmac_f32_e32 v50, v60, v4
	v_fmac_f32_e32 v49, v61, v4
	s_waitcnt lgkmcnt(2)
	v_fmac_f32_e32 v47, v60, v52
	v_fmac_f32_e32 v29, v61, v52
	ds_read2_b32 v[60:61], v51 offset0:64 offset1:80
	s_waitcnt lgkmcnt(1)
	v_fmac_f32_e32 v50, v62, v5
	v_fmac_f32_e32 v49, v63, v5
	ds_read2_b32 v[4:5], v51 offset0:96 offset1:112
	v_fmac_f32_e32 v47, v62, v53
	v_fmac_f32_e32 v29, v63, v53
	s_waitcnt lgkmcnt(1)
	v_fmac_f32_e32 v50, v60, v6
	v_fmac_f32_e32 v49, v61, v6
	v_fmac_f32_e32 v47, v60, v54
	v_fmac_f32_e32 v29, v61, v54
	ds_read2_b32 v[52:53], v51 offset0:128 offset1:144
	s_waitcnt lgkmcnt(1)
	v_fmac_f32_e32 v50, v4, v7
	v_fmac_f32_e32 v49, v5, v7
	v_fmac_f32_e32 v47, v4, v55
	v_fmac_f32_e32 v29, v5, v55
	ds_read2_b32 v[4:5], v51 offset0:160 offset1:176
	;; [unrolled: 6-line block ×4, first 2 shown]
	s_waitcnt lgkmcnt(1)
	v_fmac_f32_e32 v50, v6, v2
	v_fmac_f32_e32 v49, v7, v2
	;; [unrolled: 1-line block ×4, first 2 shown]
	v_add_u32_e32 v51, 0x800, v11
	s_waitcnt lgkmcnt(0)
	v_fmac_f32_e32 v50, v4, v3
	v_fmac_f32_e32 v49, v5, v3
	ds_read2_b32 v[60:61], v51 offset1:16
	ds_read_b128 v[0:3], v43 offset:64
	v_fmac_f32_e32 v47, v4, v59
	v_fmac_f32_e32 v29, v5, v59
	ds_read_b128 v[4:7], v43 offset:80
	ds_read_b128 v[52:55], v43 offset:2112
	ds_read2_b32 v[62:63], v51 offset0:32 offset1:48
	s_waitcnt lgkmcnt(3)
	v_fmac_f32_e32 v50, v60, v0
	v_fmac_f32_e32 v49, v61, v0
	ds_read_b128 v[56:59], v43 offset:2128
	s_waitcnt lgkmcnt(2)
	v_fmac_f32_e32 v47, v60, v52
	v_fmac_f32_e32 v29, v61, v52
	ds_read2_b32 v[60:61], v51 offset0:64 offset1:80
	s_waitcnt lgkmcnt(2)
	v_fmac_f32_e32 v50, v62, v1
	v_fmac_f32_e32 v49, v63, v1
	ds_read2_b32 v[0:1], v51 offset0:96 offset1:112
	v_fmac_f32_e32 v47, v62, v53
	v_fmac_f32_e32 v29, v63, v53
	s_waitcnt lgkmcnt(1)
	v_fmac_f32_e32 v50, v60, v2
	v_fmac_f32_e32 v49, v61, v2
	;; [unrolled: 1-line block ×4, first 2 shown]
	ds_read2_b32 v[52:53], v51 offset0:128 offset1:144
	s_waitcnt lgkmcnt(1)
	v_fmac_f32_e32 v50, v0, v3
	v_fmac_f32_e32 v49, v1, v3
	;; [unrolled: 1-line block ×4, first 2 shown]
	ds_read2_b32 v[0:1], v51 offset0:160 offset1:176
	s_waitcnt lgkmcnt(1)
	v_fmac_f32_e32 v50, v52, v4
	v_fmac_f32_e32 v49, v53, v4
	ds_read2_b32 v[2:3], v51 offset0:192 offset1:208
	v_fmac_f32_e32 v47, v52, v56
	s_waitcnt lgkmcnt(1)
	v_fmac_f32_e32 v50, v0, v5
	v_fmac_f32_e32 v49, v1, v5
	ds_read2_b32 v[4:5], v51 offset0:224 offset1:240
	v_fmac_f32_e32 v29, v53, v56
	v_fmac_f32_e32 v47, v0, v57
	v_fmac_f32_e32 v29, v1, v57
	s_waitcnt lgkmcnt(1)
	v_fmac_f32_e32 v50, v2, v6
	v_fmac_f32_e32 v49, v3, v6
	;; [unrolled: 1-line block ×4, first 2 shown]
	v_add_u32_e32 v51, 0xc00, v11
	s_waitcnt lgkmcnt(0)
	v_fmac_f32_e32 v50, v4, v7
	v_fmac_f32_e32 v49, v5, v7
	ds_read2_b32 v[60:61], v51 offset1:16
	ds_read_b128 v[0:3], v43 offset:96
	v_fmac_f32_e32 v47, v4, v59
	v_fmac_f32_e32 v29, v5, v59
	ds_read_b128 v[4:7], v43 offset:112
	ds_read_b128 v[52:55], v43 offset:2144
	ds_read2_b32 v[62:63], v51 offset0:32 offset1:48
	s_waitcnt lgkmcnt(3)
	v_fmac_f32_e32 v50, v60, v0
	v_fmac_f32_e32 v49, v61, v0
	ds_read_b128 v[56:59], v43 offset:2160
	s_waitcnt lgkmcnt(2)
	v_fmac_f32_e32 v47, v60, v52
	v_fmac_f32_e32 v29, v61, v52
	ds_read2_b32 v[60:61], v51 offset0:64 offset1:80
	s_waitcnt lgkmcnt(2)
	v_fmac_f32_e32 v50, v62, v1
	v_fmac_f32_e32 v49, v63, v1
	ds_read2_b32 v[0:1], v51 offset0:96 offset1:112
	v_fmac_f32_e32 v47, v62, v53
	v_fmac_f32_e32 v29, v63, v53
	s_waitcnt lgkmcnt(1)
	v_fmac_f32_e32 v50, v60, v2
	v_fmac_f32_e32 v49, v61, v2
	v_fmac_f32_e32 v47, v60, v54
	v_fmac_f32_e32 v29, v61, v54
	ds_read2_b32 v[52:53], v51 offset0:128 offset1:144
	s_waitcnt lgkmcnt(1)
	v_fmac_f32_e32 v50, v0, v3
	v_fmac_f32_e32 v49, v1, v3
	v_fmac_f32_e32 v47, v0, v55
	v_fmac_f32_e32 v29, v1, v55
	ds_read2_b32 v[0:1], v51 offset0:160 offset1:176
	;; [unrolled: 6-line block ×4, first 2 shown]
	v_add_co_u32_e32 v34, vcc, s54, v34
	s_waitcnt lgkmcnt(1)
	v_fmac_f32_e32 v50, v2, v6
	v_fmac_f32_e32 v47, v2, v58
	v_addc_co_u32_e32 v35, vcc, 0, v35, vcc
	s_waitcnt lgkmcnt(0)
	v_fmac_f32_e32 v50, v0, v7
	v_fmac_f32_e32 v47, v0, v59
	v_mov_b32_e32 v0, s39
	v_add_co_u32_e32 v40, vcc, s38, v40
	v_addc_co_u32_e32 v41, vcc, v41, v0, vcc
	v_add_co_u32_e32 v38, vcc, s38, v38
	s_add_u32 s22, s22, 32
	v_addc_co_u32_e32 v39, vcc, v39, v0, vcc
	v_fmac_f32_e32 v49, v3, v6
	v_fmac_f32_e32 v29, v3, v58
	s_addc_u32 s23, s23, 0
	s_sub_i32 s12, s22, 32
	v_add_co_u32_e32 v36, vcc, 0x80, v36
	v_fmac_f32_e32 v49, v1, v7
	v_fmac_f32_e32 v29, v1, v59
	s_cmp_ge_i32 s12, s50
	v_addc_co_u32_e32 v37, vcc, 0, v37, vcc
	s_barrier
	s_cbranch_scc1 .LBB1_55
.LBB1_7:                                ;   Parent Loop BB1_4 Depth=1
                                        ; =>  This Inner Loop Header: Depth=2
	v_mov_b32_e32 v1, s23
	v_add_co_u32_e32 v0, vcc, s22, v8
	v_addc_co_u32_e32 v1, vcc, 0, v1, vcc
	v_add_co_u32_e32 v2, vcc, v40, v30
	v_addc_co_u32_e32 v3, vcc, v41, v31, vcc
	v_cmp_eq_u64_e32 vcc, s[22:23], v[20:21]
	v_cmp_le_i64_e64 s[12:13], s[36:37], v[0:1]
	s_and_b64 s[28:29], s[34:35], vcc
	v_cmp_gt_i64_e32 vcc, v[0:1], v[12:13]
	s_or_b64 s[16:17], s[12:13], vcc
	s_or_b64 s[16:17], s[16:17], s[28:29]
	s_or_b64 s[16:17], s[0:1], s[16:17]
	s_xor_b64 s[16:17], s[16:17], -1
	s_and_saveexec_b64 s[26:27], s[16:17]
	s_xor_b64 s[16:17], exec, s[26:27]
	s_cbranch_execz .LBB1_9
; %bb.8:                                ;   in Loop: Header=BB1_7 Depth=2
	global_load_dword v4, v[2:3], off
	s_waitcnt vmcnt(0)
	ds_write_b32 v42, v4
.LBB1_9:                                ;   in Loop: Header=BB1_7 Depth=2
	s_or_saveexec_b64 s[16:17], s[16:17]
	s_xor_b64 s[26:27], s[28:29], -1
	s_xor_b64 exec, exec, s[16:17]
	s_cbranch_execz .LBB1_15
; %bb.10:                               ;   in Loop: Header=BB1_7 Depth=2
	s_and_saveexec_b64 s[44:45], s[26:27]
	s_xor_b64 s[44:45], exec, s[44:45]
	s_cbranch_execz .LBB1_12
; %bb.11:                               ;   in Loop: Header=BB1_7 Depth=2
	ds_write_b32 v42, v9
.LBB1_12:                               ;   in Loop: Header=BB1_7 Depth=2
	s_andn2_saveexec_b64 s[44:45], s[44:45]
	s_cbranch_execz .LBB1_14
; %bb.13:                               ;   in Loop: Header=BB1_7 Depth=2
	ds_write_b32 v42, v45
.LBB1_14:                               ;   in Loop: Header=BB1_7 Depth=2
	s_or_b64 exec, exec, s[44:45]
.LBB1_15:                               ;   in Loop: Header=BB1_7 Depth=2
	s_or_b64 exec, exec, s[16:17]
	v_cmp_eq_u64_e64 s[16:17], s[22:23], v[22:23]
	s_and_b64 s[44:45], s[34:35], s[16:17]
	v_cmp_lt_i64_e64 s[16:17], v[16:17], v[0:1]
	s_or_b64 s[12:13], s[12:13], s[16:17]
	s_or_b64 s[12:13], s[12:13], s[44:45]
	;; [unrolled: 1-line block ×3, first 2 shown]
	s_xor_b64 s[12:13], s[12:13], -1
	s_and_saveexec_b64 s[16:17], s[12:13]
	s_xor_b64 s[12:13], exec, s[16:17]
	s_cbranch_execz .LBB1_17
; %bb.16:                               ;   in Loop: Header=BB1_7 Depth=2
	global_load_dword v2, v[2:3], off offset:64
	s_waitcnt vmcnt(0)
	ds_write_b32 v42, v2 offset:64
.LBB1_17:                               ;   in Loop: Header=BB1_7 Depth=2
	s_andn2_saveexec_b64 s[12:13], s[12:13]
	s_cbranch_execz .LBB1_23
; %bb.18:                               ;   in Loop: Header=BB1_7 Depth=2
	s_xor_b64 s[16:17], s[44:45], -1
	s_and_saveexec_b64 s[44:45], s[16:17]
	s_xor_b64 s[16:17], exec, s[44:45]
	s_cbranch_execz .LBB1_20
; %bb.19:                               ;   in Loop: Header=BB1_7 Depth=2
	ds_write_b32 v42, v9 offset:64
.LBB1_20:                               ;   in Loop: Header=BB1_7 Depth=2
	s_andn2_saveexec_b64 s[16:17], s[16:17]
	s_cbranch_execz .LBB1_22
; %bb.21:                               ;   in Loop: Header=BB1_7 Depth=2
	ds_write_b32 v42, v45 offset:64
.LBB1_22:                               ;   in Loop: Header=BB1_7 Depth=2
	s_or_b64 exec, exec, s[16:17]
.LBB1_23:                               ;   in Loop: Header=BB1_7 Depth=2
	s_or_b64 exec, exec, s[12:13]
	v_add_co_u32_e64 v0, s[12:13], 16, v0
	v_addc_co_u32_e64 v1, s[12:13], 0, v1, s[12:13]
	v_cmp_eq_u64_e64 s[16:17], s[22:23], v[24:25]
	v_cmp_le_i64_e64 s[12:13], s[36:37], v[0:1]
	s_and_b64 s[44:45], s[34:35], s[16:17]
	v_cmp_gt_i64_e64 s[16:17], v[0:1], v[12:13]
	s_or_b64 s[16:17], s[12:13], s[16:17]
	s_or_b64 s[16:17], s[16:17], s[44:45]
	;; [unrolled: 1-line block ×3, first 2 shown]
	s_xor_b64 s[16:17], s[16:17], -1
	s_and_saveexec_b64 s[46:47], s[16:17]
	s_xor_b64 s[46:47], exec, s[46:47]
	s_cbranch_execz .LBB1_25
; %bb.24:                               ;   in Loop: Header=BB1_7 Depth=2
	v_add_co_u32_e64 v0, s[16:17], v38, v30
	v_addc_co_u32_e64 v1, s[16:17], v39, v31, s[16:17]
	global_load_dword v0, v[0:1], off
	s_waitcnt vmcnt(0)
	ds_write_b32 v42, v0 offset:2048
.LBB1_25:                               ;   in Loop: Header=BB1_7 Depth=2
	s_andn2_saveexec_b64 s[16:17], s[46:47]
	s_cbranch_execz .LBB1_31
; %bb.26:                               ;   in Loop: Header=BB1_7 Depth=2
	s_xor_b64 s[44:45], s[44:45], -1
	s_and_saveexec_b64 s[46:47], s[44:45]
	s_xor_b64 s[44:45], exec, s[46:47]
	s_cbranch_execz .LBB1_28
; %bb.27:                               ;   in Loop: Header=BB1_7 Depth=2
	ds_write_b32 v42, v9 offset:2048
.LBB1_28:                               ;   in Loop: Header=BB1_7 Depth=2
	s_andn2_saveexec_b64 s[44:45], s[44:45]
	s_cbranch_execz .LBB1_30
; %bb.29:                               ;   in Loop: Header=BB1_7 Depth=2
	ds_write_b32 v42, v45 offset:2048
.LBB1_30:                               ;   in Loop: Header=BB1_7 Depth=2
	s_or_b64 exec, exec, s[44:45]
.LBB1_31:                               ;   in Loop: Header=BB1_7 Depth=2
	s_or_b64 exec, exec, s[16:17]
	s_or_b64 s[12:13], s[12:13], vcc
	s_or_b64 s[12:13], s[12:13], s[28:29]
	s_or_b64 s[12:13], s[2:3], s[12:13]
	s_xor_b64 s[12:13], s[12:13], -1
	s_and_saveexec_b64 s[16:17], s[12:13]
	s_xor_b64 s[12:13], exec, s[16:17]
	s_cbranch_execz .LBB1_33
; %bb.32:                               ;   in Loop: Header=BB1_7 Depth=2
	v_add_co_u32_e32 v0, vcc, v38, v30
	v_addc_co_u32_e32 v1, vcc, v39, v31, vcc
	global_load_dword v0, v[0:1], off offset:64
	s_waitcnt vmcnt(0)
	ds_write_b32 v42, v0 offset:2112
.LBB1_33:                               ;   in Loop: Header=BB1_7 Depth=2
	s_andn2_saveexec_b64 s[12:13], s[12:13]
	s_cbranch_execz .LBB1_39
; %bb.34:                               ;   in Loop: Header=BB1_7 Depth=2
	s_and_saveexec_b64 s[16:17], s[26:27]
	s_xor_b64 s[16:17], exec, s[16:17]
	s_cbranch_execz .LBB1_36
; %bb.35:                               ;   in Loop: Header=BB1_7 Depth=2
	ds_write_b32 v42, v9 offset:2112
.LBB1_36:                               ;   in Loop: Header=BB1_7 Depth=2
	s_andn2_saveexec_b64 s[16:17], s[16:17]
	s_cbranch_execz .LBB1_38
; %bb.37:                               ;   in Loop: Header=BB1_7 Depth=2
	ds_write_b32 v42, v45 offset:2112
.LBB1_38:                               ;   in Loop: Header=BB1_7 Depth=2
	s_or_b64 exec, exec, s[16:17]
.LBB1_39:                               ;   in Loop: Header=BB1_7 Depth=2
	s_or_b64 exec, exec, s[12:13]
	v_mov_b32_e32 v1, s23
	v_add_co_u32_e32 v0, vcc, s22, v10
	v_addc_co_u32_e32 v1, vcc, 0, v1, vcc
	v_cmp_gt_i64_e32 vcc, s[36:37], v[0:1]
	s_and_b64 s[12:13], s[8:9], vcc
	s_xor_b64 s[12:13], s[12:13], -1
	s_and_saveexec_b64 s[16:17], s[12:13]
	s_xor_b64 s[12:13], exec, s[16:17]
	s_cbranch_execz .LBB1_41
; %bb.40:                               ;   in Loop: Header=BB1_7 Depth=2
	ds_write_b32 v44, v9
.LBB1_41:                               ;   in Loop: Header=BB1_7 Depth=2
	s_andn2_saveexec_b64 s[12:13], s[12:13]
	s_cbranch_execz .LBB1_43
; %bb.42:                               ;   in Loop: Header=BB1_7 Depth=2
	global_load_dword v2, v[34:35], off offset:-64
	s_waitcnt vmcnt(0)
	ds_write_b32 v44, v2
.LBB1_43:                               ;   in Loop: Header=BB1_7 Depth=2
	s_or_b64 exec, exec, s[12:13]
	v_cmp_gt_i64_e64 s[12:13], s[42:43], v[0:1]
	s_and_b64 s[16:17], s[8:9], s[12:13]
	s_xor_b64 s[16:17], s[16:17], -1
	s_and_saveexec_b64 s[26:27], s[16:17]
	s_xor_b64 s[16:17], exec, s[26:27]
	s_cbranch_execz .LBB1_45
; %bb.44:                               ;   in Loop: Header=BB1_7 Depth=2
	ds_write_b32 v44, v9 offset:64
.LBB1_45:                               ;   in Loop: Header=BB1_7 Depth=2
	s_andn2_saveexec_b64 s[16:17], s[16:17]
	s_cbranch_execz .LBB1_47
; %bb.46:                               ;   in Loop: Header=BB1_7 Depth=2
	global_load_dword v0, v[34:35], off
	s_waitcnt vmcnt(0)
	ds_write_b32 v44, v0 offset:64
.LBB1_47:                               ;   in Loop: Header=BB1_7 Depth=2
	s_or_b64 exec, exec, s[16:17]
	s_and_b64 s[16:17], s[10:11], vcc
	s_xor_b64 s[16:17], s[16:17], -1
	s_and_saveexec_b64 s[26:27], s[16:17]
	s_xor_b64 s[16:17], exec, s[26:27]
	s_cbranch_execz .LBB1_49
; %bb.48:                               ;   in Loop: Header=BB1_7 Depth=2
	ds_write_b32 v44, v9 offset:2048
.LBB1_49:                               ;   in Loop: Header=BB1_7 Depth=2
	s_andn2_saveexec_b64 s[16:17], s[16:17]
	s_cbranch_execz .LBB1_51
; %bb.50:                               ;   in Loop: Header=BB1_7 Depth=2
	global_load_dword v0, v[36:37], off offset:-64
	s_waitcnt vmcnt(0)
	ds_write_b32 v44, v0 offset:2048
.LBB1_51:                               ;   in Loop: Header=BB1_7 Depth=2
	s_or_b64 exec, exec, s[16:17]
	s_and_b64 s[12:13], s[10:11], s[12:13]
	s_xor_b64 s[12:13], s[12:13], -1
	s_and_saveexec_b64 s[16:17], s[12:13]
	s_xor_b64 s[12:13], exec, s[16:17]
	s_cbranch_execz .LBB1_53
; %bb.52:                               ;   in Loop: Header=BB1_7 Depth=2
	ds_write_b32 v44, v9 offset:2112
.LBB1_53:                               ;   in Loop: Header=BB1_7 Depth=2
	s_andn2_saveexec_b64 s[12:13], s[12:13]
	s_cbranch_execz .LBB1_6
; %bb.54:                               ;   in Loop: Header=BB1_7 Depth=2
	global_load_dword v0, v[36:37], off
	s_waitcnt vmcnt(0)
	ds_write_b32 v44, v0 offset:2112
	s_branch .LBB1_6
.LBB1_55:                               ;   in Loop: Header=BB1_4 Depth=1
	v_mul_lo_u32 v2, v48, s40
	v_mul_lo_u32 v3, v46, s41
	v_mad_u64_u32 v[0:1], s[8:9], v46, s40, 0
	v_add3_u32 v1, v1, v3, v2
	v_lshlrev_b64 v[0:1], 2, v[0:1]
	v_mov_b32_e32 v2, s49
	v_add_co_u32_e64 v0, s[8:9], s48, v0
	v_cmp_gt_i32_e32 vcc, s30, v46
	v_addc_co_u32_e64 v1, s[8:9], v2, v1, s[8:9]
	s_and_b64 s[8:9], s[4:5], vcc
	s_and_saveexec_b64 s[10:11], s[8:9]
	s_cbranch_execz .LBB1_57
; %bb.56:                               ;   in Loop: Header=BB1_4 Depth=1
	v_add_co_u32_e64 v2, s[8:9], v0, v30
	v_addc_co_u32_e64 v3, s[8:9], v1, v31, s[8:9]
	global_load_dword v4, v[2:3], off
	s_waitcnt vmcnt(0)
	v_fmac_f32_e32 v4, s31, v50
	global_store_dword v[2:3], v4, off
.LBB1_57:                               ;   in Loop: Header=BB1_4 Depth=1
	s_or_b64 exec, exec, s[10:11]
	s_and_b64 s[10:11], s[14:15], vcc
	s_and_saveexec_b64 s[8:9], s[10:11]
	s_cbranch_execz .LBB1_59
; %bb.58:                               ;   in Loop: Header=BB1_4 Depth=1
	v_lshlrev_b64 v[2:3], 2, v[18:19]
	v_add_co_u32_e32 v0, vcc, v0, v2
	v_addc_co_u32_e32 v1, vcc, v1, v3, vcc
	global_load_dword v2, v[0:1], off
	s_waitcnt vmcnt(0)
	v_fmac_f32_e32 v2, s31, v49
	global_store_dword v[0:1], v2, off
.LBB1_59:                               ;   in Loop: Header=BB1_4 Depth=1
	s_or_b64 exec, exec, s[8:9]
	v_add_u32_e32 v0, 16, v46
	v_ashrrev_i32_e32 v1, 31, v0
	v_cmp_gt_i32_e32 vcc, s30, v0
	v_mul_lo_u32 v2, v1, s40
	v_mul_lo_u32 v3, v0, s41
	v_mad_u64_u32 v[0:1], s[8:9], v0, s40, 0
	v_add3_u32 v1, v1, v3, v2
	v_lshlrev_b64 v[0:1], 2, v[0:1]
	v_mov_b32_e32 v2, s49
	v_add_co_u32_e64 v0, s[8:9], s48, v0
	v_addc_co_u32_e64 v1, s[8:9], v2, v1, s[8:9]
	s_and_b64 s[8:9], s[4:5], vcc
	s_and_saveexec_b64 s[10:11], s[8:9]
	s_cbranch_execz .LBB1_61
; %bb.60:                               ;   in Loop: Header=BB1_4 Depth=1
	v_add_co_u32_e64 v2, s[8:9], v0, v30
	v_addc_co_u32_e64 v3, s[8:9], v1, v31, s[8:9]
	global_load_dword v4, v[2:3], off
	s_waitcnt vmcnt(0)
	v_fmac_f32_e32 v4, s31, v47
	global_store_dword v[2:3], v4, off
.LBB1_61:                               ;   in Loop: Header=BB1_4 Depth=1
	s_or_b64 exec, exec, s[10:11]
	s_and_b64 s[10:11], s[14:15], vcc
	s_and_saveexec_b64 s[8:9], s[10:11]
	s_cbranch_execz .LBB1_3
; %bb.62:                               ;   in Loop: Header=BB1_4 Depth=1
	v_lshlrev_b64 v[2:3], 2, v[18:19]
	v_add_co_u32_e32 v0, vcc, v0, v2
	v_addc_co_u32_e32 v1, vcc, v1, v3, vcc
	global_load_dword v2, v[0:1], off
	s_waitcnt vmcnt(0)
	v_fmac_f32_e32 v2, s31, v29
	global_store_dword v[0:1], v2, off
	s_branch .LBB1_3
.LBB1_63:
	s_endpgm
	.section	.rodata,"a",@progbits
	.p2align	6, 0x0
	.amdhsa_kernel _ZL30rocblas_trmm_outofplace_kernelIfLi32ELi2ELb1ELb0ELb0ELb0EfKffEv17rocblas_diagonal_iiT6_lPT7_lllS4_lllPT8_llli
		.amdhsa_group_segment_fixed_size 8192
		.amdhsa_private_segment_fixed_size 0
		.amdhsa_kernarg_size 384
		.amdhsa_user_sgpr_count 6
		.amdhsa_user_sgpr_private_segment_buffer 1
		.amdhsa_user_sgpr_dispatch_ptr 0
		.amdhsa_user_sgpr_queue_ptr 0
		.amdhsa_user_sgpr_kernarg_segment_ptr 1
		.amdhsa_user_sgpr_dispatch_id 0
		.amdhsa_user_sgpr_flat_scratch_init 0
		.amdhsa_user_sgpr_kernarg_preload_length 0
		.amdhsa_user_sgpr_kernarg_preload_offset 0
		.amdhsa_user_sgpr_private_segment_size 0
		.amdhsa_uses_dynamic_stack 0
		.amdhsa_system_sgpr_private_segment_wavefront_offset 0
		.amdhsa_system_sgpr_workgroup_id_x 1
		.amdhsa_system_sgpr_workgroup_id_y 1
		.amdhsa_system_sgpr_workgroup_id_z 1
		.amdhsa_system_sgpr_workgroup_info 0
		.amdhsa_system_vgpr_workitem_id 1
		.amdhsa_next_free_vgpr 72
		.amdhsa_next_free_sgpr 55
		.amdhsa_accum_offset 72
		.amdhsa_reserve_vcc 1
		.amdhsa_reserve_flat_scratch 0
		.amdhsa_float_round_mode_32 0
		.amdhsa_float_round_mode_16_64 0
		.amdhsa_float_denorm_mode_32 3
		.amdhsa_float_denorm_mode_16_64 3
		.amdhsa_dx10_clamp 1
		.amdhsa_ieee_mode 1
		.amdhsa_fp16_overflow 0
		.amdhsa_tg_split 0
		.amdhsa_exception_fp_ieee_invalid_op 0
		.amdhsa_exception_fp_denorm_src 0
		.amdhsa_exception_fp_ieee_div_zero 0
		.amdhsa_exception_fp_ieee_overflow 0
		.amdhsa_exception_fp_ieee_underflow 0
		.amdhsa_exception_fp_ieee_inexact 0
		.amdhsa_exception_int_div_zero 0
	.end_amdhsa_kernel
	.section	.text._ZL30rocblas_trmm_outofplace_kernelIfLi32ELi2ELb1ELb0ELb0ELb0EfKffEv17rocblas_diagonal_iiT6_lPT7_lllS4_lllPT8_llli,"axG",@progbits,_ZL30rocblas_trmm_outofplace_kernelIfLi32ELi2ELb1ELb0ELb0ELb0EfKffEv17rocblas_diagonal_iiT6_lPT7_lllS4_lllPT8_llli,comdat
.Lfunc_end1:
	.size	_ZL30rocblas_trmm_outofplace_kernelIfLi32ELi2ELb1ELb0ELb0ELb0EfKffEv17rocblas_diagonal_iiT6_lPT7_lllS4_lllPT8_llli, .Lfunc_end1-_ZL30rocblas_trmm_outofplace_kernelIfLi32ELi2ELb1ELb0ELb0ELb0EfKffEv17rocblas_diagonal_iiT6_lPT7_lllS4_lllPT8_llli
                                        ; -- End function
	.section	.AMDGPU.csdata,"",@progbits
; Kernel info:
; codeLenInByte = 3052
; NumSgprs: 59
; NumVgprs: 72
; NumAgprs: 0
; TotalNumVgprs: 72
; ScratchSize: 0
; MemoryBound: 0
; FloatMode: 240
; IeeeMode: 1
; LDSByteSize: 8192 bytes/workgroup (compile time only)
; SGPRBlocks: 7
; VGPRBlocks: 8
; NumSGPRsForWavesPerEU: 59
; NumVGPRsForWavesPerEU: 72
; AccumOffset: 72
; Occupancy: 7
; WaveLimiterHint : 0
; COMPUTE_PGM_RSRC2:SCRATCH_EN: 0
; COMPUTE_PGM_RSRC2:USER_SGPR: 6
; COMPUTE_PGM_RSRC2:TRAP_HANDLER: 0
; COMPUTE_PGM_RSRC2:TGID_X_EN: 1
; COMPUTE_PGM_RSRC2:TGID_Y_EN: 1
; COMPUTE_PGM_RSRC2:TGID_Z_EN: 1
; COMPUTE_PGM_RSRC2:TIDIG_COMP_CNT: 1
; COMPUTE_PGM_RSRC3_GFX90A:ACCUM_OFFSET: 17
; COMPUTE_PGM_RSRC3_GFX90A:TG_SPLIT: 0
	.section	.text._ZL30rocblas_trmm_outofplace_kernelIfLi32ELi2ELb1ELb1ELb0ELb0EPKfS0_fEv17rocblas_diagonal_iiT6_lPT7_lllS5_lllPT8_llli,"axG",@progbits,_ZL30rocblas_trmm_outofplace_kernelIfLi32ELi2ELb1ELb1ELb0ELb0EPKfS0_fEv17rocblas_diagonal_iiT6_lPT7_lllS5_lllPT8_llli,comdat
	.globl	_ZL30rocblas_trmm_outofplace_kernelIfLi32ELi2ELb1ELb1ELb0ELb0EPKfS0_fEv17rocblas_diagonal_iiT6_lPT7_lllS5_lllPT8_llli ; -- Begin function _ZL30rocblas_trmm_outofplace_kernelIfLi32ELi2ELb1ELb1ELb0ELb0EPKfS0_fEv17rocblas_diagonal_iiT6_lPT7_lllS5_lllPT8_llli
	.p2align	8
	.type	_ZL30rocblas_trmm_outofplace_kernelIfLi32ELi2ELb1ELb1ELb0ELb0EPKfS0_fEv17rocblas_diagonal_iiT6_lPT7_lllS5_lllPT8_llli,@function
_ZL30rocblas_trmm_outofplace_kernelIfLi32ELi2ELb1ELb1ELb0ELb0EPKfS0_fEv17rocblas_diagonal_iiT6_lPT7_lllS5_lllPT8_llli: ; @_ZL30rocblas_trmm_outofplace_kernelIfLi32ELi2ELb1ELb1ELb0ELb0EPKfS0_fEv17rocblas_diagonal_iiT6_lPT7_lllS5_lllPT8_llli
; %bb.0:
	s_load_dwordx16 s[12:27], s[4:5], 0x10
	s_waitcnt lgkmcnt(0)
	s_mul_i32 s0, s8, s15
	s_mul_hi_u32 s1, s8, s14
	s_add_i32 s1, s1, s0
	s_mul_i32 s0, s8, s14
	s_lshl_b64 s[0:1], s[0:1], 2
	s_add_u32 s0, s12, s0
	s_addc_u32 s1, s13, s1
	s_load_dword s33, s[0:1], 0x0
	s_waitcnt lgkmcnt(0)
	v_cmp_eq_f32_e64 s[0:1], s33, 0
	s_and_b64 vcc, exec, s[0:1]
	s_cbranch_vccnz .LBB2_63
; %bb.1:
	s_load_dwordx4 s[28:31], s[4:5], 0x0
	s_waitcnt lgkmcnt(0)
	s_add_i32 s0, s30, -1
	s_ashr_i32 s1, s0, 31
	s_lshr_b32 s1, s1, 27
	s_add_i32 s0, s0, s1
	s_ashr_i32 s31, s0, 5
	s_cmp_gt_i32 s7, s31
	s_cbranch_scc1 .LBB2_63
; %bb.2:
	s_mul_i32 s0, s8, s23
	s_mul_hi_u32 s1, s8, s22
	s_add_i32 s1, s1, s0
	s_mul_i32 s0, s8, s22
	s_load_dwordx4 s[44:47], s[4:5], 0x70
	s_load_dword s50, s[4:5], 0x8c
	s_lshl_b64 s[10:11], s[0:1], 2
	s_add_u32 s0, s16, s10
	s_load_dwordx8 s[36:43], s[4:5], 0x50
	s_addc_u32 s1, s17, s11
	s_lshl_b64 s[12:13], s[18:19], 2
	s_add_u32 s2, s0, s12
	s_addc_u32 s3, s1, s13
	s_waitcnt lgkmcnt(0)
	s_mul_i32 s0, s8, s47
	s_mul_hi_u32 s1, s8, s46
	s_add_i32 s1, s1, s0
	s_mul_i32 s0, s8, s46
	s_lshl_b64 s[0:1], s[0:1], 2
	s_add_u32 s4, s40, s0
	s_addc_u32 s5, s41, s1
	s_lshl_b64 s[0:1], s[42:43], 2
	s_add_u32 s51, s4, s0
	s_addc_u32 s52, s5, s1
	s_lshl_b32 s4, s6, 5
	v_bfe_u32 v42, v0, 10, 10
	s_sub_i32 s6, s29, s4
	v_add_u32_e32 v12, s4, v42
	s_cmp_gt_i32 s6, 0
	v_ashrrev_i32_e32 v13, 31, v12
	s_cselect_b64 s[18:19], -1, 0
	s_cmpk_eq_i32 s28, 0x84
	v_and_b32_e32 v2, 0x3ff, v0
	v_mul_lo_u32 v3, v13, s20
	v_mul_lo_u32 v4, v12, s21
	v_mad_u64_u32 v[0:1], s[0:1], v12, s20, 0
	s_cselect_b64 s[22:23], -1, 0
	s_ashr_i32 s35, s29, 31
	s_ashr_i32 s53, s30, 31
	s_lshl_b64 s[40:41], s[20:21], 7
	v_add3_u32 v1, v1, v4, v3
	s_add_u32 s42, s29, -16
	s_mul_i32 s9, s39, s8
	s_mul_hi_u32 s28, s38, s8
	v_lshlrev_b64 v[0:1], 2, v[0:1]
	s_addc_u32 s43, s35, -1
	s_add_i32 s9, s28, s9
	s_mul_i32 s8, s38, s8
	v_mov_b32_e32 v3, s3
	v_add_co_u32_e32 v16, vcc, s2, v0
	s_lshl_b64 s[8:9], s[8:9], 2
	s_lshl_b64 s[26:27], s[26:27], 2
	v_add_u32_e32 v14, s4, v2
	v_addc_co_u32_e32 v17, vcc, v3, v1, vcc
	s_add_u32 s8, s8, s26
	v_ashrrev_i32_e32 v15, 31, v14
	v_add_co_u32_e32 v18, vcc, 16, v14
	s_addc_u32 s9, s9, s27
	v_addc_co_u32_e32 v19, vcc, 0, v15, vcc
	s_add_u32 s8, s8, s24
	v_sub_co_u32_e32 v22, vcc, v14, v12
	s_addc_u32 s9, s9, s25
	v_subb_co_u32_e32 v23, vcc, v15, v13, vcc
	s_add_u32 s24, s8, 64
	v_add_co_u32_e32 v24, vcc, 16, v22
	s_addc_u32 s25, s9, 0
	s_lshl_b64 s[26:27], s[36:37], 2
	s_lshl_b32 s54, s50, 5
	v_addc_co_u32_e32 v25, vcc, 0, v23, vcc
	s_add_u32 s8, s16, s12
	v_lshlrev_b32_e32 v0, 7, v42
	v_lshlrev_b32_e32 v43, 2, v2
	v_add_co_u32_e32 v26, vcc, -16, v22
	s_addc_u32 s9, s17, s13
	v_add_u32_e32 v44, v43, v0
	v_add_u32_e32 v45, 0x1000, v0
	v_addc_co_u32_e32 v27, vcc, -1, v23, vcc
	v_lshlrev_b64 v[0:1], 2, v[12:13]
	s_add_u32 s8, s8, s10
	v_add_co_u32_e32 v2, vcc, 64, v0
	s_addc_u32 s9, s9, s11
	v_addc_co_u32_e32 v3, vcc, 0, v1, vcc
	v_pk_mov_b32 v[0:1], s[8:9], s[8:9] op_sel:[0,1]
	s_mov_b32 s34, s29
	v_add_u32_e32 v20, 16, v14
	v_mad_u64_u32 v[32:33], s[8:9], s20, v2, v[0:1]
	v_mul_lo_u32 v0, s20, v3
	v_mul_lo_u32 v1, s21, v2
	v_cmp_le_i32_e64 s[0:1], s29, v14
	v_cmp_le_i64_e64 s[2:3], s[34:35], v[18:19]
	v_add_u32_e32 v46, v45, v43
	v_cmp_gt_i32_e64 s[4:5], s29, v14
	v_cmp_gt_i32_e64 s[14:15], s29, v20
	v_ashrrev_i32_e32 v21, 31, v20
	v_lshlrev_b64 v[28:29], 2, v[14:15]
	v_lshl_add_u32 v30, s7, 5, v42
	v_add3_u32 v33, v1, v33, v0
	v_mov_b32_e32 v47, 0
	v_mov_b32_e32 v48, 1.0
	s_movk_i32 s55, 0x80
	s_branch .LBB2_4
.LBB2_3:                                ;   in Loop: Header=BB2_4 Depth=1
	s_or_b64 exec, exec, s[8:9]
	s_add_i32 s7, s50, s7
	s_cmp_le_i32 s7, s31
	v_add_u32_e32 v30, s54, v30
	s_cbranch_scc0 .LBB2_63
.LBB2_4:                                ; =>This Loop Header: Depth=1
                                        ;     Child Loop BB2_7 Depth 2
	v_lshl_add_u32 v49, s7, 5, v42
	v_ashrrev_i32_e32 v51, 31, v49
	s_andn2_b64 vcc, exec, s[18:19]
	v_mov_b32_e32 v53, 0
	v_mov_b32_e32 v52, 0
	;; [unrolled: 1-line block ×4, first 2 shown]
	s_cbranch_vccnz .LBB2_55
; %bb.5:                                ;   in Loop: Header=BB2_4 Depth=1
	v_ashrrev_i32_e32 v31, 31, v30
	v_pk_mov_b32 v[0:1], s[24:25], s[24:25] op_sel:[0,1]
	v_mad_u64_u32 v[34:35], s[8:9], s26, v30, v[0:1]
	v_mul_lo_u32 v2, s27, v30
	v_mul_lo_u32 v3, s26, v31
	v_add3_u32 v35, v2, v35, v3
	v_lshlrev_b64 v[2:3], 2, v[30:31]
	v_add_co_u32_e32 v2, vcc, 64, v2
	v_addc_co_u32_e32 v3, vcc, 0, v3, vcc
	v_mad_u64_u32 v[36:37], s[8:9], s36, v2, v[0:1]
	v_mov_b32_e32 v1, s53
	v_sub_co_u32_e32 v0, vcc, s30, v49
	v_mul_lo_u32 v3, s36, v3
	v_mul_lo_u32 v4, s37, v2
	v_subb_co_u32_e32 v1, vcc, v1, v51, vcc
	v_add3_u32 v37, v4, v37, v3
	s_mov_b64 s[20:21], 0
	v_cmp_lt_i64_e64 s[8:9], 0, v[0:1]
	v_cmp_lt_i64_e64 s[10:11], 16, v[0:1]
	v_mov_b32_e32 v31, 0
	v_pk_mov_b32 v[38:39], v[32:33], v[32:33] op_sel:[0,1]
	v_pk_mov_b32 v[40:41], v[16:17], v[16:17] op_sel:[0,1]
	v_mov_b32_e32 v50, 0
	v_mov_b32_e32 v52, 0
	;; [unrolled: 1-line block ×3, first 2 shown]
	s_branch .LBB2_7
.LBB2_6:                                ;   in Loop: Header=BB2_7 Depth=2
	s_or_b64 exec, exec, s[12:13]
	s_waitcnt lgkmcnt(0)
	s_barrier
	ds_read_b128 v[54:57], v45
	ds_read_b128 v[8:11], v45 offset:16
	ds_read_b128 v[4:7], v45 offset:32
	;; [unrolled: 1-line block ×3, first 2 shown]
	ds_read2_b32 v[62:63], v43 offset1:16
	ds_read_b128 v[58:61], v45 offset:2048
	v_add_co_u32_e32 v34, vcc, s55, v34
	v_addc_co_u32_e32 v35, vcc, 0, v35, vcc
	s_waitcnt lgkmcnt(1)
	v_fmac_f32_e32 v53, v62, v54
	v_fmac_f32_e32 v52, v63, v54
	s_waitcnt lgkmcnt(0)
	v_fmac_f32_e32 v50, v62, v58
	v_fmac_f32_e32 v31, v63, v58
	ds_read2_b32 v[62:63], v43 offset0:32 offset1:48
	v_add_co_u32_e32 v40, vcc, s40, v40
	s_add_u32 s20, s20, 32
	s_addc_u32 s21, s21, 0
	s_waitcnt lgkmcnt(0)
	v_fmac_f32_e32 v53, v62, v55
	v_fmac_f32_e32 v52, v63, v55
	ds_read2_b32 v[54:55], v43 offset0:64 offset1:80
	v_fmac_f32_e32 v50, v62, v59
	v_fmac_f32_e32 v31, v63, v59
	ds_read2_b32 v[58:59], v43 offset0:128 offset1:144
	s_cmp_ge_i32 s20, s6
	s_waitcnt lgkmcnt(1)
	v_fmac_f32_e32 v53, v54, v56
	v_fmac_f32_e32 v52, v55, v56
	;; [unrolled: 1-line block ×4, first 2 shown]
	ds_read2_b32 v[54:55], v43 offset0:96 offset1:112
	s_waitcnt lgkmcnt(0)
	v_fmac_f32_e32 v53, v54, v57
	v_fmac_f32_e32 v52, v55, v57
	;; [unrolled: 1-line block ×4, first 2 shown]
	ds_read_b128 v[54:57], v45 offset:2064
	v_fmac_f32_e32 v53, v58, v8
	v_fmac_f32_e32 v52, v59, v8
	s_waitcnt lgkmcnt(0)
	v_fmac_f32_e32 v50, v58, v54
	v_fmac_f32_e32 v31, v59, v54
	ds_read2_b32 v[58:59], v43 offset0:160 offset1:176
	s_waitcnt lgkmcnt(0)
	v_fmac_f32_e32 v53, v58, v9
	v_fmac_f32_e32 v52, v59, v9
	ds_read2_b32 v[8:9], v43 offset0:192 offset1:208
	v_fmac_f32_e32 v50, v58, v55
	v_fmac_f32_e32 v31, v59, v55
	s_waitcnt lgkmcnt(0)
	v_fmac_f32_e32 v53, v8, v10
	v_fmac_f32_e32 v52, v9, v10
	;; [unrolled: 1-line block ×4, first 2 shown]
	ds_read2_b32 v[8:9], v43 offset0:224 offset1:240
	v_add_u32_e32 v56, 0x400, v43
	ds_read2_b32 v[54:55], v56 offset1:16
	s_waitcnt lgkmcnt(1)
	v_fmac_f32_e32 v53, v8, v11
	v_fmac_f32_e32 v52, v9, v11
	;; [unrolled: 1-line block ×4, first 2 shown]
	ds_read_b128 v[8:11], v45 offset:2080
	s_waitcnt lgkmcnt(1)
	v_fmac_f32_e32 v53, v54, v4
	v_fmac_f32_e32 v52, v55, v4
	s_waitcnt lgkmcnt(0)
	v_fmac_f32_e32 v50, v54, v8
	v_fmac_f32_e32 v31, v55, v8
	ds_read2_b32 v[54:55], v56 offset0:32 offset1:48
	s_waitcnt lgkmcnt(0)
	v_fmac_f32_e32 v53, v54, v5
	v_fmac_f32_e32 v52, v55, v5
	ds_read2_b32 v[4:5], v56 offset0:64 offset1:80
	v_fmac_f32_e32 v50, v54, v9
	v_fmac_f32_e32 v31, v55, v9
	ds_read2_b32 v[8:9], v56 offset0:128 offset1:144
	s_waitcnt lgkmcnt(1)
	v_fmac_f32_e32 v53, v4, v6
	v_fmac_f32_e32 v52, v5, v6
	;; [unrolled: 1-line block ×4, first 2 shown]
	ds_read2_b32 v[4:5], v56 offset0:96 offset1:112
	v_add_u32_e32 v10, 0x800, v43
	s_waitcnt lgkmcnt(0)
	v_fmac_f32_e32 v53, v4, v7
	v_fmac_f32_e32 v52, v5, v7
	;; [unrolled: 1-line block ×4, first 2 shown]
	ds_read_b128 v[4:7], v45 offset:2096
	v_fmac_f32_e32 v53, v8, v0
	v_fmac_f32_e32 v52, v9, v0
	s_waitcnt lgkmcnt(0)
	v_fmac_f32_e32 v50, v8, v4
	v_fmac_f32_e32 v31, v9, v4
	ds_read2_b32 v[8:9], v56 offset0:160 offset1:176
	s_waitcnt lgkmcnt(0)
	v_fmac_f32_e32 v53, v8, v1
	v_fmac_f32_e32 v52, v9, v1
	ds_read2_b32 v[0:1], v56 offset0:192 offset1:208
	v_fmac_f32_e32 v50, v8, v5
	v_fmac_f32_e32 v31, v9, v5
	ds_read2_b32 v[8:9], v10 offset1:16
	s_waitcnt lgkmcnt(1)
	v_fmac_f32_e32 v53, v0, v2
	v_fmac_f32_e32 v52, v1, v2
	;; [unrolled: 1-line block ×4, first 2 shown]
	ds_read2_b32 v[0:1], v56 offset0:224 offset1:240
	s_waitcnt lgkmcnt(0)
	v_fmac_f32_e32 v53, v0, v3
	v_fmac_f32_e32 v52, v1, v3
	;; [unrolled: 1-line block ×4, first 2 shown]
	ds_read_b128 v[0:3], v45 offset:64
	ds_read_b128 v[4:7], v45 offset:2112
	s_waitcnt lgkmcnt(1)
	v_fmac_f32_e32 v53, v8, v0
	v_fmac_f32_e32 v52, v9, v0
	s_waitcnt lgkmcnt(0)
	v_fmac_f32_e32 v50, v8, v4
	v_fmac_f32_e32 v31, v9, v4
	ds_read2_b32 v[8:9], v10 offset0:32 offset1:48
	s_waitcnt lgkmcnt(0)
	v_fmac_f32_e32 v53, v8, v1
	v_fmac_f32_e32 v52, v9, v1
	ds_read2_b32 v[0:1], v10 offset0:64 offset1:80
	v_fmac_f32_e32 v50, v8, v5
	v_fmac_f32_e32 v31, v9, v5
	s_waitcnt lgkmcnt(0)
	v_fmac_f32_e32 v53, v0, v2
	v_fmac_f32_e32 v52, v1, v2
	;; [unrolled: 1-line block ×4, first 2 shown]
	ds_read2_b32 v[0:1], v10 offset0:96 offset1:112
	s_waitcnt lgkmcnt(0)
	v_fmac_f32_e32 v53, v0, v3
	v_fmac_f32_e32 v52, v1, v3
	;; [unrolled: 1-line block ×4, first 2 shown]
	ds_read_b128 v[0:3], v45 offset:80
	ds_read2_b32 v[8:9], v10 offset0:128 offset1:144
	ds_read_b128 v[4:7], v45 offset:2128
	s_waitcnt lgkmcnt(1)
	v_fmac_f32_e32 v53, v8, v0
	v_fmac_f32_e32 v52, v9, v0
	s_waitcnt lgkmcnt(0)
	v_fmac_f32_e32 v50, v8, v4
	v_fmac_f32_e32 v31, v9, v4
	ds_read2_b32 v[8:9], v10 offset0:160 offset1:176
	s_waitcnt lgkmcnt(0)
	v_fmac_f32_e32 v53, v8, v1
	v_fmac_f32_e32 v52, v9, v1
	ds_read2_b32 v[0:1], v10 offset0:192 offset1:208
	v_fmac_f32_e32 v50, v8, v5
	v_fmac_f32_e32 v31, v9, v5
	s_waitcnt lgkmcnt(0)
	v_fmac_f32_e32 v53, v0, v2
	v_fmac_f32_e32 v52, v1, v2
	;; [unrolled: 1-line block ×4, first 2 shown]
	ds_read2_b32 v[0:1], v10 offset0:224 offset1:240
	v_add_u32_e32 v10, 0xc00, v43
	ds_read2_b32 v[8:9], v10 offset1:16
	s_waitcnt lgkmcnt(1)
	v_fmac_f32_e32 v53, v0, v3
	v_fmac_f32_e32 v52, v1, v3
	;; [unrolled: 1-line block ×4, first 2 shown]
	ds_read_b128 v[0:3], v45 offset:96
	ds_read_b128 v[4:7], v45 offset:2144
	s_waitcnt lgkmcnt(1)
	v_fmac_f32_e32 v53, v8, v0
	v_fmac_f32_e32 v52, v9, v0
	s_waitcnt lgkmcnt(0)
	v_fmac_f32_e32 v50, v8, v4
	v_fmac_f32_e32 v31, v9, v4
	ds_read2_b32 v[8:9], v10 offset0:32 offset1:48
	s_waitcnt lgkmcnt(0)
	v_fmac_f32_e32 v53, v8, v1
	v_fmac_f32_e32 v52, v9, v1
	ds_read2_b32 v[0:1], v10 offset0:64 offset1:80
	v_fmac_f32_e32 v50, v8, v5
	v_fmac_f32_e32 v31, v9, v5
	s_waitcnt lgkmcnt(0)
	v_fmac_f32_e32 v53, v0, v2
	v_fmac_f32_e32 v52, v1, v2
	v_fmac_f32_e32 v50, v0, v6
	v_fmac_f32_e32 v31, v1, v6
	ds_read2_b32 v[0:1], v10 offset0:96 offset1:112
	s_waitcnt lgkmcnt(0)
	v_fmac_f32_e32 v53, v0, v3
	v_fmac_f32_e32 v52, v1, v3
	;; [unrolled: 1-line block ×4, first 2 shown]
	ds_read_b128 v[0:3], v45 offset:112
	ds_read2_b32 v[8:9], v10 offset0:128 offset1:144
	ds_read_b128 v[4:7], v45 offset:2160
	s_waitcnt lgkmcnt(1)
	v_fmac_f32_e32 v53, v8, v0
	v_fmac_f32_e32 v52, v9, v0
	s_waitcnt lgkmcnt(0)
	v_fmac_f32_e32 v50, v8, v4
	v_fmac_f32_e32 v31, v9, v4
	ds_read2_b32 v[8:9], v10 offset0:160 offset1:176
	s_waitcnt lgkmcnt(0)
	v_fmac_f32_e32 v53, v8, v1
	v_fmac_f32_e32 v52, v9, v1
	ds_read2_b32 v[0:1], v10 offset0:192 offset1:208
	v_fmac_f32_e32 v50, v8, v5
	v_fmac_f32_e32 v31, v9, v5
	s_waitcnt lgkmcnt(0)
	v_fmac_f32_e32 v53, v0, v2
	v_fmac_f32_e32 v52, v1, v2
	v_fmac_f32_e32 v50, v0, v6
	v_fmac_f32_e32 v31, v1, v6
	ds_read2_b32 v[0:1], v10 offset0:224 offset1:240
	s_waitcnt lgkmcnt(0)
	s_barrier
	v_fmac_f32_e32 v53, v0, v3
	v_fmac_f32_e32 v50, v0, v7
	v_mov_b32_e32 v0, s41
	v_addc_co_u32_e32 v41, vcc, v41, v0, vcc
	v_add_co_u32_e32 v38, vcc, s40, v38
	v_addc_co_u32_e32 v39, vcc, v39, v0, vcc
	v_add_co_u32_e32 v36, vcc, 0x80, v36
	v_fmac_f32_e32 v52, v1, v3
	v_fmac_f32_e32 v31, v1, v7
	v_addc_co_u32_e32 v37, vcc, 0, v37, vcc
	s_cbranch_scc1 .LBB2_55
.LBB2_7:                                ;   Parent Loop BB2_4 Depth=1
                                        ; =>  This Inner Loop Header: Depth=2
	v_mov_b32_e32 v1, s21
	v_add_co_u32_e32 v0, vcc, s20, v12
	v_addc_co_u32_e32 v1, vcc, v13, v1, vcc
	v_add_co_u32_e32 v2, vcc, v40, v28
	v_addc_co_u32_e32 v3, vcc, v41, v29, vcc
	v_cmp_eq_u64_e32 vcc, s[20:21], v[22:23]
	v_cmp_le_i64_e64 s[12:13], s[34:35], v[0:1]
	s_and_b64 s[38:39], s[22:23], vcc
	v_cmp_lt_i64_e32 vcc, v[0:1], v[14:15]
	s_or_b64 s[16:17], s[12:13], vcc
	s_or_b64 s[16:17], s[16:17], s[38:39]
	s_or_b64 s[16:17], s[0:1], s[16:17]
	s_xor_b64 s[16:17], s[16:17], -1
	s_and_saveexec_b64 s[28:29], s[16:17]
	s_xor_b64 s[16:17], exec, s[28:29]
	s_cbranch_execz .LBB2_9
; %bb.8:                                ;   in Loop: Header=BB2_7 Depth=2
	global_load_dword v4, v[2:3], off
	s_waitcnt vmcnt(0)
	ds_write_b32 v44, v4
.LBB2_9:                                ;   in Loop: Header=BB2_7 Depth=2
	s_or_saveexec_b64 s[16:17], s[16:17]
	s_xor_b64 s[28:29], s[38:39], -1
	s_xor_b64 exec, exec, s[16:17]
	s_cbranch_execz .LBB2_15
; %bb.10:                               ;   in Loop: Header=BB2_7 Depth=2
	s_and_saveexec_b64 s[46:47], s[28:29]
	s_xor_b64 s[46:47], exec, s[46:47]
	s_cbranch_execz .LBB2_12
; %bb.11:                               ;   in Loop: Header=BB2_7 Depth=2
	ds_write_b32 v44, v47
.LBB2_12:                               ;   in Loop: Header=BB2_7 Depth=2
	s_andn2_saveexec_b64 s[46:47], s[46:47]
	s_cbranch_execz .LBB2_14
; %bb.13:                               ;   in Loop: Header=BB2_7 Depth=2
	ds_write_b32 v44, v48
.LBB2_14:                               ;   in Loop: Header=BB2_7 Depth=2
	s_or_b64 exec, exec, s[46:47]
.LBB2_15:                               ;   in Loop: Header=BB2_7 Depth=2
	s_or_b64 exec, exec, s[16:17]
	v_cmp_eq_u64_e64 s[16:17], s[20:21], v[24:25]
	s_and_b64 s[46:47], s[22:23], s[16:17]
	v_cmp_gt_i64_e64 s[16:17], v[18:19], v[0:1]
	s_or_b64 s[12:13], s[12:13], s[16:17]
	s_or_b64 s[12:13], s[12:13], s[46:47]
	;; [unrolled: 1-line block ×3, first 2 shown]
	s_xor_b64 s[12:13], s[12:13], -1
	s_and_saveexec_b64 s[16:17], s[12:13]
	s_xor_b64 s[12:13], exec, s[16:17]
	s_cbranch_execz .LBB2_17
; %bb.16:                               ;   in Loop: Header=BB2_7 Depth=2
	global_load_dword v2, v[2:3], off offset:64
	s_waitcnt vmcnt(0)
	ds_write_b32 v44, v2 offset:64
.LBB2_17:                               ;   in Loop: Header=BB2_7 Depth=2
	s_andn2_saveexec_b64 s[12:13], s[12:13]
	s_cbranch_execz .LBB2_23
; %bb.18:                               ;   in Loop: Header=BB2_7 Depth=2
	s_xor_b64 s[16:17], s[46:47], -1
	s_and_saveexec_b64 s[46:47], s[16:17]
	s_xor_b64 s[16:17], exec, s[46:47]
	s_cbranch_execz .LBB2_20
; %bb.19:                               ;   in Loop: Header=BB2_7 Depth=2
	ds_write_b32 v44, v47 offset:64
.LBB2_20:                               ;   in Loop: Header=BB2_7 Depth=2
	s_andn2_saveexec_b64 s[16:17], s[16:17]
	s_cbranch_execz .LBB2_22
; %bb.21:                               ;   in Loop: Header=BB2_7 Depth=2
	ds_write_b32 v44, v48 offset:64
.LBB2_22:                               ;   in Loop: Header=BB2_7 Depth=2
	s_or_b64 exec, exec, s[16:17]
.LBB2_23:                               ;   in Loop: Header=BB2_7 Depth=2
	s_or_b64 exec, exec, s[12:13]
	v_add_co_u32_e64 v0, s[12:13], 16, v0
	v_addc_co_u32_e64 v1, s[12:13], 0, v1, s[12:13]
	v_cmp_eq_u64_e64 s[16:17], s[20:21], v[26:27]
	v_cmp_le_i64_e64 s[12:13], s[34:35], v[0:1]
	s_and_b64 s[46:47], s[22:23], s[16:17]
	v_cmp_lt_i64_e64 s[16:17], v[0:1], v[14:15]
	s_or_b64 s[16:17], s[12:13], s[16:17]
	s_or_b64 s[16:17], s[16:17], s[46:47]
	;; [unrolled: 1-line block ×3, first 2 shown]
	s_xor_b64 s[16:17], s[16:17], -1
	s_and_saveexec_b64 s[48:49], s[16:17]
	s_xor_b64 s[48:49], exec, s[48:49]
	s_cbranch_execz .LBB2_25
; %bb.24:                               ;   in Loop: Header=BB2_7 Depth=2
	v_add_co_u32_e64 v0, s[16:17], v38, v28
	v_addc_co_u32_e64 v1, s[16:17], v39, v29, s[16:17]
	global_load_dword v0, v[0:1], off
	s_waitcnt vmcnt(0)
	ds_write_b32 v44, v0 offset:2048
.LBB2_25:                               ;   in Loop: Header=BB2_7 Depth=2
	s_andn2_saveexec_b64 s[16:17], s[48:49]
	s_cbranch_execz .LBB2_31
; %bb.26:                               ;   in Loop: Header=BB2_7 Depth=2
	s_xor_b64 s[46:47], s[46:47], -1
	s_and_saveexec_b64 s[48:49], s[46:47]
	s_xor_b64 s[46:47], exec, s[48:49]
	s_cbranch_execz .LBB2_28
; %bb.27:                               ;   in Loop: Header=BB2_7 Depth=2
	ds_write_b32 v44, v47 offset:2048
.LBB2_28:                               ;   in Loop: Header=BB2_7 Depth=2
	s_andn2_saveexec_b64 s[46:47], s[46:47]
	s_cbranch_execz .LBB2_30
; %bb.29:                               ;   in Loop: Header=BB2_7 Depth=2
	ds_write_b32 v44, v48 offset:2048
.LBB2_30:                               ;   in Loop: Header=BB2_7 Depth=2
	s_or_b64 exec, exec, s[46:47]
.LBB2_31:                               ;   in Loop: Header=BB2_7 Depth=2
	s_or_b64 exec, exec, s[16:17]
	s_or_b64 s[12:13], s[12:13], vcc
	s_or_b64 s[12:13], s[12:13], s[38:39]
	s_or_b64 s[12:13], s[2:3], s[12:13]
	s_xor_b64 s[12:13], s[12:13], -1
	s_and_saveexec_b64 s[16:17], s[12:13]
	s_xor_b64 s[12:13], exec, s[16:17]
	s_cbranch_execz .LBB2_33
; %bb.32:                               ;   in Loop: Header=BB2_7 Depth=2
	v_add_co_u32_e32 v0, vcc, v38, v28
	v_addc_co_u32_e32 v1, vcc, v39, v29, vcc
	global_load_dword v0, v[0:1], off offset:64
	s_waitcnt vmcnt(0)
	ds_write_b32 v44, v0 offset:2112
.LBB2_33:                               ;   in Loop: Header=BB2_7 Depth=2
	s_andn2_saveexec_b64 s[12:13], s[12:13]
	s_cbranch_execz .LBB2_39
; %bb.34:                               ;   in Loop: Header=BB2_7 Depth=2
	s_and_saveexec_b64 s[16:17], s[28:29]
	s_xor_b64 s[16:17], exec, s[16:17]
	s_cbranch_execz .LBB2_36
; %bb.35:                               ;   in Loop: Header=BB2_7 Depth=2
	ds_write_b32 v44, v47 offset:2112
.LBB2_36:                               ;   in Loop: Header=BB2_7 Depth=2
	s_andn2_saveexec_b64 s[16:17], s[16:17]
	s_cbranch_execz .LBB2_38
; %bb.37:                               ;   in Loop: Header=BB2_7 Depth=2
	ds_write_b32 v44, v48 offset:2112
.LBB2_38:                               ;   in Loop: Header=BB2_7 Depth=2
	s_or_b64 exec, exec, s[16:17]
.LBB2_39:                               ;   in Loop: Header=BB2_7 Depth=2
	s_or_b64 exec, exec, s[12:13]
	v_mov_b32_e32 v1, s21
	v_add_co_u32_e32 v0, vcc, s20, v14
	v_addc_co_u32_e32 v1, vcc, v15, v1, vcc
	v_cmp_gt_i64_e32 vcc, s[34:35], v[0:1]
	s_and_b64 s[12:13], s[8:9], vcc
	s_xor_b64 s[12:13], s[12:13], -1
	s_and_saveexec_b64 s[16:17], s[12:13]
	s_xor_b64 s[12:13], exec, s[16:17]
	s_cbranch_execz .LBB2_41
; %bb.40:                               ;   in Loop: Header=BB2_7 Depth=2
	ds_write_b32 v46, v47
.LBB2_41:                               ;   in Loop: Header=BB2_7 Depth=2
	s_or_saveexec_b64 s[16:17], s[12:13]
	v_add_co_u32_e64 v2, s[12:13], v34, v28
	v_addc_co_u32_e64 v3, s[12:13], v35, v29, s[12:13]
	s_xor_b64 exec, exec, s[16:17]
	s_cbranch_execz .LBB2_43
; %bb.42:                               ;   in Loop: Header=BB2_7 Depth=2
	global_load_dword v4, v[2:3], off offset:-64
	s_waitcnt vmcnt(0)
	ds_write_b32 v46, v4
.LBB2_43:                               ;   in Loop: Header=BB2_7 Depth=2
	s_or_b64 exec, exec, s[16:17]
	v_cmp_gt_i64_e64 s[12:13], s[42:43], v[0:1]
	s_and_b64 s[16:17], s[8:9], s[12:13]
	s_xor_b64 s[16:17], s[16:17], -1
	s_and_saveexec_b64 s[28:29], s[16:17]
	s_xor_b64 s[16:17], exec, s[28:29]
	s_cbranch_execz .LBB2_45
; %bb.44:                               ;   in Loop: Header=BB2_7 Depth=2
	ds_write_b32 v46, v47 offset:64
                                        ; implicit-def: $vgpr2_vgpr3
.LBB2_45:                               ;   in Loop: Header=BB2_7 Depth=2
	s_andn2_saveexec_b64 s[16:17], s[16:17]
	s_cbranch_execz .LBB2_47
; %bb.46:                               ;   in Loop: Header=BB2_7 Depth=2
	global_load_dword v0, v[2:3], off
	s_waitcnt vmcnt(0)
	ds_write_b32 v46, v0 offset:64
.LBB2_47:                               ;   in Loop: Header=BB2_7 Depth=2
	s_or_b64 exec, exec, s[16:17]
	s_and_b64 s[16:17], s[10:11], vcc
	s_xor_b64 s[16:17], s[16:17], -1
	s_and_saveexec_b64 s[28:29], s[16:17]
	s_xor_b64 s[16:17], exec, s[28:29]
	s_cbranch_execz .LBB2_49
; %bb.48:                               ;   in Loop: Header=BB2_7 Depth=2
	ds_write_b32 v46, v47 offset:2048
.LBB2_49:                               ;   in Loop: Header=BB2_7 Depth=2
	s_andn2_saveexec_b64 s[16:17], s[16:17]
	s_cbranch_execz .LBB2_51
; %bb.50:                               ;   in Loop: Header=BB2_7 Depth=2
	v_add_co_u32_e32 v0, vcc, v36, v28
	v_addc_co_u32_e32 v1, vcc, v37, v29, vcc
	global_load_dword v0, v[0:1], off offset:-64
	s_waitcnt vmcnt(0)
	ds_write_b32 v46, v0 offset:2048
.LBB2_51:                               ;   in Loop: Header=BB2_7 Depth=2
	s_or_b64 exec, exec, s[16:17]
	s_and_b64 s[12:13], s[10:11], s[12:13]
	s_xor_b64 s[12:13], s[12:13], -1
	s_and_saveexec_b64 s[16:17], s[12:13]
	s_xor_b64 s[12:13], exec, s[16:17]
	s_cbranch_execz .LBB2_53
; %bb.52:                               ;   in Loop: Header=BB2_7 Depth=2
	ds_write_b32 v46, v47 offset:2112
.LBB2_53:                               ;   in Loop: Header=BB2_7 Depth=2
	s_andn2_saveexec_b64 s[12:13], s[12:13]
	s_cbranch_execz .LBB2_6
; %bb.54:                               ;   in Loop: Header=BB2_7 Depth=2
	v_add_co_u32_e32 v0, vcc, v36, v28
	v_addc_co_u32_e32 v1, vcc, v37, v29, vcc
	global_load_dword v0, v[0:1], off
	s_waitcnt vmcnt(0)
	ds_write_b32 v46, v0 offset:2112
	s_branch .LBB2_6
.LBB2_55:                               ;   in Loop: Header=BB2_4 Depth=1
	v_mul_lo_u32 v2, v51, s44
	v_mul_lo_u32 v3, v49, s45
	v_mad_u64_u32 v[0:1], s[8:9], v49, s44, 0
	v_add3_u32 v1, v1, v3, v2
	v_lshlrev_b64 v[0:1], 2, v[0:1]
	v_mov_b32_e32 v2, s52
	v_add_co_u32_e64 v0, s[8:9], s51, v0
	v_cmp_gt_i32_e32 vcc, s30, v49
	v_addc_co_u32_e64 v1, s[8:9], v2, v1, s[8:9]
	s_and_b64 s[8:9], s[4:5], vcc
	s_and_saveexec_b64 s[10:11], s[8:9]
	s_cbranch_execz .LBB2_57
; %bb.56:                               ;   in Loop: Header=BB2_4 Depth=1
	v_add_co_u32_e64 v2, s[8:9], v0, v28
	v_addc_co_u32_e64 v3, s[8:9], v1, v29, s[8:9]
	global_load_dword v4, v[2:3], off
	s_waitcnt vmcnt(0)
	v_fmac_f32_e32 v4, s33, v53
	global_store_dword v[2:3], v4, off
.LBB2_57:                               ;   in Loop: Header=BB2_4 Depth=1
	s_or_b64 exec, exec, s[10:11]
	s_and_b64 s[10:11], s[14:15], vcc
	s_and_saveexec_b64 s[8:9], s[10:11]
	s_cbranch_execz .LBB2_59
; %bb.58:                               ;   in Loop: Header=BB2_4 Depth=1
	v_lshlrev_b64 v[2:3], 2, v[20:21]
	v_add_co_u32_e32 v0, vcc, v0, v2
	v_addc_co_u32_e32 v1, vcc, v1, v3, vcc
	global_load_dword v2, v[0:1], off
	s_waitcnt vmcnt(0)
	v_fmac_f32_e32 v2, s33, v52
	global_store_dword v[0:1], v2, off
.LBB2_59:                               ;   in Loop: Header=BB2_4 Depth=1
	s_or_b64 exec, exec, s[8:9]
	v_add_u32_e32 v0, 16, v49
	v_ashrrev_i32_e32 v1, 31, v0
	v_cmp_gt_i32_e32 vcc, s30, v0
	v_mul_lo_u32 v2, v1, s44
	v_mul_lo_u32 v3, v0, s45
	v_mad_u64_u32 v[0:1], s[8:9], v0, s44, 0
	v_add3_u32 v1, v1, v3, v2
	v_lshlrev_b64 v[0:1], 2, v[0:1]
	v_mov_b32_e32 v2, s52
	v_add_co_u32_e64 v0, s[8:9], s51, v0
	v_addc_co_u32_e64 v1, s[8:9], v2, v1, s[8:9]
	s_and_b64 s[8:9], s[4:5], vcc
	s_and_saveexec_b64 s[10:11], s[8:9]
	s_cbranch_execz .LBB2_61
; %bb.60:                               ;   in Loop: Header=BB2_4 Depth=1
	v_add_co_u32_e64 v2, s[8:9], v0, v28
	v_addc_co_u32_e64 v3, s[8:9], v1, v29, s[8:9]
	global_load_dword v4, v[2:3], off
	s_waitcnt vmcnt(0)
	v_fmac_f32_e32 v4, s33, v50
	global_store_dword v[2:3], v4, off
.LBB2_61:                               ;   in Loop: Header=BB2_4 Depth=1
	s_or_b64 exec, exec, s[10:11]
	s_and_b64 s[10:11], s[14:15], vcc
	s_and_saveexec_b64 s[8:9], s[10:11]
	s_cbranch_execz .LBB2_3
; %bb.62:                               ;   in Loop: Header=BB2_4 Depth=1
	v_lshlrev_b64 v[2:3], 2, v[20:21]
	v_add_co_u32_e32 v0, vcc, v0, v2
	v_addc_co_u32_e32 v1, vcc, v1, v3, vcc
	global_load_dword v2, v[0:1], off
	s_waitcnt vmcnt(0)
	v_fmac_f32_e32 v2, s33, v31
	global_store_dword v[0:1], v2, off
	s_branch .LBB2_3
.LBB2_63:
	s_endpgm
	.section	.rodata,"a",@progbits
	.p2align	6, 0x0
	.amdhsa_kernel _ZL30rocblas_trmm_outofplace_kernelIfLi32ELi2ELb1ELb1ELb0ELb0EPKfS0_fEv17rocblas_diagonal_iiT6_lPT7_lllS5_lllPT8_llli
		.amdhsa_group_segment_fixed_size 8192
		.amdhsa_private_segment_fixed_size 0
		.amdhsa_kernarg_size 392
		.amdhsa_user_sgpr_count 6
		.amdhsa_user_sgpr_private_segment_buffer 1
		.amdhsa_user_sgpr_dispatch_ptr 0
		.amdhsa_user_sgpr_queue_ptr 0
		.amdhsa_user_sgpr_kernarg_segment_ptr 1
		.amdhsa_user_sgpr_dispatch_id 0
		.amdhsa_user_sgpr_flat_scratch_init 0
		.amdhsa_user_sgpr_kernarg_preload_length 0
		.amdhsa_user_sgpr_kernarg_preload_offset 0
		.amdhsa_user_sgpr_private_segment_size 0
		.amdhsa_uses_dynamic_stack 0
		.amdhsa_system_sgpr_private_segment_wavefront_offset 0
		.amdhsa_system_sgpr_workgroup_id_x 1
		.amdhsa_system_sgpr_workgroup_id_y 1
		.amdhsa_system_sgpr_workgroup_id_z 1
		.amdhsa_system_sgpr_workgroup_info 0
		.amdhsa_system_vgpr_workitem_id 1
		.amdhsa_next_free_vgpr 64
		.amdhsa_next_free_sgpr 56
		.amdhsa_accum_offset 64
		.amdhsa_reserve_vcc 1
		.amdhsa_reserve_flat_scratch 0
		.amdhsa_float_round_mode_32 0
		.amdhsa_float_round_mode_16_64 0
		.amdhsa_float_denorm_mode_32 3
		.amdhsa_float_denorm_mode_16_64 3
		.amdhsa_dx10_clamp 1
		.amdhsa_ieee_mode 1
		.amdhsa_fp16_overflow 0
		.amdhsa_tg_split 0
		.amdhsa_exception_fp_ieee_invalid_op 0
		.amdhsa_exception_fp_denorm_src 0
		.amdhsa_exception_fp_ieee_div_zero 0
		.amdhsa_exception_fp_ieee_overflow 0
		.amdhsa_exception_fp_ieee_underflow 0
		.amdhsa_exception_fp_ieee_inexact 0
		.amdhsa_exception_int_div_zero 0
	.end_amdhsa_kernel
	.section	.text._ZL30rocblas_trmm_outofplace_kernelIfLi32ELi2ELb1ELb1ELb0ELb0EPKfS0_fEv17rocblas_diagonal_iiT6_lPT7_lllS5_lllPT8_llli,"axG",@progbits,_ZL30rocblas_trmm_outofplace_kernelIfLi32ELi2ELb1ELb1ELb0ELb0EPKfS0_fEv17rocblas_diagonal_iiT6_lPT7_lllS5_lllPT8_llli,comdat
.Lfunc_end2:
	.size	_ZL30rocblas_trmm_outofplace_kernelIfLi32ELi2ELb1ELb1ELb0ELb0EPKfS0_fEv17rocblas_diagonal_iiT6_lPT7_lllS5_lllPT8_llli, .Lfunc_end2-_ZL30rocblas_trmm_outofplace_kernelIfLi32ELi2ELb1ELb1ELb0ELb0EPKfS0_fEv17rocblas_diagonal_iiT6_lPT7_lllS5_lllPT8_llli
                                        ; -- End function
	.section	.AMDGPU.csdata,"",@progbits
; Kernel info:
; codeLenInByte = 3172
; NumSgprs: 60
; NumVgprs: 64
; NumAgprs: 0
; TotalNumVgprs: 64
; ScratchSize: 0
; MemoryBound: 0
; FloatMode: 240
; IeeeMode: 1
; LDSByteSize: 8192 bytes/workgroup (compile time only)
; SGPRBlocks: 7
; VGPRBlocks: 7
; NumSGPRsForWavesPerEU: 60
; NumVGPRsForWavesPerEU: 64
; AccumOffset: 64
; Occupancy: 8
; WaveLimiterHint : 0
; COMPUTE_PGM_RSRC2:SCRATCH_EN: 0
; COMPUTE_PGM_RSRC2:USER_SGPR: 6
; COMPUTE_PGM_RSRC2:TRAP_HANDLER: 0
; COMPUTE_PGM_RSRC2:TGID_X_EN: 1
; COMPUTE_PGM_RSRC2:TGID_Y_EN: 1
; COMPUTE_PGM_RSRC2:TGID_Z_EN: 1
; COMPUTE_PGM_RSRC2:TIDIG_COMP_CNT: 1
; COMPUTE_PGM_RSRC3_GFX90A:ACCUM_OFFSET: 15
; COMPUTE_PGM_RSRC3_GFX90A:TG_SPLIT: 0
	.section	.text._ZL30rocblas_trmm_outofplace_kernelIfLi32ELi2ELb1ELb1ELb0ELb0EfKffEv17rocblas_diagonal_iiT6_lPT7_lllS4_lllPT8_llli,"axG",@progbits,_ZL30rocblas_trmm_outofplace_kernelIfLi32ELi2ELb1ELb1ELb0ELb0EfKffEv17rocblas_diagonal_iiT6_lPT7_lllS4_lllPT8_llli,comdat
	.globl	_ZL30rocblas_trmm_outofplace_kernelIfLi32ELi2ELb1ELb1ELb0ELb0EfKffEv17rocblas_diagonal_iiT6_lPT7_lllS4_lllPT8_llli ; -- Begin function _ZL30rocblas_trmm_outofplace_kernelIfLi32ELi2ELb1ELb1ELb0ELb0EfKffEv17rocblas_diagonal_iiT6_lPT7_lllS4_lllPT8_llli
	.p2align	8
	.type	_ZL30rocblas_trmm_outofplace_kernelIfLi32ELi2ELb1ELb1ELb0ELb0EfKffEv17rocblas_diagonal_iiT6_lPT7_lllS4_lllPT8_llli,@function
_ZL30rocblas_trmm_outofplace_kernelIfLi32ELi2ELb1ELb1ELb0ELb0EfKffEv17rocblas_diagonal_iiT6_lPT7_lllS4_lllPT8_llli: ; @_ZL30rocblas_trmm_outofplace_kernelIfLi32ELi2ELb1ELb1ELb0ELb0EfKffEv17rocblas_diagonal_iiT6_lPT7_lllS4_lllPT8_llli
; %bb.0:
	s_load_dwordx4 s[28:31], s[4:5], 0x0
	s_waitcnt lgkmcnt(0)
	v_cmp_eq_f32_e64 s[0:1], s31, 0
	s_and_b64 vcc, exec, s[0:1]
	s_cbranch_vccnz .LBB3_63
; %bb.1:
	s_add_i32 s0, s30, -1
	s_ashr_i32 s1, s0, 31
	s_lshr_b32 s1, s1, 27
	s_add_i32 s0, s0, s1
	s_ashr_i32 s33, s0, 5
	s_cmp_gt_i32 s7, s33
	s_cbranch_scc1 .LBB3_63
; %bb.2:
	s_load_dwordx16 s[12:27], s[4:5], 0x18
	s_load_dwordx8 s[36:43], s[4:5], 0x58
	v_bfe_u32 v42, v0, 10, 10
	v_and_b32_e32 v2, 0x3ff, v0
	s_load_dword s54, s[4:5], 0x84
	s_waitcnt lgkmcnt(0)
	s_mul_i32 s1, s8, s19
	s_mul_hi_u32 s2, s8, s18
	s_mul_i32 s0, s8, s18
	s_add_i32 s1, s2, s1
	s_lshl_b64 s[10:11], s[0:1], 2
	s_add_u32 s0, s12, s10
	s_addc_u32 s1, s13, s11
	s_lshl_b64 s[44:45], s[14:15], 2
	s_add_u32 s2, s0, s44
	s_addc_u32 s3, s1, s45
	s_mul_i32 s0, s8, s43
	s_mul_hi_u32 s1, s8, s42
	s_add_i32 s1, s1, s0
	s_mul_i32 s0, s8, s42
	s_lshl_b64 s[0:1], s[0:1], 2
	s_add_u32 s9, s36, s0
	s_addc_u32 s14, s37, s1
	s_lshl_b64 s[0:1], s[38:39], 2
	s_add_u32 s50, s9, s0
	s_addc_u32 s51, s14, s1
	s_lshl_b32 s6, s6, 5
	v_add_u32_e32 v12, s6, v42
	v_add_u32_e32 v14, s6, v2
	s_sub_i32 s6, s29, s6
	s_cmp_gt_i32 s6, 0
	v_ashrrev_i32_e32 v13, 31, v12
	s_cselect_b64 s[18:19], -1, 0
	s_cmpk_eq_i32 s28, 0x84
	v_mul_lo_u32 v3, v13, s16
	v_mul_lo_u32 v4, v12, s17
	v_mad_u64_u32 v[0:1], s[0:1], v12, s16, 0
	s_cselect_b64 s[34:35], -1, 0
	s_ashr_i32 s37, s29, 31
	s_ashr_i32 s52, s30, 31
	s_lshl_b64 s[38:39], s[16:17], 7
	v_add3_u32 v1, v1, v4, v3
	s_add_u32 s42, s29, -16
	s_mul_i32 s9, s27, s8
	s_mul_hi_u32 s27, s26, s8
	v_lshlrev_b64 v[0:1], 2, v[0:1]
	s_addc_u32 s43, s37, -1
	s_add_i32 s9, s27, s9
	s_mul_i32 s8, s26, s8
	v_mov_b32_e32 v3, s3
	v_add_co_u32_e32 v16, vcc, s2, v0
	s_lshl_b64 s[8:9], s[8:9], 2
	s_lshl_b64 s[22:23], s[22:23], 2
	v_addc_co_u32_e32 v17, vcc, v3, v1, vcc
	s_add_u32 s8, s8, s22
	v_ashrrev_i32_e32 v15, 31, v14
	v_add_co_u32_e32 v18, vcc, 16, v14
	s_addc_u32 s9, s9, s23
	v_addc_co_u32_e32 v19, vcc, 0, v15, vcc
	s_add_u32 s8, s8, s20
	v_sub_co_u32_e32 v22, vcc, v14, v12
	s_addc_u32 s9, s9, s21
	v_subb_co_u32_e32 v23, vcc, v15, v13, vcc
	s_add_u32 s20, s8, 64
	v_add_co_u32_e32 v24, vcc, 16, v22
	s_addc_u32 s21, s9, 0
	s_lshl_b64 s[22:23], s[24:25], 2
	s_lshl_b32 s55, s54, 5
	v_addc_co_u32_e32 v25, vcc, 0, v23, vcc
	s_add_u32 s8, s12, s44
	v_lshlrev_b32_e32 v0, 7, v42
	v_lshlrev_b32_e32 v43, 2, v2
	v_add_co_u32_e32 v26, vcc, -16, v22
	s_addc_u32 s9, s13, s45
	v_add_u32_e32 v44, v43, v0
	v_add_u32_e32 v45, 0x1000, v0
	v_addc_co_u32_e32 v27, vcc, -1, v23, vcc
	v_lshlrev_b64 v[0:1], 2, v[12:13]
	s_add_u32 s8, s8, s10
	v_add_co_u32_e32 v2, vcc, 64, v0
	s_addc_u32 s9, s9, s11
	v_addc_co_u32_e32 v3, vcc, 0, v1, vcc
	v_pk_mov_b32 v[0:1], s[8:9], s[8:9] op_sel:[0,1]
	s_mov_b32 s36, s29
	v_add_u32_e32 v20, 16, v14
	v_mad_u64_u32 v[32:33], s[8:9], s16, v2, v[0:1]
	v_mul_lo_u32 v0, s16, v3
	v_mul_lo_u32 v1, s17, v2
	s_mov_b32 s53, s30
	v_cmp_le_i32_e64 s[0:1], s29, v14
	v_cmp_le_i64_e64 s[2:3], s[36:37], v[18:19]
	v_add_u32_e32 v46, v45, v43
	v_cmp_gt_i32_e64 s[4:5], s29, v14
	v_cmp_gt_i32_e64 s[14:15], s29, v20
	v_ashrrev_i32_e32 v21, 31, v20
	v_lshlrev_b64 v[28:29], 2, v[14:15]
	v_lshl_add_u32 v30, s7, 5, v42
	v_add3_u32 v33, v1, v33, v0
	v_mov_b32_e32 v47, 0
	v_mov_b32_e32 v48, 1.0
	s_movk_i32 s56, 0x80
	s_branch .LBB3_4
.LBB3_3:                                ;   in Loop: Header=BB3_4 Depth=1
	s_or_b64 exec, exec, s[8:9]
	s_add_i32 s7, s54, s7
	s_cmp_le_i32 s7, s33
	v_add_u32_e32 v30, s55, v30
	s_cbranch_scc0 .LBB3_63
.LBB3_4:                                ; =>This Loop Header: Depth=1
                                        ;     Child Loop BB3_7 Depth 2
	v_lshl_add_u32 v49, s7, 5, v42
	v_ashrrev_i32_e32 v51, 31, v49
	s_andn2_b64 vcc, exec, s[18:19]
	v_mov_b32_e32 v53, 0
	v_mov_b32_e32 v52, 0
	;; [unrolled: 1-line block ×4, first 2 shown]
	s_cbranch_vccnz .LBB3_55
; %bb.5:                                ;   in Loop: Header=BB3_4 Depth=1
	v_ashrrev_i32_e32 v31, 31, v30
	v_pk_mov_b32 v[0:1], s[20:21], s[20:21] op_sel:[0,1]
	v_mad_u64_u32 v[34:35], s[8:9], s22, v30, v[0:1]
	v_mul_lo_u32 v2, s23, v30
	v_mul_lo_u32 v3, s22, v31
	v_add3_u32 v35, v2, v35, v3
	v_lshlrev_b64 v[2:3], 2, v[30:31]
	v_add_co_u32_e32 v2, vcc, 64, v2
	v_addc_co_u32_e32 v3, vcc, 0, v3, vcc
	v_mad_u64_u32 v[36:37], s[8:9], s24, v2, v[0:1]
	v_mov_b32_e32 v1, s52
	v_sub_co_u32_e32 v0, vcc, s53, v49
	v_mul_lo_u32 v3, s24, v3
	v_mul_lo_u32 v4, s25, v2
	v_subb_co_u32_e32 v1, vcc, v1, v51, vcc
	v_add3_u32 v37, v4, v37, v3
	s_mov_b64 s[26:27], 0
	v_cmp_lt_i64_e64 s[8:9], 0, v[0:1]
	v_cmp_lt_i64_e64 s[10:11], 16, v[0:1]
	v_mov_b32_e32 v31, 0
	v_pk_mov_b32 v[38:39], v[32:33], v[32:33] op_sel:[0,1]
	v_pk_mov_b32 v[40:41], v[16:17], v[16:17] op_sel:[0,1]
	v_mov_b32_e32 v50, 0
	v_mov_b32_e32 v52, 0
	;; [unrolled: 1-line block ×3, first 2 shown]
	s_branch .LBB3_7
.LBB3_6:                                ;   in Loop: Header=BB3_7 Depth=2
	s_or_b64 exec, exec, s[12:13]
	s_waitcnt lgkmcnt(0)
	s_barrier
	ds_read_b128 v[54:57], v45
	ds_read_b128 v[8:11], v45 offset:16
	ds_read_b128 v[4:7], v45 offset:32
	;; [unrolled: 1-line block ×3, first 2 shown]
	ds_read2_b32 v[62:63], v43 offset1:16
	ds_read_b128 v[58:61], v45 offset:2048
	v_add_co_u32_e32 v34, vcc, s56, v34
	v_addc_co_u32_e32 v35, vcc, 0, v35, vcc
	s_waitcnt lgkmcnt(1)
	v_fmac_f32_e32 v53, v62, v54
	v_fmac_f32_e32 v52, v63, v54
	s_waitcnt lgkmcnt(0)
	v_fmac_f32_e32 v50, v62, v58
	v_fmac_f32_e32 v31, v63, v58
	ds_read2_b32 v[62:63], v43 offset0:32 offset1:48
	v_add_co_u32_e32 v40, vcc, s38, v40
	s_add_u32 s26, s26, 32
	s_addc_u32 s27, s27, 0
	s_waitcnt lgkmcnt(0)
	v_fmac_f32_e32 v53, v62, v55
	v_fmac_f32_e32 v52, v63, v55
	ds_read2_b32 v[54:55], v43 offset0:64 offset1:80
	v_fmac_f32_e32 v50, v62, v59
	v_fmac_f32_e32 v31, v63, v59
	ds_read2_b32 v[58:59], v43 offset0:128 offset1:144
	s_cmp_ge_i32 s26, s6
	s_waitcnt lgkmcnt(1)
	v_fmac_f32_e32 v53, v54, v56
	v_fmac_f32_e32 v52, v55, v56
	;; [unrolled: 1-line block ×4, first 2 shown]
	ds_read2_b32 v[54:55], v43 offset0:96 offset1:112
	s_waitcnt lgkmcnt(0)
	v_fmac_f32_e32 v53, v54, v57
	v_fmac_f32_e32 v52, v55, v57
	;; [unrolled: 1-line block ×4, first 2 shown]
	ds_read_b128 v[54:57], v45 offset:2064
	v_fmac_f32_e32 v53, v58, v8
	v_fmac_f32_e32 v52, v59, v8
	s_waitcnt lgkmcnt(0)
	v_fmac_f32_e32 v50, v58, v54
	v_fmac_f32_e32 v31, v59, v54
	ds_read2_b32 v[58:59], v43 offset0:160 offset1:176
	s_waitcnt lgkmcnt(0)
	v_fmac_f32_e32 v53, v58, v9
	v_fmac_f32_e32 v52, v59, v9
	ds_read2_b32 v[8:9], v43 offset0:192 offset1:208
	v_fmac_f32_e32 v50, v58, v55
	v_fmac_f32_e32 v31, v59, v55
	s_waitcnt lgkmcnt(0)
	v_fmac_f32_e32 v53, v8, v10
	v_fmac_f32_e32 v52, v9, v10
	;; [unrolled: 1-line block ×4, first 2 shown]
	ds_read2_b32 v[8:9], v43 offset0:224 offset1:240
	v_add_u32_e32 v56, 0x400, v43
	ds_read2_b32 v[54:55], v56 offset1:16
	s_waitcnt lgkmcnt(1)
	v_fmac_f32_e32 v53, v8, v11
	v_fmac_f32_e32 v52, v9, v11
	;; [unrolled: 1-line block ×4, first 2 shown]
	ds_read_b128 v[8:11], v45 offset:2080
	s_waitcnt lgkmcnt(1)
	v_fmac_f32_e32 v53, v54, v4
	v_fmac_f32_e32 v52, v55, v4
	s_waitcnt lgkmcnt(0)
	v_fmac_f32_e32 v50, v54, v8
	v_fmac_f32_e32 v31, v55, v8
	ds_read2_b32 v[54:55], v56 offset0:32 offset1:48
	s_waitcnt lgkmcnt(0)
	v_fmac_f32_e32 v53, v54, v5
	v_fmac_f32_e32 v52, v55, v5
	ds_read2_b32 v[4:5], v56 offset0:64 offset1:80
	v_fmac_f32_e32 v50, v54, v9
	v_fmac_f32_e32 v31, v55, v9
	ds_read2_b32 v[8:9], v56 offset0:128 offset1:144
	s_waitcnt lgkmcnt(1)
	v_fmac_f32_e32 v53, v4, v6
	v_fmac_f32_e32 v52, v5, v6
	;; [unrolled: 1-line block ×4, first 2 shown]
	ds_read2_b32 v[4:5], v56 offset0:96 offset1:112
	v_add_u32_e32 v10, 0x800, v43
	s_waitcnt lgkmcnt(0)
	v_fmac_f32_e32 v53, v4, v7
	v_fmac_f32_e32 v52, v5, v7
	;; [unrolled: 1-line block ×4, first 2 shown]
	ds_read_b128 v[4:7], v45 offset:2096
	v_fmac_f32_e32 v53, v8, v0
	v_fmac_f32_e32 v52, v9, v0
	s_waitcnt lgkmcnt(0)
	v_fmac_f32_e32 v50, v8, v4
	v_fmac_f32_e32 v31, v9, v4
	ds_read2_b32 v[8:9], v56 offset0:160 offset1:176
	s_waitcnt lgkmcnt(0)
	v_fmac_f32_e32 v53, v8, v1
	v_fmac_f32_e32 v52, v9, v1
	ds_read2_b32 v[0:1], v56 offset0:192 offset1:208
	v_fmac_f32_e32 v50, v8, v5
	v_fmac_f32_e32 v31, v9, v5
	ds_read2_b32 v[8:9], v10 offset1:16
	s_waitcnt lgkmcnt(1)
	v_fmac_f32_e32 v53, v0, v2
	v_fmac_f32_e32 v52, v1, v2
	;; [unrolled: 1-line block ×4, first 2 shown]
	ds_read2_b32 v[0:1], v56 offset0:224 offset1:240
	s_waitcnt lgkmcnt(0)
	v_fmac_f32_e32 v53, v0, v3
	v_fmac_f32_e32 v52, v1, v3
	;; [unrolled: 1-line block ×4, first 2 shown]
	ds_read_b128 v[0:3], v45 offset:64
	ds_read_b128 v[4:7], v45 offset:2112
	s_waitcnt lgkmcnt(1)
	v_fmac_f32_e32 v53, v8, v0
	v_fmac_f32_e32 v52, v9, v0
	s_waitcnt lgkmcnt(0)
	v_fmac_f32_e32 v50, v8, v4
	v_fmac_f32_e32 v31, v9, v4
	ds_read2_b32 v[8:9], v10 offset0:32 offset1:48
	s_waitcnt lgkmcnt(0)
	v_fmac_f32_e32 v53, v8, v1
	v_fmac_f32_e32 v52, v9, v1
	ds_read2_b32 v[0:1], v10 offset0:64 offset1:80
	v_fmac_f32_e32 v50, v8, v5
	v_fmac_f32_e32 v31, v9, v5
	s_waitcnt lgkmcnt(0)
	v_fmac_f32_e32 v53, v0, v2
	v_fmac_f32_e32 v52, v1, v2
	v_fmac_f32_e32 v50, v0, v6
	v_fmac_f32_e32 v31, v1, v6
	ds_read2_b32 v[0:1], v10 offset0:96 offset1:112
	s_waitcnt lgkmcnt(0)
	v_fmac_f32_e32 v53, v0, v3
	v_fmac_f32_e32 v52, v1, v3
	;; [unrolled: 1-line block ×4, first 2 shown]
	ds_read_b128 v[0:3], v45 offset:80
	ds_read2_b32 v[8:9], v10 offset0:128 offset1:144
	ds_read_b128 v[4:7], v45 offset:2128
	s_waitcnt lgkmcnt(1)
	v_fmac_f32_e32 v53, v8, v0
	v_fmac_f32_e32 v52, v9, v0
	s_waitcnt lgkmcnt(0)
	v_fmac_f32_e32 v50, v8, v4
	v_fmac_f32_e32 v31, v9, v4
	ds_read2_b32 v[8:9], v10 offset0:160 offset1:176
	s_waitcnt lgkmcnt(0)
	v_fmac_f32_e32 v53, v8, v1
	v_fmac_f32_e32 v52, v9, v1
	ds_read2_b32 v[0:1], v10 offset0:192 offset1:208
	v_fmac_f32_e32 v50, v8, v5
	v_fmac_f32_e32 v31, v9, v5
	s_waitcnt lgkmcnt(0)
	v_fmac_f32_e32 v53, v0, v2
	v_fmac_f32_e32 v52, v1, v2
	;; [unrolled: 1-line block ×4, first 2 shown]
	ds_read2_b32 v[0:1], v10 offset0:224 offset1:240
	v_add_u32_e32 v10, 0xc00, v43
	ds_read2_b32 v[8:9], v10 offset1:16
	s_waitcnt lgkmcnt(1)
	v_fmac_f32_e32 v53, v0, v3
	v_fmac_f32_e32 v52, v1, v3
	v_fmac_f32_e32 v50, v0, v7
	v_fmac_f32_e32 v31, v1, v7
	ds_read_b128 v[0:3], v45 offset:96
	ds_read_b128 v[4:7], v45 offset:2144
	s_waitcnt lgkmcnt(1)
	v_fmac_f32_e32 v53, v8, v0
	v_fmac_f32_e32 v52, v9, v0
	s_waitcnt lgkmcnt(0)
	v_fmac_f32_e32 v50, v8, v4
	v_fmac_f32_e32 v31, v9, v4
	ds_read2_b32 v[8:9], v10 offset0:32 offset1:48
	s_waitcnt lgkmcnt(0)
	v_fmac_f32_e32 v53, v8, v1
	v_fmac_f32_e32 v52, v9, v1
	ds_read2_b32 v[0:1], v10 offset0:64 offset1:80
	v_fmac_f32_e32 v50, v8, v5
	v_fmac_f32_e32 v31, v9, v5
	s_waitcnt lgkmcnt(0)
	v_fmac_f32_e32 v53, v0, v2
	v_fmac_f32_e32 v52, v1, v2
	;; [unrolled: 1-line block ×4, first 2 shown]
	ds_read2_b32 v[0:1], v10 offset0:96 offset1:112
	s_waitcnt lgkmcnt(0)
	v_fmac_f32_e32 v53, v0, v3
	v_fmac_f32_e32 v52, v1, v3
	;; [unrolled: 1-line block ×4, first 2 shown]
	ds_read_b128 v[0:3], v45 offset:112
	ds_read2_b32 v[8:9], v10 offset0:128 offset1:144
	ds_read_b128 v[4:7], v45 offset:2160
	s_waitcnt lgkmcnt(1)
	v_fmac_f32_e32 v53, v8, v0
	v_fmac_f32_e32 v52, v9, v0
	s_waitcnt lgkmcnt(0)
	v_fmac_f32_e32 v50, v8, v4
	v_fmac_f32_e32 v31, v9, v4
	ds_read2_b32 v[8:9], v10 offset0:160 offset1:176
	s_waitcnt lgkmcnt(0)
	v_fmac_f32_e32 v53, v8, v1
	v_fmac_f32_e32 v52, v9, v1
	ds_read2_b32 v[0:1], v10 offset0:192 offset1:208
	v_fmac_f32_e32 v50, v8, v5
	v_fmac_f32_e32 v31, v9, v5
	s_waitcnt lgkmcnt(0)
	v_fmac_f32_e32 v53, v0, v2
	v_fmac_f32_e32 v52, v1, v2
	;; [unrolled: 1-line block ×4, first 2 shown]
	ds_read2_b32 v[0:1], v10 offset0:224 offset1:240
	s_waitcnt lgkmcnt(0)
	s_barrier
	v_fmac_f32_e32 v53, v0, v3
	v_fmac_f32_e32 v50, v0, v7
	v_mov_b32_e32 v0, s39
	v_addc_co_u32_e32 v41, vcc, v41, v0, vcc
	v_add_co_u32_e32 v38, vcc, s38, v38
	v_addc_co_u32_e32 v39, vcc, v39, v0, vcc
	v_add_co_u32_e32 v36, vcc, 0x80, v36
	v_fmac_f32_e32 v52, v1, v3
	v_fmac_f32_e32 v31, v1, v7
	v_addc_co_u32_e32 v37, vcc, 0, v37, vcc
	s_cbranch_scc1 .LBB3_55
.LBB3_7:                                ;   Parent Loop BB3_4 Depth=1
                                        ; =>  This Inner Loop Header: Depth=2
	v_mov_b32_e32 v1, s27
	v_add_co_u32_e32 v0, vcc, s26, v12
	v_addc_co_u32_e32 v1, vcc, v13, v1, vcc
	v_add_co_u32_e32 v2, vcc, v40, v28
	v_addc_co_u32_e32 v3, vcc, v41, v29, vcc
	v_cmp_eq_u64_e32 vcc, s[26:27], v[22:23]
	v_cmp_le_i64_e64 s[12:13], s[36:37], v[0:1]
	s_and_b64 s[44:45], s[34:35], vcc
	v_cmp_lt_i64_e32 vcc, v[0:1], v[14:15]
	s_or_b64 s[16:17], s[12:13], vcc
	s_or_b64 s[16:17], s[16:17], s[44:45]
	s_or_b64 s[16:17], s[0:1], s[16:17]
	s_xor_b64 s[16:17], s[16:17], -1
	s_and_saveexec_b64 s[28:29], s[16:17]
	s_xor_b64 s[16:17], exec, s[28:29]
	s_cbranch_execz .LBB3_9
; %bb.8:                                ;   in Loop: Header=BB3_7 Depth=2
	global_load_dword v4, v[2:3], off
	s_waitcnt vmcnt(0)
	ds_write_b32 v44, v4
.LBB3_9:                                ;   in Loop: Header=BB3_7 Depth=2
	s_or_saveexec_b64 s[16:17], s[16:17]
	s_xor_b64 s[28:29], s[44:45], -1
	s_xor_b64 exec, exec, s[16:17]
	s_cbranch_execz .LBB3_15
; %bb.10:                               ;   in Loop: Header=BB3_7 Depth=2
	s_and_saveexec_b64 s[46:47], s[28:29]
	s_xor_b64 s[46:47], exec, s[46:47]
	s_cbranch_execz .LBB3_12
; %bb.11:                               ;   in Loop: Header=BB3_7 Depth=2
	ds_write_b32 v44, v47
.LBB3_12:                               ;   in Loop: Header=BB3_7 Depth=2
	s_andn2_saveexec_b64 s[46:47], s[46:47]
	s_cbranch_execz .LBB3_14
; %bb.13:                               ;   in Loop: Header=BB3_7 Depth=2
	ds_write_b32 v44, v48
.LBB3_14:                               ;   in Loop: Header=BB3_7 Depth=2
	s_or_b64 exec, exec, s[46:47]
.LBB3_15:                               ;   in Loop: Header=BB3_7 Depth=2
	s_or_b64 exec, exec, s[16:17]
	v_cmp_eq_u64_e64 s[16:17], s[26:27], v[24:25]
	s_and_b64 s[46:47], s[34:35], s[16:17]
	v_cmp_gt_i64_e64 s[16:17], v[18:19], v[0:1]
	s_or_b64 s[12:13], s[12:13], s[16:17]
	s_or_b64 s[12:13], s[12:13], s[46:47]
	;; [unrolled: 1-line block ×3, first 2 shown]
	s_xor_b64 s[12:13], s[12:13], -1
	s_and_saveexec_b64 s[16:17], s[12:13]
	s_xor_b64 s[12:13], exec, s[16:17]
	s_cbranch_execz .LBB3_17
; %bb.16:                               ;   in Loop: Header=BB3_7 Depth=2
	global_load_dword v2, v[2:3], off offset:64
	s_waitcnt vmcnt(0)
	ds_write_b32 v44, v2 offset:64
.LBB3_17:                               ;   in Loop: Header=BB3_7 Depth=2
	s_andn2_saveexec_b64 s[12:13], s[12:13]
	s_cbranch_execz .LBB3_23
; %bb.18:                               ;   in Loop: Header=BB3_7 Depth=2
	s_xor_b64 s[16:17], s[46:47], -1
	s_and_saveexec_b64 s[46:47], s[16:17]
	s_xor_b64 s[16:17], exec, s[46:47]
	s_cbranch_execz .LBB3_20
; %bb.19:                               ;   in Loop: Header=BB3_7 Depth=2
	ds_write_b32 v44, v47 offset:64
.LBB3_20:                               ;   in Loop: Header=BB3_7 Depth=2
	s_andn2_saveexec_b64 s[16:17], s[16:17]
	s_cbranch_execz .LBB3_22
; %bb.21:                               ;   in Loop: Header=BB3_7 Depth=2
	ds_write_b32 v44, v48 offset:64
.LBB3_22:                               ;   in Loop: Header=BB3_7 Depth=2
	s_or_b64 exec, exec, s[16:17]
.LBB3_23:                               ;   in Loop: Header=BB3_7 Depth=2
	s_or_b64 exec, exec, s[12:13]
	v_add_co_u32_e64 v0, s[12:13], 16, v0
	v_addc_co_u32_e64 v1, s[12:13], 0, v1, s[12:13]
	v_cmp_eq_u64_e64 s[16:17], s[26:27], v[26:27]
	v_cmp_le_i64_e64 s[12:13], s[36:37], v[0:1]
	s_and_b64 s[46:47], s[34:35], s[16:17]
	v_cmp_lt_i64_e64 s[16:17], v[0:1], v[14:15]
	s_or_b64 s[16:17], s[12:13], s[16:17]
	s_or_b64 s[16:17], s[16:17], s[46:47]
	;; [unrolled: 1-line block ×3, first 2 shown]
	s_xor_b64 s[16:17], s[16:17], -1
	s_and_saveexec_b64 s[48:49], s[16:17]
	s_xor_b64 s[48:49], exec, s[48:49]
	s_cbranch_execz .LBB3_25
; %bb.24:                               ;   in Loop: Header=BB3_7 Depth=2
	v_add_co_u32_e64 v0, s[16:17], v38, v28
	v_addc_co_u32_e64 v1, s[16:17], v39, v29, s[16:17]
	global_load_dword v0, v[0:1], off
	s_waitcnt vmcnt(0)
	ds_write_b32 v44, v0 offset:2048
.LBB3_25:                               ;   in Loop: Header=BB3_7 Depth=2
	s_andn2_saveexec_b64 s[16:17], s[48:49]
	s_cbranch_execz .LBB3_31
; %bb.26:                               ;   in Loop: Header=BB3_7 Depth=2
	s_xor_b64 s[46:47], s[46:47], -1
	s_and_saveexec_b64 s[48:49], s[46:47]
	s_xor_b64 s[46:47], exec, s[48:49]
	s_cbranch_execz .LBB3_28
; %bb.27:                               ;   in Loop: Header=BB3_7 Depth=2
	ds_write_b32 v44, v47 offset:2048
.LBB3_28:                               ;   in Loop: Header=BB3_7 Depth=2
	s_andn2_saveexec_b64 s[46:47], s[46:47]
	s_cbranch_execz .LBB3_30
; %bb.29:                               ;   in Loop: Header=BB3_7 Depth=2
	ds_write_b32 v44, v48 offset:2048
.LBB3_30:                               ;   in Loop: Header=BB3_7 Depth=2
	s_or_b64 exec, exec, s[46:47]
.LBB3_31:                               ;   in Loop: Header=BB3_7 Depth=2
	s_or_b64 exec, exec, s[16:17]
	s_or_b64 s[12:13], s[12:13], vcc
	s_or_b64 s[12:13], s[12:13], s[44:45]
	s_or_b64 s[12:13], s[2:3], s[12:13]
	s_xor_b64 s[12:13], s[12:13], -1
	s_and_saveexec_b64 s[16:17], s[12:13]
	s_xor_b64 s[12:13], exec, s[16:17]
	s_cbranch_execz .LBB3_33
; %bb.32:                               ;   in Loop: Header=BB3_7 Depth=2
	v_add_co_u32_e32 v0, vcc, v38, v28
	v_addc_co_u32_e32 v1, vcc, v39, v29, vcc
	global_load_dword v0, v[0:1], off offset:64
	s_waitcnt vmcnt(0)
	ds_write_b32 v44, v0 offset:2112
.LBB3_33:                               ;   in Loop: Header=BB3_7 Depth=2
	s_andn2_saveexec_b64 s[12:13], s[12:13]
	s_cbranch_execz .LBB3_39
; %bb.34:                               ;   in Loop: Header=BB3_7 Depth=2
	s_and_saveexec_b64 s[16:17], s[28:29]
	s_xor_b64 s[16:17], exec, s[16:17]
	s_cbranch_execz .LBB3_36
; %bb.35:                               ;   in Loop: Header=BB3_7 Depth=2
	ds_write_b32 v44, v47 offset:2112
.LBB3_36:                               ;   in Loop: Header=BB3_7 Depth=2
	s_andn2_saveexec_b64 s[16:17], s[16:17]
	s_cbranch_execz .LBB3_38
; %bb.37:                               ;   in Loop: Header=BB3_7 Depth=2
	ds_write_b32 v44, v48 offset:2112
.LBB3_38:                               ;   in Loop: Header=BB3_7 Depth=2
	s_or_b64 exec, exec, s[16:17]
.LBB3_39:                               ;   in Loop: Header=BB3_7 Depth=2
	s_or_b64 exec, exec, s[12:13]
	v_mov_b32_e32 v1, s27
	v_add_co_u32_e32 v0, vcc, s26, v14
	v_addc_co_u32_e32 v1, vcc, v15, v1, vcc
	v_cmp_gt_i64_e32 vcc, s[36:37], v[0:1]
	s_and_b64 s[12:13], s[8:9], vcc
	s_xor_b64 s[12:13], s[12:13], -1
	s_and_saveexec_b64 s[16:17], s[12:13]
	s_xor_b64 s[12:13], exec, s[16:17]
	s_cbranch_execz .LBB3_41
; %bb.40:                               ;   in Loop: Header=BB3_7 Depth=2
	ds_write_b32 v46, v47
.LBB3_41:                               ;   in Loop: Header=BB3_7 Depth=2
	s_or_saveexec_b64 s[16:17], s[12:13]
	v_add_co_u32_e64 v2, s[12:13], v34, v28
	v_addc_co_u32_e64 v3, s[12:13], v35, v29, s[12:13]
	s_xor_b64 exec, exec, s[16:17]
	s_cbranch_execz .LBB3_43
; %bb.42:                               ;   in Loop: Header=BB3_7 Depth=2
	global_load_dword v4, v[2:3], off offset:-64
	s_waitcnt vmcnt(0)
	ds_write_b32 v46, v4
.LBB3_43:                               ;   in Loop: Header=BB3_7 Depth=2
	s_or_b64 exec, exec, s[16:17]
	v_cmp_gt_i64_e64 s[12:13], s[42:43], v[0:1]
	s_and_b64 s[16:17], s[8:9], s[12:13]
	s_xor_b64 s[16:17], s[16:17], -1
	s_and_saveexec_b64 s[28:29], s[16:17]
	s_xor_b64 s[16:17], exec, s[28:29]
	s_cbranch_execz .LBB3_45
; %bb.44:                               ;   in Loop: Header=BB3_7 Depth=2
	ds_write_b32 v46, v47 offset:64
                                        ; implicit-def: $vgpr2_vgpr3
.LBB3_45:                               ;   in Loop: Header=BB3_7 Depth=2
	s_andn2_saveexec_b64 s[16:17], s[16:17]
	s_cbranch_execz .LBB3_47
; %bb.46:                               ;   in Loop: Header=BB3_7 Depth=2
	global_load_dword v0, v[2:3], off
	s_waitcnt vmcnt(0)
	ds_write_b32 v46, v0 offset:64
.LBB3_47:                               ;   in Loop: Header=BB3_7 Depth=2
	s_or_b64 exec, exec, s[16:17]
	s_and_b64 s[16:17], s[10:11], vcc
	s_xor_b64 s[16:17], s[16:17], -1
	s_and_saveexec_b64 s[28:29], s[16:17]
	s_xor_b64 s[16:17], exec, s[28:29]
	s_cbranch_execz .LBB3_49
; %bb.48:                               ;   in Loop: Header=BB3_7 Depth=2
	ds_write_b32 v46, v47 offset:2048
.LBB3_49:                               ;   in Loop: Header=BB3_7 Depth=2
	s_andn2_saveexec_b64 s[16:17], s[16:17]
	s_cbranch_execz .LBB3_51
; %bb.50:                               ;   in Loop: Header=BB3_7 Depth=2
	v_add_co_u32_e32 v0, vcc, v36, v28
	v_addc_co_u32_e32 v1, vcc, v37, v29, vcc
	global_load_dword v0, v[0:1], off offset:-64
	s_waitcnt vmcnt(0)
	ds_write_b32 v46, v0 offset:2048
.LBB3_51:                               ;   in Loop: Header=BB3_7 Depth=2
	s_or_b64 exec, exec, s[16:17]
	s_and_b64 s[12:13], s[10:11], s[12:13]
	s_xor_b64 s[12:13], s[12:13], -1
	s_and_saveexec_b64 s[16:17], s[12:13]
	s_xor_b64 s[12:13], exec, s[16:17]
	s_cbranch_execz .LBB3_53
; %bb.52:                               ;   in Loop: Header=BB3_7 Depth=2
	ds_write_b32 v46, v47 offset:2112
.LBB3_53:                               ;   in Loop: Header=BB3_7 Depth=2
	s_andn2_saveexec_b64 s[12:13], s[12:13]
	s_cbranch_execz .LBB3_6
; %bb.54:                               ;   in Loop: Header=BB3_7 Depth=2
	v_add_co_u32_e32 v0, vcc, v36, v28
	v_addc_co_u32_e32 v1, vcc, v37, v29, vcc
	global_load_dword v0, v[0:1], off
	s_waitcnt vmcnt(0)
	ds_write_b32 v46, v0 offset:2112
	s_branch .LBB3_6
.LBB3_55:                               ;   in Loop: Header=BB3_4 Depth=1
	v_mul_lo_u32 v2, v51, s40
	v_mul_lo_u32 v3, v49, s41
	v_mad_u64_u32 v[0:1], s[8:9], v49, s40, 0
	v_add3_u32 v1, v1, v3, v2
	v_lshlrev_b64 v[0:1], 2, v[0:1]
	v_mov_b32_e32 v2, s51
	v_add_co_u32_e64 v0, s[8:9], s50, v0
	v_cmp_gt_i32_e32 vcc, s30, v49
	v_addc_co_u32_e64 v1, s[8:9], v2, v1, s[8:9]
	s_and_b64 s[8:9], s[4:5], vcc
	s_and_saveexec_b64 s[10:11], s[8:9]
	s_cbranch_execz .LBB3_57
; %bb.56:                               ;   in Loop: Header=BB3_4 Depth=1
	v_add_co_u32_e64 v2, s[8:9], v0, v28
	v_addc_co_u32_e64 v3, s[8:9], v1, v29, s[8:9]
	global_load_dword v4, v[2:3], off
	s_waitcnt vmcnt(0)
	v_fmac_f32_e32 v4, s31, v53
	global_store_dword v[2:3], v4, off
.LBB3_57:                               ;   in Loop: Header=BB3_4 Depth=1
	s_or_b64 exec, exec, s[10:11]
	s_and_b64 s[10:11], s[14:15], vcc
	s_and_saveexec_b64 s[8:9], s[10:11]
	s_cbranch_execz .LBB3_59
; %bb.58:                               ;   in Loop: Header=BB3_4 Depth=1
	v_lshlrev_b64 v[2:3], 2, v[20:21]
	v_add_co_u32_e32 v0, vcc, v0, v2
	v_addc_co_u32_e32 v1, vcc, v1, v3, vcc
	global_load_dword v2, v[0:1], off
	s_waitcnt vmcnt(0)
	v_fmac_f32_e32 v2, s31, v52
	global_store_dword v[0:1], v2, off
.LBB3_59:                               ;   in Loop: Header=BB3_4 Depth=1
	s_or_b64 exec, exec, s[8:9]
	v_add_u32_e32 v0, 16, v49
	v_ashrrev_i32_e32 v1, 31, v0
	v_cmp_gt_i32_e32 vcc, s30, v0
	v_mul_lo_u32 v2, v1, s40
	v_mul_lo_u32 v3, v0, s41
	v_mad_u64_u32 v[0:1], s[8:9], v0, s40, 0
	v_add3_u32 v1, v1, v3, v2
	v_lshlrev_b64 v[0:1], 2, v[0:1]
	v_mov_b32_e32 v2, s51
	v_add_co_u32_e64 v0, s[8:9], s50, v0
	v_addc_co_u32_e64 v1, s[8:9], v2, v1, s[8:9]
	s_and_b64 s[8:9], s[4:5], vcc
	s_and_saveexec_b64 s[10:11], s[8:9]
	s_cbranch_execz .LBB3_61
; %bb.60:                               ;   in Loop: Header=BB3_4 Depth=1
	v_add_co_u32_e64 v2, s[8:9], v0, v28
	v_addc_co_u32_e64 v3, s[8:9], v1, v29, s[8:9]
	global_load_dword v4, v[2:3], off
	s_waitcnt vmcnt(0)
	v_fmac_f32_e32 v4, s31, v50
	global_store_dword v[2:3], v4, off
.LBB3_61:                               ;   in Loop: Header=BB3_4 Depth=1
	s_or_b64 exec, exec, s[10:11]
	s_and_b64 s[10:11], s[14:15], vcc
	s_and_saveexec_b64 s[8:9], s[10:11]
	s_cbranch_execz .LBB3_3
; %bb.62:                               ;   in Loop: Header=BB3_4 Depth=1
	v_lshlrev_b64 v[2:3], 2, v[20:21]
	v_add_co_u32_e32 v0, vcc, v0, v2
	v_addc_co_u32_e32 v1, vcc, v1, v3, vcc
	global_load_dword v2, v[0:1], off
	s_waitcnt vmcnt(0)
	v_fmac_f32_e32 v2, s31, v31
	global_store_dword v[0:1], v2, off
	s_branch .LBB3_3
.LBB3_63:
	s_endpgm
	.section	.rodata,"a",@progbits
	.p2align	6, 0x0
	.amdhsa_kernel _ZL30rocblas_trmm_outofplace_kernelIfLi32ELi2ELb1ELb1ELb0ELb0EfKffEv17rocblas_diagonal_iiT6_lPT7_lllS4_lllPT8_llli
		.amdhsa_group_segment_fixed_size 8192
		.amdhsa_private_segment_fixed_size 0
		.amdhsa_kernarg_size 384
		.amdhsa_user_sgpr_count 6
		.amdhsa_user_sgpr_private_segment_buffer 1
		.amdhsa_user_sgpr_dispatch_ptr 0
		.amdhsa_user_sgpr_queue_ptr 0
		.amdhsa_user_sgpr_kernarg_segment_ptr 1
		.amdhsa_user_sgpr_dispatch_id 0
		.amdhsa_user_sgpr_flat_scratch_init 0
		.amdhsa_user_sgpr_kernarg_preload_length 0
		.amdhsa_user_sgpr_kernarg_preload_offset 0
		.amdhsa_user_sgpr_private_segment_size 0
		.amdhsa_uses_dynamic_stack 0
		.amdhsa_system_sgpr_private_segment_wavefront_offset 0
		.amdhsa_system_sgpr_workgroup_id_x 1
		.amdhsa_system_sgpr_workgroup_id_y 1
		.amdhsa_system_sgpr_workgroup_id_z 1
		.amdhsa_system_sgpr_workgroup_info 0
		.amdhsa_system_vgpr_workitem_id 1
		.amdhsa_next_free_vgpr 64
		.amdhsa_next_free_sgpr 57
		.amdhsa_accum_offset 64
		.amdhsa_reserve_vcc 1
		.amdhsa_reserve_flat_scratch 0
		.amdhsa_float_round_mode_32 0
		.amdhsa_float_round_mode_16_64 0
		.amdhsa_float_denorm_mode_32 3
		.amdhsa_float_denorm_mode_16_64 3
		.amdhsa_dx10_clamp 1
		.amdhsa_ieee_mode 1
		.amdhsa_fp16_overflow 0
		.amdhsa_tg_split 0
		.amdhsa_exception_fp_ieee_invalid_op 0
		.amdhsa_exception_fp_denorm_src 0
		.amdhsa_exception_fp_ieee_div_zero 0
		.amdhsa_exception_fp_ieee_overflow 0
		.amdhsa_exception_fp_ieee_underflow 0
		.amdhsa_exception_fp_ieee_inexact 0
		.amdhsa_exception_int_div_zero 0
	.end_amdhsa_kernel
	.section	.text._ZL30rocblas_trmm_outofplace_kernelIfLi32ELi2ELb1ELb1ELb0ELb0EfKffEv17rocblas_diagonal_iiT6_lPT7_lllS4_lllPT8_llli,"axG",@progbits,_ZL30rocblas_trmm_outofplace_kernelIfLi32ELi2ELb1ELb1ELb0ELb0EfKffEv17rocblas_diagonal_iiT6_lPT7_lllS4_lllPT8_llli,comdat
.Lfunc_end3:
	.size	_ZL30rocblas_trmm_outofplace_kernelIfLi32ELi2ELb1ELb1ELb0ELb0EfKffEv17rocblas_diagonal_iiT6_lPT7_lllS4_lllPT8_llli, .Lfunc_end3-_ZL30rocblas_trmm_outofplace_kernelIfLi32ELi2ELb1ELb1ELb0ELb0EfKffEv17rocblas_diagonal_iiT6_lPT7_lllS4_lllPT8_llli
                                        ; -- End function
	.section	.AMDGPU.csdata,"",@progbits
; Kernel info:
; codeLenInByte = 3124
; NumSgprs: 61
; NumVgprs: 64
; NumAgprs: 0
; TotalNumVgprs: 64
; ScratchSize: 0
; MemoryBound: 0
; FloatMode: 240
; IeeeMode: 1
; LDSByteSize: 8192 bytes/workgroup (compile time only)
; SGPRBlocks: 7
; VGPRBlocks: 7
; NumSGPRsForWavesPerEU: 61
; NumVGPRsForWavesPerEU: 64
; AccumOffset: 64
; Occupancy: 8
; WaveLimiterHint : 0
; COMPUTE_PGM_RSRC2:SCRATCH_EN: 0
; COMPUTE_PGM_RSRC2:USER_SGPR: 6
; COMPUTE_PGM_RSRC2:TRAP_HANDLER: 0
; COMPUTE_PGM_RSRC2:TGID_X_EN: 1
; COMPUTE_PGM_RSRC2:TGID_Y_EN: 1
; COMPUTE_PGM_RSRC2:TGID_Z_EN: 1
; COMPUTE_PGM_RSRC2:TIDIG_COMP_CNT: 1
; COMPUTE_PGM_RSRC3_GFX90A:ACCUM_OFFSET: 15
; COMPUTE_PGM_RSRC3_GFX90A:TG_SPLIT: 0
	.section	.text._ZL30rocblas_trmm_outofplace_kernelIfLi32ELi2ELb1ELb0ELb1ELb0EPKfS0_fEv17rocblas_diagonal_iiT6_lPT7_lllS5_lllPT8_llli,"axG",@progbits,_ZL30rocblas_trmm_outofplace_kernelIfLi32ELi2ELb1ELb0ELb1ELb0EPKfS0_fEv17rocblas_diagonal_iiT6_lPT7_lllS5_lllPT8_llli,comdat
	.globl	_ZL30rocblas_trmm_outofplace_kernelIfLi32ELi2ELb1ELb0ELb1ELb0EPKfS0_fEv17rocblas_diagonal_iiT6_lPT7_lllS5_lllPT8_llli ; -- Begin function _ZL30rocblas_trmm_outofplace_kernelIfLi32ELi2ELb1ELb0ELb1ELb0EPKfS0_fEv17rocblas_diagonal_iiT6_lPT7_lllS5_lllPT8_llli
	.p2align	8
	.type	_ZL30rocblas_trmm_outofplace_kernelIfLi32ELi2ELb1ELb0ELb1ELb0EPKfS0_fEv17rocblas_diagonal_iiT6_lPT7_lllS5_lllPT8_llli,@function
_ZL30rocblas_trmm_outofplace_kernelIfLi32ELi2ELb1ELb0ELb1ELb0EPKfS0_fEv17rocblas_diagonal_iiT6_lPT7_lllS5_lllPT8_llli: ; @_ZL30rocblas_trmm_outofplace_kernelIfLi32ELi2ELb1ELb0ELb1ELb0EPKfS0_fEv17rocblas_diagonal_iiT6_lPT7_lllS5_lllPT8_llli
; %bb.0:
	s_load_dwordx16 s[12:27], s[4:5], 0x10
	s_waitcnt lgkmcnt(0)
	s_mul_i32 s0, s8, s15
	s_mul_hi_u32 s1, s8, s14
	s_add_i32 s1, s1, s0
	s_mul_i32 s0, s8, s14
	s_lshl_b64 s[0:1], s[0:1], 2
	s_add_u32 s0, s12, s0
	s_addc_u32 s1, s13, s1
	s_load_dword s33, s[0:1], 0x0
	s_waitcnt lgkmcnt(0)
	v_cmp_eq_f32_e64 s[0:1], s33, 0
	s_and_b64 vcc, exec, s[0:1]
	s_cbranch_vccnz .LBB4_63
; %bb.1:
	s_load_dwordx4 s[28:31], s[4:5], 0x0
	s_waitcnt lgkmcnt(0)
	s_add_i32 s0, s30, -1
	s_ashr_i32 s1, s0, 31
	s_lshr_b32 s1, s1, 27
	s_add_i32 s0, s0, s1
	s_ashr_i32 s31, s0, 5
	s_cmp_gt_i32 s7, s31
	s_cbranch_scc1 .LBB4_63
; %bb.2:
	s_mul_i32 s0, s8, s23
	s_mul_hi_u32 s1, s8, s22
	s_add_i32 s1, s1, s0
	s_mul_i32 s0, s8, s22
	s_load_dwordx4 s[44:47], s[4:5], 0x70
	s_load_dword s48, s[4:5], 0x8c
	s_lshl_b64 s[10:11], s[0:1], 2
	s_add_u32 s0, s16, s10
	s_load_dwordx8 s[36:43], s[4:5], 0x50
	s_addc_u32 s1, s17, s11
	s_lshl_b64 s[12:13], s[18:19], 2
	s_add_u32 s2, s0, s12
	s_addc_u32 s3, s1, s13
	s_waitcnt lgkmcnt(0)
	s_mul_i32 s0, s8, s47
	s_mul_hi_u32 s1, s8, s46
	s_add_i32 s1, s1, s0
	s_mul_i32 s0, s8, s46
	s_lshl_b64 s[0:1], s[0:1], 2
	s_add_u32 s4, s40, s0
	s_addc_u32 s5, s41, s1
	s_lshl_b64 s[0:1], s[42:43], 2
	s_add_u32 s46, s4, s0
	s_addc_u32 s47, s5, s1
	s_lshl_b32 s4, s6, 5
	v_and_b32_e32 v2, 0x3ff, v0
	v_add_u32_e32 v14, s4, v2
	v_ashrrev_i32_e32 v15, 31, v14
	v_bfe_u32 v36, v0, 10, 10
	v_mul_lo_u32 v3, v15, s20
	v_mul_lo_u32 v4, v14, s21
	v_mad_u64_u32 v[0:1], s[0:1], v14, s20, 0
	v_add3_u32 v1, v1, v4, v3
	v_add_u32_e32 v12, s4, v36
	v_lshlrev_b64 v[0:1], 2, v[0:1]
	v_ashrrev_i32_e32 v13, 31, v12
	v_mov_b32_e32 v3, s3
	v_add_co_u32_e32 v4, vcc, s2, v0
	v_addc_co_u32_e32 v3, vcc, v3, v1, vcc
	v_lshlrev_b64 v[0:1], 2, v[12:13]
	v_add_co_u32_e32 v37, vcc, v4, v0
	v_addc_co_u32_e32 v38, vcc, v3, v1, vcc
	s_sub_i32 s6, s29, s4
	s_cmp_gt_i32 s6, 0
	v_add_co_u32_e32 v16, vcc, 16, v14
	s_cselect_b64 s[18:19], -1, 0
	s_cmpk_eq_i32 s28, 0x84
	v_addc_co_u32_e32 v17, vcc, 0, v15, vcc
	s_cselect_b64 s[22:23], -1, 0
	s_ashr_i32 s35, s29, 31
	s_ashr_i32 s49, s30, 31
	v_sub_co_u32_e32 v20, vcc, v14, v12
	s_add_u32 s40, s29, -16
	v_subb_co_u32_e32 v21, vcc, v15, v13, vcc
	s_mul_i32 s9, s39, s8
	s_mul_hi_u32 s28, s38, s8
	s_addc_u32 s41, s35, -1
	v_add_co_u32_e32 v22, vcc, 16, v20
	s_add_i32 s9, s28, s9
	s_mul_i32 s8, s38, s8
	v_addc_co_u32_e32 v23, vcc, 0, v21, vcc
	s_lshl_b64 s[8:9], s[8:9], 2
	s_lshl_b64 s[26:27], s[26:27], 2
	v_add_co_u32_e32 v24, vcc, -16, v20
	s_add_u32 s8, s8, s26
	v_addc_co_u32_e32 v25, vcc, -1, v21, vcc
	s_addc_u32 s9, s9, s27
	v_lshlrev_b64 v[26:27], 2, v[14:15]
	s_add_u32 s8, s24, s8
	v_add_co_u32_e32 v4, vcc, 64, v26
	v_lshlrev_b32_e32 v39, 2, v2
	s_addc_u32 s9, s25, s9
	v_addc_co_u32_e32 v2, vcc, 0, v27, vcc
	s_lshl_b64 s[24:25], s[36:37], 2
	s_lshl_b32 s50, s48, 5
	v_lshlrev_b32_e32 v3, 7, v36
	v_add_co_u32_e32 v28, vcc, s8, v4
	s_add_u32 s8, s12, s10
	v_add_u32_e32 v40, v39, v3
	v_add_u32_e32 v41, 0x1000, v3
	v_mov_b32_e32 v3, s9
	s_addc_u32 s9, s13, s11
	v_addc_co_u32_e32 v29, vcc, v2, v3, vcc
	v_mul_lo_u32 v5, s20, v2
	v_pk_mov_b32 v[2:3], s[8:9], s[8:9] op_sel:[0,1]
	v_mul_lo_u32 v6, s21, v4
	v_mad_u64_u32 v[2:3], s[8:9], s20, v4, v[2:3]
	v_add3_u32 v3, v6, v3, v5
	v_add_co_u32_e32 v0, vcc, v2, v0
	v_addc_co_u32_e32 v1, vcc, v3, v1, vcc
	s_mov_b32 s34, s29
	v_add_u32_e32 v18, 16, v14
	v_mov_b32_e32 v2, s17
	v_add_co_u32_e32 v43, vcc, s16, v0
	v_cmp_le_i32_e64 s[0:1], s29, v14
	v_cmp_le_i64_e64 s[2:3], s[34:35], v[16:17]
	v_add_u32_e32 v42, v41, v39
	v_cmp_gt_i32_e64 s[4:5], s29, v14
	v_cmp_gt_i32_e64 s[14:15], s29, v18
	v_ashrrev_i32_e32 v19, 31, v18
	v_lshl_add_u32 v30, s7, 5, v36
	v_addc_co_u32_e32 v44, vcc, v2, v1, vcc
	v_mov_b32_e32 v45, 0
	v_mov_b32_e32 v46, 1.0
	s_branch .LBB4_4
.LBB4_3:                                ;   in Loop: Header=BB4_4 Depth=1
	s_or_b64 exec, exec, s[8:9]
	s_add_i32 s7, s48, s7
	s_cmp_le_i32 s7, s31
	v_add_u32_e32 v30, s50, v30
	s_cbranch_scc0 .LBB4_63
.LBB4_4:                                ; =>This Loop Header: Depth=1
                                        ;     Child Loop BB4_7 Depth 2
	v_lshl_add_u32 v47, s7, 5, v36
	v_ashrrev_i32_e32 v50, 31, v47
	s_andn2_b64 vcc, exec, s[18:19]
	v_mov_b32_e32 v51, 0
	v_mov_b32_e32 v49, 0
	;; [unrolled: 1-line block ×4, first 2 shown]
	s_cbranch_vccnz .LBB4_55
; %bb.5:                                ;   in Loop: Header=BB4_4 Depth=1
	v_ashrrev_i32_e32 v31, 31, v30
	v_mad_u64_u32 v[32:33], s[8:9], s24, v30, v[28:29]
	v_mul_lo_u32 v0, s25, v30
	v_mul_lo_u32 v1, s24, v31
	v_add3_u32 v33, v0, v33, v1
	v_lshlrev_b64 v[0:1], 2, v[30:31]
	v_add_co_u32_e32 v0, vcc, 64, v0
	v_addc_co_u32_e32 v1, vcc, 0, v1, vcc
	v_mul_lo_u32 v1, s36, v1
	v_mul_lo_u32 v2, s37, v0
	v_mad_u64_u32 v[34:35], s[8:9], s36, v0, v[28:29]
	v_add3_u32 v35, v2, v35, v1
	v_mov_b32_e32 v1, s49
	v_sub_co_u32_e32 v0, vcc, s30, v47
	v_subb_co_u32_e32 v1, vcc, v1, v50, vcc
	s_mov_b64 s[20:21], 0
	v_cmp_lt_i64_e32 vcc, 0, v[0:1]
	v_cmp_lt_i64_e64 s[8:9], 16, v[0:1]
	v_mov_b32_e32 v31, 0
	s_mov_b64 s[26:27], 0
	v_mov_b32_e32 v48, 0
	v_mov_b32_e32 v49, 0
	;; [unrolled: 1-line block ×3, first 2 shown]
	s_branch .LBB4_7
.LBB4_6:                                ;   in Loop: Header=BB4_7 Depth=2
	s_or_b64 exec, exec, s[12:13]
	s_waitcnt lgkmcnt(0)
	s_barrier
	ds_read_b128 v[52:55], v41
	ds_read_b128 v[8:11], v41 offset:16
	ds_read_b128 v[4:7], v41 offset:32
	;; [unrolled: 1-line block ×3, first 2 shown]
	ds_read2_b32 v[60:61], v39 offset1:16
	ds_read_b128 v[56:59], v41 offset:2048
	s_add_u32 s26, s26, 32
	s_addc_u32 s27, s27, 0
	s_add_u32 s20, s20, 0x80
	s_waitcnt lgkmcnt(1)
	v_fmac_f32_e32 v51, v60, v52
	v_fmac_f32_e32 v49, v61, v52
	s_waitcnt lgkmcnt(0)
	v_fmac_f32_e32 v48, v60, v56
	v_fmac_f32_e32 v31, v61, v56
	ds_read2_b32 v[60:61], v39 offset0:32 offset1:48
	s_addc_u32 s21, s21, 0
	s_cmp_ge_i32 s26, s6
	s_waitcnt lgkmcnt(0)
	v_fmac_f32_e32 v51, v60, v53
	v_fmac_f32_e32 v49, v61, v53
	ds_read2_b32 v[52:53], v39 offset0:64 offset1:80
	v_fmac_f32_e32 v48, v60, v57
	v_fmac_f32_e32 v31, v61, v57
	ds_read2_b32 v[56:57], v39 offset0:128 offset1:144
	s_waitcnt lgkmcnt(1)
	v_fmac_f32_e32 v51, v52, v54
	v_fmac_f32_e32 v49, v53, v54
	;; [unrolled: 1-line block ×4, first 2 shown]
	ds_read2_b32 v[52:53], v39 offset0:96 offset1:112
	s_waitcnt lgkmcnt(0)
	v_fmac_f32_e32 v51, v52, v55
	v_fmac_f32_e32 v49, v53, v55
	v_fmac_f32_e32 v48, v52, v59
	v_fmac_f32_e32 v31, v53, v59
	ds_read_b128 v[52:55], v41 offset:2064
	v_fmac_f32_e32 v51, v56, v8
	v_fmac_f32_e32 v49, v57, v8
	s_waitcnt lgkmcnt(0)
	v_fmac_f32_e32 v48, v56, v52
	v_fmac_f32_e32 v31, v57, v52
	ds_read2_b32 v[56:57], v39 offset0:160 offset1:176
	s_waitcnt lgkmcnt(0)
	v_fmac_f32_e32 v51, v56, v9
	v_fmac_f32_e32 v49, v57, v9
	ds_read2_b32 v[8:9], v39 offset0:192 offset1:208
	v_fmac_f32_e32 v48, v56, v53
	v_fmac_f32_e32 v31, v57, v53
	s_waitcnt lgkmcnt(0)
	v_fmac_f32_e32 v51, v8, v10
	v_fmac_f32_e32 v49, v9, v10
	;; [unrolled: 1-line block ×4, first 2 shown]
	ds_read2_b32 v[8:9], v39 offset0:224 offset1:240
	v_add_u32_e32 v54, 0x400, v39
	ds_read2_b32 v[52:53], v54 offset1:16
	s_waitcnt lgkmcnt(1)
	v_fmac_f32_e32 v51, v8, v11
	v_fmac_f32_e32 v49, v9, v11
	v_fmac_f32_e32 v48, v8, v55
	v_fmac_f32_e32 v31, v9, v55
	ds_read_b128 v[8:11], v41 offset:2080
	s_waitcnt lgkmcnt(1)
	v_fmac_f32_e32 v51, v52, v4
	v_fmac_f32_e32 v49, v53, v4
	s_waitcnt lgkmcnt(0)
	v_fmac_f32_e32 v48, v52, v8
	v_fmac_f32_e32 v31, v53, v8
	ds_read2_b32 v[52:53], v54 offset0:32 offset1:48
	s_waitcnt lgkmcnt(0)
	v_fmac_f32_e32 v51, v52, v5
	v_fmac_f32_e32 v49, v53, v5
	ds_read2_b32 v[4:5], v54 offset0:64 offset1:80
	v_fmac_f32_e32 v48, v52, v9
	v_fmac_f32_e32 v31, v53, v9
	ds_read2_b32 v[8:9], v54 offset0:128 offset1:144
	s_waitcnt lgkmcnt(1)
	v_fmac_f32_e32 v51, v4, v6
	v_fmac_f32_e32 v49, v5, v6
	v_fmac_f32_e32 v48, v4, v10
	v_fmac_f32_e32 v31, v5, v10
	ds_read2_b32 v[4:5], v54 offset0:96 offset1:112
	v_add_u32_e32 v10, 0x800, v39
	s_waitcnt lgkmcnt(0)
	v_fmac_f32_e32 v51, v4, v7
	v_fmac_f32_e32 v49, v5, v7
	;; [unrolled: 1-line block ×4, first 2 shown]
	ds_read_b128 v[4:7], v41 offset:2096
	v_fmac_f32_e32 v51, v8, v0
	v_fmac_f32_e32 v49, v9, v0
	s_waitcnt lgkmcnt(0)
	v_fmac_f32_e32 v48, v8, v4
	v_fmac_f32_e32 v31, v9, v4
	ds_read2_b32 v[8:9], v54 offset0:160 offset1:176
	s_waitcnt lgkmcnt(0)
	v_fmac_f32_e32 v51, v8, v1
	v_fmac_f32_e32 v49, v9, v1
	ds_read2_b32 v[0:1], v54 offset0:192 offset1:208
	v_fmac_f32_e32 v48, v8, v5
	v_fmac_f32_e32 v31, v9, v5
	ds_read2_b32 v[8:9], v10 offset1:16
	s_waitcnt lgkmcnt(1)
	v_fmac_f32_e32 v51, v0, v2
	v_fmac_f32_e32 v49, v1, v2
	;; [unrolled: 1-line block ×4, first 2 shown]
	ds_read2_b32 v[0:1], v54 offset0:224 offset1:240
	s_waitcnt lgkmcnt(0)
	v_fmac_f32_e32 v51, v0, v3
	v_fmac_f32_e32 v49, v1, v3
	;; [unrolled: 1-line block ×4, first 2 shown]
	ds_read_b128 v[0:3], v41 offset:64
	ds_read_b128 v[4:7], v41 offset:2112
	s_waitcnt lgkmcnt(1)
	v_fmac_f32_e32 v51, v8, v0
	v_fmac_f32_e32 v49, v9, v0
	s_waitcnt lgkmcnt(0)
	v_fmac_f32_e32 v48, v8, v4
	v_fmac_f32_e32 v31, v9, v4
	ds_read2_b32 v[8:9], v10 offset0:32 offset1:48
	s_waitcnt lgkmcnt(0)
	v_fmac_f32_e32 v51, v8, v1
	v_fmac_f32_e32 v49, v9, v1
	ds_read2_b32 v[0:1], v10 offset0:64 offset1:80
	v_fmac_f32_e32 v48, v8, v5
	v_fmac_f32_e32 v31, v9, v5
	s_waitcnt lgkmcnt(0)
	v_fmac_f32_e32 v51, v0, v2
	v_fmac_f32_e32 v49, v1, v2
	;; [unrolled: 1-line block ×4, first 2 shown]
	ds_read2_b32 v[0:1], v10 offset0:96 offset1:112
	s_waitcnt lgkmcnt(0)
	v_fmac_f32_e32 v51, v0, v3
	v_fmac_f32_e32 v49, v1, v3
	;; [unrolled: 1-line block ×4, first 2 shown]
	ds_read_b128 v[0:3], v41 offset:80
	ds_read2_b32 v[8:9], v10 offset0:128 offset1:144
	ds_read_b128 v[4:7], v41 offset:2128
	s_waitcnt lgkmcnt(1)
	v_fmac_f32_e32 v51, v8, v0
	v_fmac_f32_e32 v49, v9, v0
	s_waitcnt lgkmcnt(0)
	v_fmac_f32_e32 v48, v8, v4
	v_fmac_f32_e32 v31, v9, v4
	ds_read2_b32 v[8:9], v10 offset0:160 offset1:176
	s_waitcnt lgkmcnt(0)
	v_fmac_f32_e32 v51, v8, v1
	v_fmac_f32_e32 v49, v9, v1
	ds_read2_b32 v[0:1], v10 offset0:192 offset1:208
	v_fmac_f32_e32 v48, v8, v5
	v_fmac_f32_e32 v31, v9, v5
	s_waitcnt lgkmcnt(0)
	v_fmac_f32_e32 v51, v0, v2
	v_fmac_f32_e32 v49, v1, v2
	;; [unrolled: 1-line block ×4, first 2 shown]
	ds_read2_b32 v[0:1], v10 offset0:224 offset1:240
	v_add_u32_e32 v10, 0xc00, v39
	ds_read2_b32 v[8:9], v10 offset1:16
	s_waitcnt lgkmcnt(1)
	v_fmac_f32_e32 v51, v0, v3
	v_fmac_f32_e32 v49, v1, v3
	;; [unrolled: 1-line block ×4, first 2 shown]
	ds_read_b128 v[0:3], v41 offset:96
	ds_read_b128 v[4:7], v41 offset:2144
	s_waitcnt lgkmcnt(1)
	v_fmac_f32_e32 v51, v8, v0
	v_fmac_f32_e32 v49, v9, v0
	s_waitcnt lgkmcnt(0)
	v_fmac_f32_e32 v48, v8, v4
	v_fmac_f32_e32 v31, v9, v4
	ds_read2_b32 v[8:9], v10 offset0:32 offset1:48
	s_waitcnt lgkmcnt(0)
	v_fmac_f32_e32 v51, v8, v1
	v_fmac_f32_e32 v49, v9, v1
	ds_read2_b32 v[0:1], v10 offset0:64 offset1:80
	v_fmac_f32_e32 v48, v8, v5
	v_fmac_f32_e32 v31, v9, v5
	s_waitcnt lgkmcnt(0)
	v_fmac_f32_e32 v51, v0, v2
	v_fmac_f32_e32 v49, v1, v2
	;; [unrolled: 1-line block ×4, first 2 shown]
	ds_read2_b32 v[0:1], v10 offset0:96 offset1:112
	s_waitcnt lgkmcnt(0)
	v_fmac_f32_e32 v51, v0, v3
	v_fmac_f32_e32 v49, v1, v3
	;; [unrolled: 1-line block ×4, first 2 shown]
	ds_read_b128 v[0:3], v41 offset:112
	ds_read2_b32 v[8:9], v10 offset0:128 offset1:144
	ds_read_b128 v[4:7], v41 offset:2160
	s_waitcnt lgkmcnt(1)
	v_fmac_f32_e32 v51, v8, v0
	v_fmac_f32_e32 v49, v9, v0
	s_waitcnt lgkmcnt(0)
	v_fmac_f32_e32 v48, v8, v4
	v_fmac_f32_e32 v31, v9, v4
	ds_read2_b32 v[8:9], v10 offset0:160 offset1:176
	s_waitcnt lgkmcnt(0)
	v_fmac_f32_e32 v51, v8, v1
	v_fmac_f32_e32 v49, v9, v1
	ds_read2_b32 v[0:1], v10 offset0:192 offset1:208
	v_fmac_f32_e32 v48, v8, v5
	v_fmac_f32_e32 v31, v9, v5
	s_waitcnt lgkmcnt(0)
	v_fmac_f32_e32 v51, v0, v2
	v_fmac_f32_e32 v49, v1, v2
	;; [unrolled: 1-line block ×4, first 2 shown]
	ds_read2_b32 v[0:1], v10 offset0:224 offset1:240
	s_waitcnt lgkmcnt(0)
	s_barrier
	v_fmac_f32_e32 v51, v0, v3
	v_fmac_f32_e32 v49, v1, v3
	v_fmac_f32_e32 v48, v0, v7
	v_fmac_f32_e32 v31, v1, v7
	s_cbranch_scc1 .LBB4_55
.LBB4_7:                                ;   Parent Loop BB4_4 Depth=1
                                        ; =>  This Inner Loop Header: Depth=2
	v_mov_b32_e32 v0, s27
	v_add_co_u32_e64 v2, s[10:11], s26, v12
	v_addc_co_u32_e64 v3, s[10:11], v13, v0, s[10:11]
	v_mov_b32_e32 v1, s21
	v_add_co_u32_e64 v0, s[10:11], s20, v37
	v_addc_co_u32_e64 v1, s[10:11], v38, v1, s[10:11]
	v_cmp_eq_u64_e64 s[10:11], s[26:27], v[20:21]
	v_cmp_le_i64_e64 s[12:13], s[34:35], v[2:3]
	s_and_b64 s[38:39], s[22:23], s[10:11]
	v_cmp_lt_i64_e64 s[10:11], v[2:3], v[14:15]
	s_or_b64 s[16:17], s[12:13], s[10:11]
	s_or_b64 s[16:17], s[16:17], s[38:39]
	;; [unrolled: 1-line block ×3, first 2 shown]
	s_xor_b64 s[16:17], s[16:17], -1
	s_and_saveexec_b64 s[28:29], s[16:17]
	s_xor_b64 s[16:17], exec, s[28:29]
	s_cbranch_execz .LBB4_9
; %bb.8:                                ;   in Loop: Header=BB4_7 Depth=2
	global_load_dword v4, v[0:1], off
	s_waitcnt vmcnt(0)
	ds_write_b32 v40, v4
.LBB4_9:                                ;   in Loop: Header=BB4_7 Depth=2
	s_or_saveexec_b64 s[16:17], s[16:17]
	s_xor_b64 s[28:29], s[38:39], -1
	s_xor_b64 exec, exec, s[16:17]
	s_cbranch_execz .LBB4_15
; %bb.10:                               ;   in Loop: Header=BB4_7 Depth=2
	s_and_saveexec_b64 s[42:43], s[28:29]
	s_xor_b64 s[42:43], exec, s[42:43]
	s_cbranch_execz .LBB4_12
; %bb.11:                               ;   in Loop: Header=BB4_7 Depth=2
	ds_write_b32 v40, v45
.LBB4_12:                               ;   in Loop: Header=BB4_7 Depth=2
	s_andn2_saveexec_b64 s[42:43], s[42:43]
	s_cbranch_execz .LBB4_14
; %bb.13:                               ;   in Loop: Header=BB4_7 Depth=2
	ds_write_b32 v40, v46
.LBB4_14:                               ;   in Loop: Header=BB4_7 Depth=2
	s_or_b64 exec, exec, s[42:43]
.LBB4_15:                               ;   in Loop: Header=BB4_7 Depth=2
	s_or_b64 exec, exec, s[16:17]
	v_cmp_eq_u64_e64 s[16:17], s[26:27], v[22:23]
	s_and_b64 s[42:43], s[22:23], s[16:17]
	v_cmp_gt_i64_e64 s[16:17], v[16:17], v[2:3]
	s_or_b64 s[12:13], s[12:13], s[16:17]
	s_or_b64 s[12:13], s[12:13], s[42:43]
	;; [unrolled: 1-line block ×3, first 2 shown]
	s_xor_b64 s[12:13], s[12:13], -1
	s_and_saveexec_b64 s[16:17], s[12:13]
	s_xor_b64 s[16:17], exec, s[16:17]
	s_cbranch_execz .LBB4_17
; %bb.16:                               ;   in Loop: Header=BB4_7 Depth=2
	v_mov_b32_e32 v5, s21
	v_add_co_u32_e64 v4, s[12:13], s20, v43
	v_addc_co_u32_e64 v5, s[12:13], v44, v5, s[12:13]
	global_load_dword v4, v[4:5], off
	s_waitcnt vmcnt(0)
	ds_write_b32 v40, v4 offset:64
.LBB4_17:                               ;   in Loop: Header=BB4_7 Depth=2
	s_andn2_saveexec_b64 s[12:13], s[16:17]
	s_cbranch_execz .LBB4_23
; %bb.18:                               ;   in Loop: Header=BB4_7 Depth=2
	s_xor_b64 s[16:17], s[42:43], -1
	s_and_saveexec_b64 s[42:43], s[16:17]
	s_xor_b64 s[16:17], exec, s[42:43]
	s_cbranch_execz .LBB4_20
; %bb.19:                               ;   in Loop: Header=BB4_7 Depth=2
	ds_write_b32 v40, v45 offset:64
.LBB4_20:                               ;   in Loop: Header=BB4_7 Depth=2
	s_andn2_saveexec_b64 s[16:17], s[16:17]
	s_cbranch_execz .LBB4_22
; %bb.21:                               ;   in Loop: Header=BB4_7 Depth=2
	ds_write_b32 v40, v46 offset:64
.LBB4_22:                               ;   in Loop: Header=BB4_7 Depth=2
	s_or_b64 exec, exec, s[16:17]
.LBB4_23:                               ;   in Loop: Header=BB4_7 Depth=2
	s_or_b64 exec, exec, s[12:13]
	v_add_co_u32_e64 v2, s[12:13], 16, v2
	v_addc_co_u32_e64 v3, s[12:13], 0, v3, s[12:13]
	v_cmp_eq_u64_e64 s[16:17], s[26:27], v[24:25]
	v_cmp_le_i64_e64 s[12:13], s[34:35], v[2:3]
	s_and_b64 s[42:43], s[22:23], s[16:17]
	v_cmp_lt_i64_e64 s[16:17], v[2:3], v[14:15]
	s_or_b64 s[16:17], s[12:13], s[16:17]
	s_or_b64 s[16:17], s[16:17], s[42:43]
	;; [unrolled: 1-line block ×3, first 2 shown]
	s_xor_b64 s[16:17], s[16:17], -1
	s_and_saveexec_b64 s[52:53], s[16:17]
	s_xor_b64 s[16:17], exec, s[52:53]
	s_cbranch_execz .LBB4_25
; %bb.24:                               ;   in Loop: Header=BB4_7 Depth=2
	global_load_dword v0, v[0:1], off offset:64
	s_waitcnt vmcnt(0)
	ds_write_b32 v40, v0 offset:2048
.LBB4_25:                               ;   in Loop: Header=BB4_7 Depth=2
	s_andn2_saveexec_b64 s[16:17], s[16:17]
	s_cbranch_execz .LBB4_31
; %bb.26:                               ;   in Loop: Header=BB4_7 Depth=2
	s_xor_b64 s[42:43], s[42:43], -1
	s_and_saveexec_b64 s[52:53], s[42:43]
	s_xor_b64 s[42:43], exec, s[52:53]
	s_cbranch_execz .LBB4_28
; %bb.27:                               ;   in Loop: Header=BB4_7 Depth=2
	ds_write_b32 v40, v45 offset:2048
.LBB4_28:                               ;   in Loop: Header=BB4_7 Depth=2
	s_andn2_saveexec_b64 s[42:43], s[42:43]
	s_cbranch_execz .LBB4_30
; %bb.29:                               ;   in Loop: Header=BB4_7 Depth=2
	ds_write_b32 v40, v46 offset:2048
.LBB4_30:                               ;   in Loop: Header=BB4_7 Depth=2
	s_or_b64 exec, exec, s[42:43]
.LBB4_31:                               ;   in Loop: Header=BB4_7 Depth=2
	s_or_b64 exec, exec, s[16:17]
	s_or_b64 s[10:11], s[12:13], s[10:11]
	s_or_b64 s[10:11], s[10:11], s[38:39]
	;; [unrolled: 1-line block ×3, first 2 shown]
	s_xor_b64 s[10:11], s[10:11], -1
	s_and_saveexec_b64 s[12:13], s[10:11]
	s_xor_b64 s[12:13], exec, s[12:13]
	s_cbranch_execz .LBB4_33
; %bb.32:                               ;   in Loop: Header=BB4_7 Depth=2
	v_mov_b32_e32 v1, s21
	v_add_co_u32_e64 v0, s[10:11], s20, v43
	v_addc_co_u32_e64 v1, s[10:11], v44, v1, s[10:11]
	global_load_dword v0, v[0:1], off offset:64
	s_waitcnt vmcnt(0)
	ds_write_b32 v40, v0 offset:2112
.LBB4_33:                               ;   in Loop: Header=BB4_7 Depth=2
	s_andn2_saveexec_b64 s[10:11], s[12:13]
	s_cbranch_execz .LBB4_39
; %bb.34:                               ;   in Loop: Header=BB4_7 Depth=2
	s_and_saveexec_b64 s[12:13], s[28:29]
	s_xor_b64 s[12:13], exec, s[12:13]
	s_cbranch_execz .LBB4_36
; %bb.35:                               ;   in Loop: Header=BB4_7 Depth=2
	ds_write_b32 v40, v45 offset:2112
.LBB4_36:                               ;   in Loop: Header=BB4_7 Depth=2
	s_andn2_saveexec_b64 s[12:13], s[12:13]
	s_cbranch_execz .LBB4_38
; %bb.37:                               ;   in Loop: Header=BB4_7 Depth=2
	ds_write_b32 v40, v46 offset:2112
.LBB4_38:                               ;   in Loop: Header=BB4_7 Depth=2
	s_or_b64 exec, exec, s[12:13]
.LBB4_39:                               ;   in Loop: Header=BB4_7 Depth=2
	s_or_b64 exec, exec, s[10:11]
	v_mov_b32_e32 v1, s27
	v_add_co_u32_e64 v0, s[10:11], s26, v14
	v_addc_co_u32_e64 v1, s[10:11], v15, v1, s[10:11]
	v_cmp_gt_i64_e64 s[10:11], s[34:35], v[0:1]
	s_and_b64 s[12:13], vcc, s[10:11]
	s_xor_b64 s[12:13], s[12:13], -1
	s_and_saveexec_b64 s[16:17], s[12:13]
	s_xor_b64 s[12:13], exec, s[16:17]
	s_cbranch_execz .LBB4_41
; %bb.40:                               ;   in Loop: Header=BB4_7 Depth=2
	ds_write_b32 v42, v45
.LBB4_41:                               ;   in Loop: Header=BB4_7 Depth=2
	s_or_saveexec_b64 s[16:17], s[12:13]
	v_mov_b32_e32 v3, s21
	v_add_co_u32_e64 v2, s[12:13], s20, v32
	v_addc_co_u32_e64 v3, s[12:13], v33, v3, s[12:13]
	s_xor_b64 exec, exec, s[16:17]
	s_cbranch_execz .LBB4_43
; %bb.42:                               ;   in Loop: Header=BB4_7 Depth=2
	global_load_dword v4, v[2:3], off offset:-64
	s_waitcnt vmcnt(0)
	ds_write_b32 v42, v4
.LBB4_43:                               ;   in Loop: Header=BB4_7 Depth=2
	s_or_b64 exec, exec, s[16:17]
	v_cmp_gt_i64_e64 s[12:13], s[40:41], v[0:1]
	s_and_b64 s[16:17], vcc, s[12:13]
	s_xor_b64 s[16:17], s[16:17], -1
	s_and_saveexec_b64 s[28:29], s[16:17]
	s_xor_b64 s[16:17], exec, s[28:29]
	s_cbranch_execz .LBB4_45
; %bb.44:                               ;   in Loop: Header=BB4_7 Depth=2
	ds_write_b32 v42, v45 offset:64
                                        ; implicit-def: $vgpr2_vgpr3
.LBB4_45:                               ;   in Loop: Header=BB4_7 Depth=2
	s_andn2_saveexec_b64 s[16:17], s[16:17]
	s_cbranch_execz .LBB4_47
; %bb.46:                               ;   in Loop: Header=BB4_7 Depth=2
	global_load_dword v0, v[2:3], off
	s_waitcnt vmcnt(0)
	ds_write_b32 v42, v0 offset:64
.LBB4_47:                               ;   in Loop: Header=BB4_7 Depth=2
	s_or_b64 exec, exec, s[16:17]
	s_and_b64 s[10:11], s[8:9], s[10:11]
	s_xor_b64 s[10:11], s[10:11], -1
	s_and_saveexec_b64 s[16:17], s[10:11]
	s_xor_b64 s[10:11], exec, s[16:17]
	s_cbranch_execz .LBB4_49
; %bb.48:                               ;   in Loop: Header=BB4_7 Depth=2
	ds_write_b32 v42, v45 offset:2048
.LBB4_49:                               ;   in Loop: Header=BB4_7 Depth=2
	s_andn2_saveexec_b64 s[16:17], s[10:11]
	s_cbranch_execz .LBB4_51
; %bb.50:                               ;   in Loop: Header=BB4_7 Depth=2
	v_mov_b32_e32 v1, s21
	v_add_co_u32_e64 v0, s[10:11], s20, v34
	v_addc_co_u32_e64 v1, s[10:11], v35, v1, s[10:11]
	global_load_dword v0, v[0:1], off offset:-64
	s_waitcnt vmcnt(0)
	ds_write_b32 v42, v0 offset:2048
.LBB4_51:                               ;   in Loop: Header=BB4_7 Depth=2
	s_or_b64 exec, exec, s[16:17]
	s_and_b64 s[10:11], s[8:9], s[12:13]
	s_xor_b64 s[10:11], s[10:11], -1
	s_and_saveexec_b64 s[12:13], s[10:11]
	s_xor_b64 s[10:11], exec, s[12:13]
	s_cbranch_execz .LBB4_53
; %bb.52:                               ;   in Loop: Header=BB4_7 Depth=2
	ds_write_b32 v42, v45 offset:2112
.LBB4_53:                               ;   in Loop: Header=BB4_7 Depth=2
	s_andn2_saveexec_b64 s[12:13], s[10:11]
	s_cbranch_execz .LBB4_6
; %bb.54:                               ;   in Loop: Header=BB4_7 Depth=2
	v_mov_b32_e32 v1, s21
	v_add_co_u32_e64 v0, s[10:11], s20, v34
	v_addc_co_u32_e64 v1, s[10:11], v35, v1, s[10:11]
	global_load_dword v0, v[0:1], off
	s_waitcnt vmcnt(0)
	ds_write_b32 v42, v0 offset:2112
	s_branch .LBB4_6
.LBB4_55:                               ;   in Loop: Header=BB4_4 Depth=1
	v_mul_lo_u32 v2, v50, s44
	v_mul_lo_u32 v3, v47, s45
	v_mad_u64_u32 v[0:1], s[8:9], v47, s44, 0
	v_add3_u32 v1, v1, v3, v2
	v_lshlrev_b64 v[0:1], 2, v[0:1]
	v_mov_b32_e32 v2, s47
	v_add_co_u32_e64 v0, s[8:9], s46, v0
	v_cmp_gt_i32_e32 vcc, s30, v47
	v_addc_co_u32_e64 v1, s[8:9], v2, v1, s[8:9]
	s_and_b64 s[8:9], s[4:5], vcc
	s_and_saveexec_b64 s[10:11], s[8:9]
	s_cbranch_execz .LBB4_57
; %bb.56:                               ;   in Loop: Header=BB4_4 Depth=1
	v_add_co_u32_e64 v2, s[8:9], v0, v26
	v_addc_co_u32_e64 v3, s[8:9], v1, v27, s[8:9]
	global_load_dword v4, v[2:3], off
	s_waitcnt vmcnt(0)
	v_fmac_f32_e32 v4, s33, v51
	global_store_dword v[2:3], v4, off
.LBB4_57:                               ;   in Loop: Header=BB4_4 Depth=1
	s_or_b64 exec, exec, s[10:11]
	s_and_b64 s[10:11], s[14:15], vcc
	s_and_saveexec_b64 s[8:9], s[10:11]
	s_cbranch_execz .LBB4_59
; %bb.58:                               ;   in Loop: Header=BB4_4 Depth=1
	v_lshlrev_b64 v[2:3], 2, v[18:19]
	v_add_co_u32_e32 v0, vcc, v0, v2
	v_addc_co_u32_e32 v1, vcc, v1, v3, vcc
	global_load_dword v2, v[0:1], off
	s_waitcnt vmcnt(0)
	v_fmac_f32_e32 v2, s33, v49
	global_store_dword v[0:1], v2, off
.LBB4_59:                               ;   in Loop: Header=BB4_4 Depth=1
	s_or_b64 exec, exec, s[8:9]
	v_add_u32_e32 v0, 16, v47
	v_ashrrev_i32_e32 v1, 31, v0
	v_cmp_gt_i32_e32 vcc, s30, v0
	v_mul_lo_u32 v2, v1, s44
	v_mul_lo_u32 v3, v0, s45
	v_mad_u64_u32 v[0:1], s[8:9], v0, s44, 0
	v_add3_u32 v1, v1, v3, v2
	v_lshlrev_b64 v[0:1], 2, v[0:1]
	v_mov_b32_e32 v2, s47
	v_add_co_u32_e64 v0, s[8:9], s46, v0
	v_addc_co_u32_e64 v1, s[8:9], v2, v1, s[8:9]
	s_and_b64 s[8:9], s[4:5], vcc
	s_and_saveexec_b64 s[10:11], s[8:9]
	s_cbranch_execz .LBB4_61
; %bb.60:                               ;   in Loop: Header=BB4_4 Depth=1
	v_add_co_u32_e64 v2, s[8:9], v0, v26
	v_addc_co_u32_e64 v3, s[8:9], v1, v27, s[8:9]
	global_load_dword v4, v[2:3], off
	s_waitcnt vmcnt(0)
	v_fmac_f32_e32 v4, s33, v48
	global_store_dword v[2:3], v4, off
.LBB4_61:                               ;   in Loop: Header=BB4_4 Depth=1
	s_or_b64 exec, exec, s[10:11]
	s_and_b64 s[10:11], s[14:15], vcc
	s_and_saveexec_b64 s[8:9], s[10:11]
	s_cbranch_execz .LBB4_3
; %bb.62:                               ;   in Loop: Header=BB4_4 Depth=1
	v_lshlrev_b64 v[2:3], 2, v[18:19]
	v_add_co_u32_e32 v0, vcc, v0, v2
	v_addc_co_u32_e32 v1, vcc, v1, v3, vcc
	global_load_dword v2, v[0:1], off
	s_waitcnt vmcnt(0)
	v_fmac_f32_e32 v2, s33, v31
	global_store_dword v[0:1], v2, off
	s_branch .LBB4_3
.LBB4_63:
	s_endpgm
	.section	.rodata,"a",@progbits
	.p2align	6, 0x0
	.amdhsa_kernel _ZL30rocblas_trmm_outofplace_kernelIfLi32ELi2ELb1ELb0ELb1ELb0EPKfS0_fEv17rocblas_diagonal_iiT6_lPT7_lllS5_lllPT8_llli
		.amdhsa_group_segment_fixed_size 8192
		.amdhsa_private_segment_fixed_size 0
		.amdhsa_kernarg_size 392
		.amdhsa_user_sgpr_count 6
		.amdhsa_user_sgpr_private_segment_buffer 1
		.amdhsa_user_sgpr_dispatch_ptr 0
		.amdhsa_user_sgpr_queue_ptr 0
		.amdhsa_user_sgpr_kernarg_segment_ptr 1
		.amdhsa_user_sgpr_dispatch_id 0
		.amdhsa_user_sgpr_flat_scratch_init 0
		.amdhsa_user_sgpr_kernarg_preload_length 0
		.amdhsa_user_sgpr_kernarg_preload_offset 0
		.amdhsa_user_sgpr_private_segment_size 0
		.amdhsa_uses_dynamic_stack 0
		.amdhsa_system_sgpr_private_segment_wavefront_offset 0
		.amdhsa_system_sgpr_workgroup_id_x 1
		.amdhsa_system_sgpr_workgroup_id_y 1
		.amdhsa_system_sgpr_workgroup_id_z 1
		.amdhsa_system_sgpr_workgroup_info 0
		.amdhsa_system_vgpr_workitem_id 1
		.amdhsa_next_free_vgpr 62
		.amdhsa_next_free_sgpr 54
		.amdhsa_accum_offset 64
		.amdhsa_reserve_vcc 1
		.amdhsa_reserve_flat_scratch 0
		.amdhsa_float_round_mode_32 0
		.amdhsa_float_round_mode_16_64 0
		.amdhsa_float_denorm_mode_32 3
		.amdhsa_float_denorm_mode_16_64 3
		.amdhsa_dx10_clamp 1
		.amdhsa_ieee_mode 1
		.amdhsa_fp16_overflow 0
		.amdhsa_tg_split 0
		.amdhsa_exception_fp_ieee_invalid_op 0
		.amdhsa_exception_fp_denorm_src 0
		.amdhsa_exception_fp_ieee_div_zero 0
		.amdhsa_exception_fp_ieee_overflow 0
		.amdhsa_exception_fp_ieee_underflow 0
		.amdhsa_exception_fp_ieee_inexact 0
		.amdhsa_exception_int_div_zero 0
	.end_amdhsa_kernel
	.section	.text._ZL30rocblas_trmm_outofplace_kernelIfLi32ELi2ELb1ELb0ELb1ELb0EPKfS0_fEv17rocblas_diagonal_iiT6_lPT7_lllS5_lllPT8_llli,"axG",@progbits,_ZL30rocblas_trmm_outofplace_kernelIfLi32ELi2ELb1ELb0ELb1ELb0EPKfS0_fEv17rocblas_diagonal_iiT6_lPT7_lllS5_lllPT8_llli,comdat
.Lfunc_end4:
	.size	_ZL30rocblas_trmm_outofplace_kernelIfLi32ELi2ELb1ELb0ELb1ELb0EPKfS0_fEv17rocblas_diagonal_iiT6_lPT7_lllS5_lllPT8_llli, .Lfunc_end4-_ZL30rocblas_trmm_outofplace_kernelIfLi32ELi2ELb1ELb0ELb1ELb0EPKfS0_fEv17rocblas_diagonal_iiT6_lPT7_lllS5_lllPT8_llli
                                        ; -- End function
	.section	.AMDGPU.csdata,"",@progbits
; Kernel info:
; codeLenInByte = 3220
; NumSgprs: 58
; NumVgprs: 62
; NumAgprs: 0
; TotalNumVgprs: 62
; ScratchSize: 0
; MemoryBound: 0
; FloatMode: 240
; IeeeMode: 1
; LDSByteSize: 8192 bytes/workgroup (compile time only)
; SGPRBlocks: 7
; VGPRBlocks: 7
; NumSGPRsForWavesPerEU: 58
; NumVGPRsForWavesPerEU: 62
; AccumOffset: 64
; Occupancy: 8
; WaveLimiterHint : 0
; COMPUTE_PGM_RSRC2:SCRATCH_EN: 0
; COMPUTE_PGM_RSRC2:USER_SGPR: 6
; COMPUTE_PGM_RSRC2:TRAP_HANDLER: 0
; COMPUTE_PGM_RSRC2:TGID_X_EN: 1
; COMPUTE_PGM_RSRC2:TGID_Y_EN: 1
; COMPUTE_PGM_RSRC2:TGID_Z_EN: 1
; COMPUTE_PGM_RSRC2:TIDIG_COMP_CNT: 1
; COMPUTE_PGM_RSRC3_GFX90A:ACCUM_OFFSET: 15
; COMPUTE_PGM_RSRC3_GFX90A:TG_SPLIT: 0
	.section	.text._ZL30rocblas_trmm_outofplace_kernelIfLi32ELi2ELb1ELb0ELb1ELb0EfKffEv17rocblas_diagonal_iiT6_lPT7_lllS4_lllPT8_llli,"axG",@progbits,_ZL30rocblas_trmm_outofplace_kernelIfLi32ELi2ELb1ELb0ELb1ELb0EfKffEv17rocblas_diagonal_iiT6_lPT7_lllS4_lllPT8_llli,comdat
	.globl	_ZL30rocblas_trmm_outofplace_kernelIfLi32ELi2ELb1ELb0ELb1ELb0EfKffEv17rocblas_diagonal_iiT6_lPT7_lllS4_lllPT8_llli ; -- Begin function _ZL30rocblas_trmm_outofplace_kernelIfLi32ELi2ELb1ELb0ELb1ELb0EfKffEv17rocblas_diagonal_iiT6_lPT7_lllS4_lllPT8_llli
	.p2align	8
	.type	_ZL30rocblas_trmm_outofplace_kernelIfLi32ELi2ELb1ELb0ELb1ELb0EfKffEv17rocblas_diagonal_iiT6_lPT7_lllS4_lllPT8_llli,@function
_ZL30rocblas_trmm_outofplace_kernelIfLi32ELi2ELb1ELb0ELb1ELb0EfKffEv17rocblas_diagonal_iiT6_lPT7_lllS4_lllPT8_llli: ; @_ZL30rocblas_trmm_outofplace_kernelIfLi32ELi2ELb1ELb0ELb1ELb0EfKffEv17rocblas_diagonal_iiT6_lPT7_lllS4_lllPT8_llli
; %bb.0:
	s_load_dwordx4 s[28:31], s[4:5], 0x0
	s_waitcnt lgkmcnt(0)
	v_cmp_eq_f32_e64 s[0:1], s31, 0
	s_and_b64 vcc, exec, s[0:1]
	s_cbranch_vccnz .LBB5_63
; %bb.1:
	s_add_i32 s0, s30, -1
	s_ashr_i32 s1, s0, 31
	s_lshr_b32 s1, s1, 27
	s_add_i32 s0, s0, s1
	s_ashr_i32 s33, s0, 5
	s_cmp_gt_i32 s7, s33
	s_cbranch_scc1 .LBB5_63
; %bb.2:
	s_load_dwordx16 s[12:27], s[4:5], 0x18
	s_load_dwordx8 s[36:43], s[4:5], 0x58
	v_and_b32_e32 v2, 0x3ff, v0
	v_bfe_u32 v36, v0, 10, 10
	s_load_dword s50, s[4:5], 0x84
	s_waitcnt lgkmcnt(0)
	s_mul_i32 s1, s8, s19
	s_mul_hi_u32 s2, s8, s18
	s_mul_i32 s0, s8, s18
	s_add_i32 s1, s2, s1
	s_lshl_b64 s[10:11], s[0:1], 2
	s_add_u32 s0, s12, s10
	s_addc_u32 s1, s13, s11
	s_lshl_b64 s[44:45], s[14:15], 2
	s_add_u32 s2, s0, s44
	s_addc_u32 s3, s1, s45
	s_mul_i32 s0, s8, s43
	s_mul_hi_u32 s1, s8, s42
	s_add_i32 s1, s1, s0
	s_mul_i32 s0, s8, s42
	s_lshl_b64 s[0:1], s[0:1], 2
	s_add_u32 s9, s36, s0
	s_addc_u32 s14, s37, s1
	s_lshl_b64 s[0:1], s[38:39], 2
	s_add_u32 s46, s9, s0
	s_addc_u32 s47, s14, s1
	s_lshl_b32 s6, s6, 5
	v_add_u32_e32 v14, s6, v2
	v_ashrrev_i32_e32 v15, 31, v14
	v_mul_lo_u32 v3, v15, s16
	v_mul_lo_u32 v4, v14, s17
	v_mad_u64_u32 v[0:1], s[0:1], v14, s16, 0
	v_add3_u32 v1, v1, v4, v3
	v_add_u32_e32 v12, s6, v36
	v_lshlrev_b64 v[0:1], 2, v[0:1]
	v_ashrrev_i32_e32 v13, 31, v12
	v_mov_b32_e32 v3, s3
	v_add_co_u32_e32 v4, vcc, s2, v0
	v_addc_co_u32_e32 v3, vcc, v3, v1, vcc
	v_lshlrev_b64 v[0:1], 2, v[12:13]
	v_add_co_u32_e32 v37, vcc, v4, v0
	v_addc_co_u32_e32 v38, vcc, v3, v1, vcc
	s_sub_i32 s6, s29, s6
	s_cmp_gt_i32 s6, 0
	v_add_co_u32_e32 v16, vcc, 16, v14
	s_cselect_b64 s[18:19], -1, 0
	s_cmpk_eq_i32 s28, 0x84
	v_addc_co_u32_e32 v17, vcc, 0, v15, vcc
	s_cselect_b64 s[34:35], -1, 0
	s_ashr_i32 s37, s29, 31
	s_ashr_i32 s48, s30, 31
	v_sub_co_u32_e32 v20, vcc, v14, v12
	s_add_u32 s38, s29, -16
	v_subb_co_u32_e32 v21, vcc, v15, v13, vcc
	s_mul_i32 s9, s27, s8
	s_mul_hi_u32 s27, s26, s8
	s_addc_u32 s39, s37, -1
	v_add_co_u32_e32 v22, vcc, 16, v20
	s_add_i32 s9, s27, s9
	s_mul_i32 s8, s26, s8
	v_addc_co_u32_e32 v23, vcc, 0, v21, vcc
	s_lshl_b64 s[8:9], s[8:9], 2
	s_lshl_b64 s[22:23], s[22:23], 2
	v_add_co_u32_e32 v24, vcc, -16, v20
	s_add_u32 s8, s8, s22
	v_addc_co_u32_e32 v25, vcc, -1, v21, vcc
	s_addc_u32 s9, s9, s23
	v_lshlrev_b64 v[26:27], 2, v[14:15]
	s_add_u32 s8, s20, s8
	v_add_co_u32_e32 v4, vcc, 64, v26
	v_lshlrev_b32_e32 v39, 2, v2
	s_addc_u32 s9, s21, s9
	v_addc_co_u32_e32 v2, vcc, 0, v27, vcc
	s_lshl_b64 s[20:21], s[24:25], 2
	s_lshl_b32 s51, s50, 5
	v_lshlrev_b32_e32 v3, 7, v36
	v_add_co_u32_e32 v28, vcc, s8, v4
	s_add_u32 s8, s44, s10
	v_add_u32_e32 v40, v39, v3
	v_add_u32_e32 v41, 0x1000, v3
	v_mov_b32_e32 v3, s9
	s_addc_u32 s9, s45, s11
	v_addc_co_u32_e32 v29, vcc, v2, v3, vcc
	v_mul_lo_u32 v5, s16, v2
	v_pk_mov_b32 v[2:3], s[8:9], s[8:9] op_sel:[0,1]
	v_mul_lo_u32 v6, s17, v4
	v_mad_u64_u32 v[2:3], s[8:9], s16, v4, v[2:3]
	v_add3_u32 v3, v6, v3, v5
	v_add_co_u32_e32 v0, vcc, v2, v0
	v_addc_co_u32_e32 v1, vcc, v3, v1, vcc
	s_mov_b32 s36, s29
	v_add_u32_e32 v18, 16, v14
	v_mov_b32_e32 v2, s13
	v_add_co_u32_e32 v43, vcc, s12, v0
	s_mov_b32 s49, s30
	v_cmp_le_i32_e64 s[0:1], s29, v14
	v_cmp_le_i64_e64 s[2:3], s[36:37], v[16:17]
	v_add_u32_e32 v42, v41, v39
	v_cmp_gt_i32_e64 s[4:5], s29, v14
	v_cmp_gt_i32_e64 s[14:15], s29, v18
	v_ashrrev_i32_e32 v19, 31, v18
	v_lshl_add_u32 v30, s7, 5, v36
	v_addc_co_u32_e32 v44, vcc, v2, v1, vcc
	v_mov_b32_e32 v45, 0
	v_mov_b32_e32 v46, 1.0
	s_branch .LBB5_4
.LBB5_3:                                ;   in Loop: Header=BB5_4 Depth=1
	s_or_b64 exec, exec, s[8:9]
	s_add_i32 s7, s50, s7
	s_cmp_le_i32 s7, s33
	v_add_u32_e32 v30, s51, v30
	s_cbranch_scc0 .LBB5_63
.LBB5_4:                                ; =>This Loop Header: Depth=1
                                        ;     Child Loop BB5_7 Depth 2
	v_lshl_add_u32 v47, s7, 5, v36
	v_ashrrev_i32_e32 v50, 31, v47
	s_andn2_b64 vcc, exec, s[18:19]
	v_mov_b32_e32 v51, 0
	v_mov_b32_e32 v49, 0
	v_mov_b32_e32 v48, 0
	v_mov_b32_e32 v31, 0
	s_cbranch_vccnz .LBB5_55
; %bb.5:                                ;   in Loop: Header=BB5_4 Depth=1
	v_ashrrev_i32_e32 v31, 31, v30
	v_mad_u64_u32 v[32:33], s[8:9], s20, v30, v[28:29]
	v_mul_lo_u32 v0, s21, v30
	v_mul_lo_u32 v1, s20, v31
	v_add3_u32 v33, v0, v33, v1
	v_lshlrev_b64 v[0:1], 2, v[30:31]
	v_add_co_u32_e32 v0, vcc, 64, v0
	v_addc_co_u32_e32 v1, vcc, 0, v1, vcc
	v_mul_lo_u32 v1, s24, v1
	v_mul_lo_u32 v2, s25, v0
	v_mad_u64_u32 v[34:35], s[8:9], s24, v0, v[28:29]
	v_add3_u32 v35, v2, v35, v1
	v_mov_b32_e32 v1, s48
	v_sub_co_u32_e32 v0, vcc, s49, v47
	v_subb_co_u32_e32 v1, vcc, v1, v50, vcc
	s_mov_b64 s[22:23], 0
	v_cmp_lt_i64_e32 vcc, 0, v[0:1]
	v_cmp_lt_i64_e64 s[8:9], 16, v[0:1]
	v_mov_b32_e32 v31, 0
	s_mov_b64 s[26:27], 0
	v_mov_b32_e32 v48, 0
	v_mov_b32_e32 v49, 0
	;; [unrolled: 1-line block ×3, first 2 shown]
	s_branch .LBB5_7
.LBB5_6:                                ;   in Loop: Header=BB5_7 Depth=2
	s_or_b64 exec, exec, s[12:13]
	s_waitcnt lgkmcnt(0)
	s_barrier
	ds_read_b128 v[52:55], v41
	ds_read_b128 v[8:11], v41 offset:16
	ds_read_b128 v[4:7], v41 offset:32
	;; [unrolled: 1-line block ×3, first 2 shown]
	ds_read2_b32 v[60:61], v39 offset1:16
	ds_read_b128 v[56:59], v41 offset:2048
	s_add_u32 s26, s26, 32
	s_addc_u32 s27, s27, 0
	s_add_u32 s22, s22, 0x80
	s_waitcnt lgkmcnt(1)
	v_fmac_f32_e32 v51, v60, v52
	v_fmac_f32_e32 v49, v61, v52
	s_waitcnt lgkmcnt(0)
	v_fmac_f32_e32 v48, v60, v56
	v_fmac_f32_e32 v31, v61, v56
	ds_read2_b32 v[60:61], v39 offset0:32 offset1:48
	s_addc_u32 s23, s23, 0
	s_cmp_ge_i32 s26, s6
	s_waitcnt lgkmcnt(0)
	v_fmac_f32_e32 v51, v60, v53
	v_fmac_f32_e32 v49, v61, v53
	ds_read2_b32 v[52:53], v39 offset0:64 offset1:80
	v_fmac_f32_e32 v48, v60, v57
	v_fmac_f32_e32 v31, v61, v57
	ds_read2_b32 v[56:57], v39 offset0:128 offset1:144
	s_waitcnt lgkmcnt(1)
	v_fmac_f32_e32 v51, v52, v54
	v_fmac_f32_e32 v49, v53, v54
	;; [unrolled: 1-line block ×4, first 2 shown]
	ds_read2_b32 v[52:53], v39 offset0:96 offset1:112
	s_waitcnt lgkmcnt(0)
	v_fmac_f32_e32 v51, v52, v55
	v_fmac_f32_e32 v49, v53, v55
	;; [unrolled: 1-line block ×4, first 2 shown]
	ds_read_b128 v[52:55], v41 offset:2064
	v_fmac_f32_e32 v51, v56, v8
	v_fmac_f32_e32 v49, v57, v8
	s_waitcnt lgkmcnt(0)
	v_fmac_f32_e32 v48, v56, v52
	v_fmac_f32_e32 v31, v57, v52
	ds_read2_b32 v[56:57], v39 offset0:160 offset1:176
	s_waitcnt lgkmcnt(0)
	v_fmac_f32_e32 v51, v56, v9
	v_fmac_f32_e32 v49, v57, v9
	ds_read2_b32 v[8:9], v39 offset0:192 offset1:208
	v_fmac_f32_e32 v48, v56, v53
	v_fmac_f32_e32 v31, v57, v53
	s_waitcnt lgkmcnt(0)
	v_fmac_f32_e32 v51, v8, v10
	v_fmac_f32_e32 v49, v9, v10
	;; [unrolled: 1-line block ×4, first 2 shown]
	ds_read2_b32 v[8:9], v39 offset0:224 offset1:240
	v_add_u32_e32 v54, 0x400, v39
	ds_read2_b32 v[52:53], v54 offset1:16
	s_waitcnt lgkmcnt(1)
	v_fmac_f32_e32 v51, v8, v11
	v_fmac_f32_e32 v49, v9, v11
	;; [unrolled: 1-line block ×4, first 2 shown]
	ds_read_b128 v[8:11], v41 offset:2080
	s_waitcnt lgkmcnt(1)
	v_fmac_f32_e32 v51, v52, v4
	v_fmac_f32_e32 v49, v53, v4
	s_waitcnt lgkmcnt(0)
	v_fmac_f32_e32 v48, v52, v8
	v_fmac_f32_e32 v31, v53, v8
	ds_read2_b32 v[52:53], v54 offset0:32 offset1:48
	s_waitcnt lgkmcnt(0)
	v_fmac_f32_e32 v51, v52, v5
	v_fmac_f32_e32 v49, v53, v5
	ds_read2_b32 v[4:5], v54 offset0:64 offset1:80
	v_fmac_f32_e32 v48, v52, v9
	v_fmac_f32_e32 v31, v53, v9
	ds_read2_b32 v[8:9], v54 offset0:128 offset1:144
	s_waitcnt lgkmcnt(1)
	v_fmac_f32_e32 v51, v4, v6
	v_fmac_f32_e32 v49, v5, v6
	;; [unrolled: 1-line block ×4, first 2 shown]
	ds_read2_b32 v[4:5], v54 offset0:96 offset1:112
	v_add_u32_e32 v10, 0x800, v39
	s_waitcnt lgkmcnt(0)
	v_fmac_f32_e32 v51, v4, v7
	v_fmac_f32_e32 v49, v5, v7
	;; [unrolled: 1-line block ×4, first 2 shown]
	ds_read_b128 v[4:7], v41 offset:2096
	v_fmac_f32_e32 v51, v8, v0
	v_fmac_f32_e32 v49, v9, v0
	s_waitcnt lgkmcnt(0)
	v_fmac_f32_e32 v48, v8, v4
	v_fmac_f32_e32 v31, v9, v4
	ds_read2_b32 v[8:9], v54 offset0:160 offset1:176
	s_waitcnt lgkmcnt(0)
	v_fmac_f32_e32 v51, v8, v1
	v_fmac_f32_e32 v49, v9, v1
	ds_read2_b32 v[0:1], v54 offset0:192 offset1:208
	v_fmac_f32_e32 v48, v8, v5
	v_fmac_f32_e32 v31, v9, v5
	ds_read2_b32 v[8:9], v10 offset1:16
	s_waitcnt lgkmcnt(1)
	v_fmac_f32_e32 v51, v0, v2
	v_fmac_f32_e32 v49, v1, v2
	;; [unrolled: 1-line block ×4, first 2 shown]
	ds_read2_b32 v[0:1], v54 offset0:224 offset1:240
	s_waitcnt lgkmcnt(0)
	v_fmac_f32_e32 v51, v0, v3
	v_fmac_f32_e32 v49, v1, v3
	;; [unrolled: 1-line block ×4, first 2 shown]
	ds_read_b128 v[0:3], v41 offset:64
	ds_read_b128 v[4:7], v41 offset:2112
	s_waitcnt lgkmcnt(1)
	v_fmac_f32_e32 v51, v8, v0
	v_fmac_f32_e32 v49, v9, v0
	s_waitcnt lgkmcnt(0)
	v_fmac_f32_e32 v48, v8, v4
	v_fmac_f32_e32 v31, v9, v4
	ds_read2_b32 v[8:9], v10 offset0:32 offset1:48
	s_waitcnt lgkmcnt(0)
	v_fmac_f32_e32 v51, v8, v1
	v_fmac_f32_e32 v49, v9, v1
	ds_read2_b32 v[0:1], v10 offset0:64 offset1:80
	v_fmac_f32_e32 v48, v8, v5
	v_fmac_f32_e32 v31, v9, v5
	s_waitcnt lgkmcnt(0)
	v_fmac_f32_e32 v51, v0, v2
	v_fmac_f32_e32 v49, v1, v2
	;; [unrolled: 1-line block ×4, first 2 shown]
	ds_read2_b32 v[0:1], v10 offset0:96 offset1:112
	s_waitcnt lgkmcnt(0)
	v_fmac_f32_e32 v51, v0, v3
	v_fmac_f32_e32 v49, v1, v3
	v_fmac_f32_e32 v48, v0, v7
	v_fmac_f32_e32 v31, v1, v7
	ds_read_b128 v[0:3], v41 offset:80
	ds_read2_b32 v[8:9], v10 offset0:128 offset1:144
	ds_read_b128 v[4:7], v41 offset:2128
	s_waitcnt lgkmcnt(1)
	v_fmac_f32_e32 v51, v8, v0
	v_fmac_f32_e32 v49, v9, v0
	s_waitcnt lgkmcnt(0)
	v_fmac_f32_e32 v48, v8, v4
	v_fmac_f32_e32 v31, v9, v4
	ds_read2_b32 v[8:9], v10 offset0:160 offset1:176
	s_waitcnt lgkmcnt(0)
	v_fmac_f32_e32 v51, v8, v1
	v_fmac_f32_e32 v49, v9, v1
	ds_read2_b32 v[0:1], v10 offset0:192 offset1:208
	v_fmac_f32_e32 v48, v8, v5
	v_fmac_f32_e32 v31, v9, v5
	s_waitcnt lgkmcnt(0)
	v_fmac_f32_e32 v51, v0, v2
	v_fmac_f32_e32 v49, v1, v2
	;; [unrolled: 1-line block ×4, first 2 shown]
	ds_read2_b32 v[0:1], v10 offset0:224 offset1:240
	v_add_u32_e32 v10, 0xc00, v39
	ds_read2_b32 v[8:9], v10 offset1:16
	s_waitcnt lgkmcnt(1)
	v_fmac_f32_e32 v51, v0, v3
	v_fmac_f32_e32 v49, v1, v3
	v_fmac_f32_e32 v48, v0, v7
	v_fmac_f32_e32 v31, v1, v7
	ds_read_b128 v[0:3], v41 offset:96
	ds_read_b128 v[4:7], v41 offset:2144
	s_waitcnt lgkmcnt(1)
	v_fmac_f32_e32 v51, v8, v0
	v_fmac_f32_e32 v49, v9, v0
	s_waitcnt lgkmcnt(0)
	v_fmac_f32_e32 v48, v8, v4
	v_fmac_f32_e32 v31, v9, v4
	ds_read2_b32 v[8:9], v10 offset0:32 offset1:48
	s_waitcnt lgkmcnt(0)
	v_fmac_f32_e32 v51, v8, v1
	v_fmac_f32_e32 v49, v9, v1
	ds_read2_b32 v[0:1], v10 offset0:64 offset1:80
	v_fmac_f32_e32 v48, v8, v5
	v_fmac_f32_e32 v31, v9, v5
	s_waitcnt lgkmcnt(0)
	v_fmac_f32_e32 v51, v0, v2
	v_fmac_f32_e32 v49, v1, v2
	;; [unrolled: 1-line block ×4, first 2 shown]
	ds_read2_b32 v[0:1], v10 offset0:96 offset1:112
	s_waitcnt lgkmcnt(0)
	v_fmac_f32_e32 v51, v0, v3
	v_fmac_f32_e32 v49, v1, v3
	;; [unrolled: 1-line block ×4, first 2 shown]
	ds_read_b128 v[0:3], v41 offset:112
	ds_read2_b32 v[8:9], v10 offset0:128 offset1:144
	ds_read_b128 v[4:7], v41 offset:2160
	s_waitcnt lgkmcnt(1)
	v_fmac_f32_e32 v51, v8, v0
	v_fmac_f32_e32 v49, v9, v0
	s_waitcnt lgkmcnt(0)
	v_fmac_f32_e32 v48, v8, v4
	v_fmac_f32_e32 v31, v9, v4
	ds_read2_b32 v[8:9], v10 offset0:160 offset1:176
	s_waitcnt lgkmcnt(0)
	v_fmac_f32_e32 v51, v8, v1
	v_fmac_f32_e32 v49, v9, v1
	ds_read2_b32 v[0:1], v10 offset0:192 offset1:208
	v_fmac_f32_e32 v48, v8, v5
	v_fmac_f32_e32 v31, v9, v5
	s_waitcnt lgkmcnt(0)
	v_fmac_f32_e32 v51, v0, v2
	v_fmac_f32_e32 v49, v1, v2
	;; [unrolled: 1-line block ×4, first 2 shown]
	ds_read2_b32 v[0:1], v10 offset0:224 offset1:240
	s_waitcnt lgkmcnt(0)
	s_barrier
	v_fmac_f32_e32 v51, v0, v3
	v_fmac_f32_e32 v49, v1, v3
	;; [unrolled: 1-line block ×4, first 2 shown]
	s_cbranch_scc1 .LBB5_55
.LBB5_7:                                ;   Parent Loop BB5_4 Depth=1
                                        ; =>  This Inner Loop Header: Depth=2
	v_mov_b32_e32 v0, s27
	v_add_co_u32_e64 v2, s[10:11], s26, v12
	v_addc_co_u32_e64 v3, s[10:11], v13, v0, s[10:11]
	v_mov_b32_e32 v1, s23
	v_add_co_u32_e64 v0, s[10:11], s22, v37
	v_addc_co_u32_e64 v1, s[10:11], v38, v1, s[10:11]
	v_cmp_eq_u64_e64 s[10:11], s[26:27], v[20:21]
	v_cmp_le_i64_e64 s[12:13], s[36:37], v[2:3]
	s_and_b64 s[42:43], s[34:35], s[10:11]
	v_cmp_lt_i64_e64 s[10:11], v[2:3], v[14:15]
	s_or_b64 s[16:17], s[12:13], s[10:11]
	s_or_b64 s[16:17], s[16:17], s[42:43]
	;; [unrolled: 1-line block ×3, first 2 shown]
	s_xor_b64 s[16:17], s[16:17], -1
	s_and_saveexec_b64 s[28:29], s[16:17]
	s_xor_b64 s[16:17], exec, s[28:29]
	s_cbranch_execz .LBB5_9
; %bb.8:                                ;   in Loop: Header=BB5_7 Depth=2
	global_load_dword v4, v[0:1], off
	s_waitcnt vmcnt(0)
	ds_write_b32 v40, v4
.LBB5_9:                                ;   in Loop: Header=BB5_7 Depth=2
	s_or_saveexec_b64 s[16:17], s[16:17]
	s_xor_b64 s[28:29], s[42:43], -1
	s_xor_b64 exec, exec, s[16:17]
	s_cbranch_execz .LBB5_15
; %bb.10:                               ;   in Loop: Header=BB5_7 Depth=2
	s_and_saveexec_b64 s[44:45], s[28:29]
	s_xor_b64 s[44:45], exec, s[44:45]
	s_cbranch_execz .LBB5_12
; %bb.11:                               ;   in Loop: Header=BB5_7 Depth=2
	ds_write_b32 v40, v45
.LBB5_12:                               ;   in Loop: Header=BB5_7 Depth=2
	s_andn2_saveexec_b64 s[44:45], s[44:45]
	s_cbranch_execz .LBB5_14
; %bb.13:                               ;   in Loop: Header=BB5_7 Depth=2
	ds_write_b32 v40, v46
.LBB5_14:                               ;   in Loop: Header=BB5_7 Depth=2
	s_or_b64 exec, exec, s[44:45]
.LBB5_15:                               ;   in Loop: Header=BB5_7 Depth=2
	s_or_b64 exec, exec, s[16:17]
	v_cmp_eq_u64_e64 s[16:17], s[26:27], v[22:23]
	s_and_b64 s[44:45], s[34:35], s[16:17]
	v_cmp_gt_i64_e64 s[16:17], v[16:17], v[2:3]
	s_or_b64 s[12:13], s[12:13], s[16:17]
	s_or_b64 s[12:13], s[12:13], s[44:45]
	;; [unrolled: 1-line block ×3, first 2 shown]
	s_xor_b64 s[12:13], s[12:13], -1
	s_and_saveexec_b64 s[16:17], s[12:13]
	s_xor_b64 s[16:17], exec, s[16:17]
	s_cbranch_execz .LBB5_17
; %bb.16:                               ;   in Loop: Header=BB5_7 Depth=2
	v_mov_b32_e32 v5, s23
	v_add_co_u32_e64 v4, s[12:13], s22, v43
	v_addc_co_u32_e64 v5, s[12:13], v44, v5, s[12:13]
	global_load_dword v4, v[4:5], off
	s_waitcnt vmcnt(0)
	ds_write_b32 v40, v4 offset:64
.LBB5_17:                               ;   in Loop: Header=BB5_7 Depth=2
	s_andn2_saveexec_b64 s[12:13], s[16:17]
	s_cbranch_execz .LBB5_23
; %bb.18:                               ;   in Loop: Header=BB5_7 Depth=2
	s_xor_b64 s[16:17], s[44:45], -1
	s_and_saveexec_b64 s[44:45], s[16:17]
	s_xor_b64 s[16:17], exec, s[44:45]
	s_cbranch_execz .LBB5_20
; %bb.19:                               ;   in Loop: Header=BB5_7 Depth=2
	ds_write_b32 v40, v45 offset:64
.LBB5_20:                               ;   in Loop: Header=BB5_7 Depth=2
	s_andn2_saveexec_b64 s[16:17], s[16:17]
	s_cbranch_execz .LBB5_22
; %bb.21:                               ;   in Loop: Header=BB5_7 Depth=2
	ds_write_b32 v40, v46 offset:64
.LBB5_22:                               ;   in Loop: Header=BB5_7 Depth=2
	s_or_b64 exec, exec, s[16:17]
.LBB5_23:                               ;   in Loop: Header=BB5_7 Depth=2
	s_or_b64 exec, exec, s[12:13]
	v_add_co_u32_e64 v2, s[12:13], 16, v2
	v_addc_co_u32_e64 v3, s[12:13], 0, v3, s[12:13]
	v_cmp_eq_u64_e64 s[16:17], s[26:27], v[24:25]
	v_cmp_le_i64_e64 s[12:13], s[36:37], v[2:3]
	s_and_b64 s[44:45], s[34:35], s[16:17]
	v_cmp_lt_i64_e64 s[16:17], v[2:3], v[14:15]
	s_or_b64 s[16:17], s[12:13], s[16:17]
	s_or_b64 s[16:17], s[16:17], s[44:45]
	;; [unrolled: 1-line block ×3, first 2 shown]
	s_xor_b64 s[16:17], s[16:17], -1
	s_and_saveexec_b64 s[52:53], s[16:17]
	s_xor_b64 s[16:17], exec, s[52:53]
	s_cbranch_execz .LBB5_25
; %bb.24:                               ;   in Loop: Header=BB5_7 Depth=2
	global_load_dword v0, v[0:1], off offset:64
	s_waitcnt vmcnt(0)
	ds_write_b32 v40, v0 offset:2048
.LBB5_25:                               ;   in Loop: Header=BB5_7 Depth=2
	s_andn2_saveexec_b64 s[16:17], s[16:17]
	s_cbranch_execz .LBB5_31
; %bb.26:                               ;   in Loop: Header=BB5_7 Depth=2
	s_xor_b64 s[44:45], s[44:45], -1
	s_and_saveexec_b64 s[52:53], s[44:45]
	s_xor_b64 s[44:45], exec, s[52:53]
	s_cbranch_execz .LBB5_28
; %bb.27:                               ;   in Loop: Header=BB5_7 Depth=2
	ds_write_b32 v40, v45 offset:2048
.LBB5_28:                               ;   in Loop: Header=BB5_7 Depth=2
	s_andn2_saveexec_b64 s[44:45], s[44:45]
	s_cbranch_execz .LBB5_30
; %bb.29:                               ;   in Loop: Header=BB5_7 Depth=2
	ds_write_b32 v40, v46 offset:2048
.LBB5_30:                               ;   in Loop: Header=BB5_7 Depth=2
	s_or_b64 exec, exec, s[44:45]
.LBB5_31:                               ;   in Loop: Header=BB5_7 Depth=2
	s_or_b64 exec, exec, s[16:17]
	s_or_b64 s[10:11], s[12:13], s[10:11]
	s_or_b64 s[10:11], s[10:11], s[42:43]
	;; [unrolled: 1-line block ×3, first 2 shown]
	s_xor_b64 s[10:11], s[10:11], -1
	s_and_saveexec_b64 s[12:13], s[10:11]
	s_xor_b64 s[12:13], exec, s[12:13]
	s_cbranch_execz .LBB5_33
; %bb.32:                               ;   in Loop: Header=BB5_7 Depth=2
	v_mov_b32_e32 v1, s23
	v_add_co_u32_e64 v0, s[10:11], s22, v43
	v_addc_co_u32_e64 v1, s[10:11], v44, v1, s[10:11]
	global_load_dword v0, v[0:1], off offset:64
	s_waitcnt vmcnt(0)
	ds_write_b32 v40, v0 offset:2112
.LBB5_33:                               ;   in Loop: Header=BB5_7 Depth=2
	s_andn2_saveexec_b64 s[10:11], s[12:13]
	s_cbranch_execz .LBB5_39
; %bb.34:                               ;   in Loop: Header=BB5_7 Depth=2
	s_and_saveexec_b64 s[12:13], s[28:29]
	s_xor_b64 s[12:13], exec, s[12:13]
	s_cbranch_execz .LBB5_36
; %bb.35:                               ;   in Loop: Header=BB5_7 Depth=2
	ds_write_b32 v40, v45 offset:2112
.LBB5_36:                               ;   in Loop: Header=BB5_7 Depth=2
	s_andn2_saveexec_b64 s[12:13], s[12:13]
	s_cbranch_execz .LBB5_38
; %bb.37:                               ;   in Loop: Header=BB5_7 Depth=2
	ds_write_b32 v40, v46 offset:2112
.LBB5_38:                               ;   in Loop: Header=BB5_7 Depth=2
	s_or_b64 exec, exec, s[12:13]
.LBB5_39:                               ;   in Loop: Header=BB5_7 Depth=2
	s_or_b64 exec, exec, s[10:11]
	v_mov_b32_e32 v1, s27
	v_add_co_u32_e64 v0, s[10:11], s26, v14
	v_addc_co_u32_e64 v1, s[10:11], v15, v1, s[10:11]
	v_cmp_gt_i64_e64 s[10:11], s[36:37], v[0:1]
	s_and_b64 s[12:13], vcc, s[10:11]
	s_xor_b64 s[12:13], s[12:13], -1
	s_and_saveexec_b64 s[16:17], s[12:13]
	s_xor_b64 s[12:13], exec, s[16:17]
	s_cbranch_execz .LBB5_41
; %bb.40:                               ;   in Loop: Header=BB5_7 Depth=2
	ds_write_b32 v42, v45
.LBB5_41:                               ;   in Loop: Header=BB5_7 Depth=2
	s_or_saveexec_b64 s[16:17], s[12:13]
	v_mov_b32_e32 v3, s23
	v_add_co_u32_e64 v2, s[12:13], s22, v32
	v_addc_co_u32_e64 v3, s[12:13], v33, v3, s[12:13]
	s_xor_b64 exec, exec, s[16:17]
	s_cbranch_execz .LBB5_43
; %bb.42:                               ;   in Loop: Header=BB5_7 Depth=2
	global_load_dword v4, v[2:3], off offset:-64
	s_waitcnt vmcnt(0)
	ds_write_b32 v42, v4
.LBB5_43:                               ;   in Loop: Header=BB5_7 Depth=2
	s_or_b64 exec, exec, s[16:17]
	v_cmp_gt_i64_e64 s[12:13], s[38:39], v[0:1]
	s_and_b64 s[16:17], vcc, s[12:13]
	s_xor_b64 s[16:17], s[16:17], -1
	s_and_saveexec_b64 s[28:29], s[16:17]
	s_xor_b64 s[16:17], exec, s[28:29]
	s_cbranch_execz .LBB5_45
; %bb.44:                               ;   in Loop: Header=BB5_7 Depth=2
	ds_write_b32 v42, v45 offset:64
                                        ; implicit-def: $vgpr2_vgpr3
.LBB5_45:                               ;   in Loop: Header=BB5_7 Depth=2
	s_andn2_saveexec_b64 s[16:17], s[16:17]
	s_cbranch_execz .LBB5_47
; %bb.46:                               ;   in Loop: Header=BB5_7 Depth=2
	global_load_dword v0, v[2:3], off
	s_waitcnt vmcnt(0)
	ds_write_b32 v42, v0 offset:64
.LBB5_47:                               ;   in Loop: Header=BB5_7 Depth=2
	s_or_b64 exec, exec, s[16:17]
	s_and_b64 s[10:11], s[8:9], s[10:11]
	s_xor_b64 s[10:11], s[10:11], -1
	s_and_saveexec_b64 s[16:17], s[10:11]
	s_xor_b64 s[10:11], exec, s[16:17]
	s_cbranch_execz .LBB5_49
; %bb.48:                               ;   in Loop: Header=BB5_7 Depth=2
	ds_write_b32 v42, v45 offset:2048
.LBB5_49:                               ;   in Loop: Header=BB5_7 Depth=2
	s_andn2_saveexec_b64 s[16:17], s[10:11]
	s_cbranch_execz .LBB5_51
; %bb.50:                               ;   in Loop: Header=BB5_7 Depth=2
	v_mov_b32_e32 v1, s23
	v_add_co_u32_e64 v0, s[10:11], s22, v34
	v_addc_co_u32_e64 v1, s[10:11], v35, v1, s[10:11]
	global_load_dword v0, v[0:1], off offset:-64
	s_waitcnt vmcnt(0)
	ds_write_b32 v42, v0 offset:2048
.LBB5_51:                               ;   in Loop: Header=BB5_7 Depth=2
	s_or_b64 exec, exec, s[16:17]
	s_and_b64 s[10:11], s[8:9], s[12:13]
	s_xor_b64 s[10:11], s[10:11], -1
	s_and_saveexec_b64 s[12:13], s[10:11]
	s_xor_b64 s[10:11], exec, s[12:13]
	s_cbranch_execz .LBB5_53
; %bb.52:                               ;   in Loop: Header=BB5_7 Depth=2
	ds_write_b32 v42, v45 offset:2112
.LBB5_53:                               ;   in Loop: Header=BB5_7 Depth=2
	s_andn2_saveexec_b64 s[12:13], s[10:11]
	s_cbranch_execz .LBB5_6
; %bb.54:                               ;   in Loop: Header=BB5_7 Depth=2
	v_mov_b32_e32 v1, s23
	v_add_co_u32_e64 v0, s[10:11], s22, v34
	v_addc_co_u32_e64 v1, s[10:11], v35, v1, s[10:11]
	global_load_dword v0, v[0:1], off
	s_waitcnt vmcnt(0)
	ds_write_b32 v42, v0 offset:2112
	s_branch .LBB5_6
.LBB5_55:                               ;   in Loop: Header=BB5_4 Depth=1
	v_mul_lo_u32 v2, v50, s40
	v_mul_lo_u32 v3, v47, s41
	v_mad_u64_u32 v[0:1], s[8:9], v47, s40, 0
	v_add3_u32 v1, v1, v3, v2
	v_lshlrev_b64 v[0:1], 2, v[0:1]
	v_mov_b32_e32 v2, s47
	v_add_co_u32_e64 v0, s[8:9], s46, v0
	v_cmp_gt_i32_e32 vcc, s30, v47
	v_addc_co_u32_e64 v1, s[8:9], v2, v1, s[8:9]
	s_and_b64 s[8:9], s[4:5], vcc
	s_and_saveexec_b64 s[10:11], s[8:9]
	s_cbranch_execz .LBB5_57
; %bb.56:                               ;   in Loop: Header=BB5_4 Depth=1
	v_add_co_u32_e64 v2, s[8:9], v0, v26
	v_addc_co_u32_e64 v3, s[8:9], v1, v27, s[8:9]
	global_load_dword v4, v[2:3], off
	s_waitcnt vmcnt(0)
	v_fmac_f32_e32 v4, s31, v51
	global_store_dword v[2:3], v4, off
.LBB5_57:                               ;   in Loop: Header=BB5_4 Depth=1
	s_or_b64 exec, exec, s[10:11]
	s_and_b64 s[10:11], s[14:15], vcc
	s_and_saveexec_b64 s[8:9], s[10:11]
	s_cbranch_execz .LBB5_59
; %bb.58:                               ;   in Loop: Header=BB5_4 Depth=1
	v_lshlrev_b64 v[2:3], 2, v[18:19]
	v_add_co_u32_e32 v0, vcc, v0, v2
	v_addc_co_u32_e32 v1, vcc, v1, v3, vcc
	global_load_dword v2, v[0:1], off
	s_waitcnt vmcnt(0)
	v_fmac_f32_e32 v2, s31, v49
	global_store_dword v[0:1], v2, off
.LBB5_59:                               ;   in Loop: Header=BB5_4 Depth=1
	s_or_b64 exec, exec, s[8:9]
	v_add_u32_e32 v0, 16, v47
	v_ashrrev_i32_e32 v1, 31, v0
	v_cmp_gt_i32_e32 vcc, s30, v0
	v_mul_lo_u32 v2, v1, s40
	v_mul_lo_u32 v3, v0, s41
	v_mad_u64_u32 v[0:1], s[8:9], v0, s40, 0
	v_add3_u32 v1, v1, v3, v2
	v_lshlrev_b64 v[0:1], 2, v[0:1]
	v_mov_b32_e32 v2, s47
	v_add_co_u32_e64 v0, s[8:9], s46, v0
	v_addc_co_u32_e64 v1, s[8:9], v2, v1, s[8:9]
	s_and_b64 s[8:9], s[4:5], vcc
	s_and_saveexec_b64 s[10:11], s[8:9]
	s_cbranch_execz .LBB5_61
; %bb.60:                               ;   in Loop: Header=BB5_4 Depth=1
	v_add_co_u32_e64 v2, s[8:9], v0, v26
	v_addc_co_u32_e64 v3, s[8:9], v1, v27, s[8:9]
	global_load_dword v4, v[2:3], off
	s_waitcnt vmcnt(0)
	v_fmac_f32_e32 v4, s31, v48
	global_store_dword v[2:3], v4, off
.LBB5_61:                               ;   in Loop: Header=BB5_4 Depth=1
	s_or_b64 exec, exec, s[10:11]
	s_and_b64 s[10:11], s[14:15], vcc
	s_and_saveexec_b64 s[8:9], s[10:11]
	s_cbranch_execz .LBB5_3
; %bb.62:                               ;   in Loop: Header=BB5_4 Depth=1
	v_lshlrev_b64 v[2:3], 2, v[18:19]
	v_add_co_u32_e32 v0, vcc, v0, v2
	v_addc_co_u32_e32 v1, vcc, v1, v3, vcc
	global_load_dword v2, v[0:1], off
	s_waitcnt vmcnt(0)
	v_fmac_f32_e32 v2, s31, v31
	global_store_dword v[0:1], v2, off
	s_branch .LBB5_3
.LBB5_63:
	s_endpgm
	.section	.rodata,"a",@progbits
	.p2align	6, 0x0
	.amdhsa_kernel _ZL30rocblas_trmm_outofplace_kernelIfLi32ELi2ELb1ELb0ELb1ELb0EfKffEv17rocblas_diagonal_iiT6_lPT7_lllS4_lllPT8_llli
		.amdhsa_group_segment_fixed_size 8192
		.amdhsa_private_segment_fixed_size 0
		.amdhsa_kernarg_size 384
		.amdhsa_user_sgpr_count 6
		.amdhsa_user_sgpr_private_segment_buffer 1
		.amdhsa_user_sgpr_dispatch_ptr 0
		.amdhsa_user_sgpr_queue_ptr 0
		.amdhsa_user_sgpr_kernarg_segment_ptr 1
		.amdhsa_user_sgpr_dispatch_id 0
		.amdhsa_user_sgpr_flat_scratch_init 0
		.amdhsa_user_sgpr_kernarg_preload_length 0
		.amdhsa_user_sgpr_kernarg_preload_offset 0
		.amdhsa_user_sgpr_private_segment_size 0
		.amdhsa_uses_dynamic_stack 0
		.amdhsa_system_sgpr_private_segment_wavefront_offset 0
		.amdhsa_system_sgpr_workgroup_id_x 1
		.amdhsa_system_sgpr_workgroup_id_y 1
		.amdhsa_system_sgpr_workgroup_id_z 1
		.amdhsa_system_sgpr_workgroup_info 0
		.amdhsa_system_vgpr_workitem_id 1
		.amdhsa_next_free_vgpr 62
		.amdhsa_next_free_sgpr 54
		.amdhsa_accum_offset 64
		.amdhsa_reserve_vcc 1
		.amdhsa_reserve_flat_scratch 0
		.amdhsa_float_round_mode_32 0
		.amdhsa_float_round_mode_16_64 0
		.amdhsa_float_denorm_mode_32 3
		.amdhsa_float_denorm_mode_16_64 3
		.amdhsa_dx10_clamp 1
		.amdhsa_ieee_mode 1
		.amdhsa_fp16_overflow 0
		.amdhsa_tg_split 0
		.amdhsa_exception_fp_ieee_invalid_op 0
		.amdhsa_exception_fp_denorm_src 0
		.amdhsa_exception_fp_ieee_div_zero 0
		.amdhsa_exception_fp_ieee_overflow 0
		.amdhsa_exception_fp_ieee_underflow 0
		.amdhsa_exception_fp_ieee_inexact 0
		.amdhsa_exception_int_div_zero 0
	.end_amdhsa_kernel
	.section	.text._ZL30rocblas_trmm_outofplace_kernelIfLi32ELi2ELb1ELb0ELb1ELb0EfKffEv17rocblas_diagonal_iiT6_lPT7_lllS4_lllPT8_llli,"axG",@progbits,_ZL30rocblas_trmm_outofplace_kernelIfLi32ELi2ELb1ELb0ELb1ELb0EfKffEv17rocblas_diagonal_iiT6_lPT7_lllS4_lllPT8_llli,comdat
.Lfunc_end5:
	.size	_ZL30rocblas_trmm_outofplace_kernelIfLi32ELi2ELb1ELb0ELb1ELb0EfKffEv17rocblas_diagonal_iiT6_lPT7_lllS4_lllPT8_llli, .Lfunc_end5-_ZL30rocblas_trmm_outofplace_kernelIfLi32ELi2ELb1ELb0ELb1ELb0EfKffEv17rocblas_diagonal_iiT6_lPT7_lllS4_lllPT8_llli
                                        ; -- End function
	.section	.AMDGPU.csdata,"",@progbits
; Kernel info:
; codeLenInByte = 3172
; NumSgprs: 58
; NumVgprs: 62
; NumAgprs: 0
; TotalNumVgprs: 62
; ScratchSize: 0
; MemoryBound: 0
; FloatMode: 240
; IeeeMode: 1
; LDSByteSize: 8192 bytes/workgroup (compile time only)
; SGPRBlocks: 7
; VGPRBlocks: 7
; NumSGPRsForWavesPerEU: 58
; NumVGPRsForWavesPerEU: 62
; AccumOffset: 64
; Occupancy: 8
; WaveLimiterHint : 0
; COMPUTE_PGM_RSRC2:SCRATCH_EN: 0
; COMPUTE_PGM_RSRC2:USER_SGPR: 6
; COMPUTE_PGM_RSRC2:TRAP_HANDLER: 0
; COMPUTE_PGM_RSRC2:TGID_X_EN: 1
; COMPUTE_PGM_RSRC2:TGID_Y_EN: 1
; COMPUTE_PGM_RSRC2:TGID_Z_EN: 1
; COMPUTE_PGM_RSRC2:TIDIG_COMP_CNT: 1
; COMPUTE_PGM_RSRC3_GFX90A:ACCUM_OFFSET: 15
; COMPUTE_PGM_RSRC3_GFX90A:TG_SPLIT: 0
	.section	.text._ZL30rocblas_trmm_outofplace_kernelIfLi32ELi2ELb1ELb1ELb1ELb0EPKfS0_fEv17rocblas_diagonal_iiT6_lPT7_lllS5_lllPT8_llli,"axG",@progbits,_ZL30rocblas_trmm_outofplace_kernelIfLi32ELi2ELb1ELb1ELb1ELb0EPKfS0_fEv17rocblas_diagonal_iiT6_lPT7_lllS5_lllPT8_llli,comdat
	.globl	_ZL30rocblas_trmm_outofplace_kernelIfLi32ELi2ELb1ELb1ELb1ELb0EPKfS0_fEv17rocblas_diagonal_iiT6_lPT7_lllS5_lllPT8_llli ; -- Begin function _ZL30rocblas_trmm_outofplace_kernelIfLi32ELi2ELb1ELb1ELb1ELb0EPKfS0_fEv17rocblas_diagonal_iiT6_lPT7_lllS5_lllPT8_llli
	.p2align	8
	.type	_ZL30rocblas_trmm_outofplace_kernelIfLi32ELi2ELb1ELb1ELb1ELb0EPKfS0_fEv17rocblas_diagonal_iiT6_lPT7_lllS5_lllPT8_llli,@function
_ZL30rocblas_trmm_outofplace_kernelIfLi32ELi2ELb1ELb1ELb1ELb0EPKfS0_fEv17rocblas_diagonal_iiT6_lPT7_lllS5_lllPT8_llli: ; @_ZL30rocblas_trmm_outofplace_kernelIfLi32ELi2ELb1ELb1ELb1ELb0EPKfS0_fEv17rocblas_diagonal_iiT6_lPT7_lllS5_lllPT8_llli
; %bb.0:
	s_load_dwordx16 s[12:27], s[4:5], 0x10
	s_waitcnt lgkmcnt(0)
	s_mul_i32 s0, s8, s15
	s_mul_hi_u32 s1, s8, s14
	s_add_i32 s1, s1, s0
	s_mul_i32 s0, s8, s14
	s_lshl_b64 s[0:1], s[0:1], 2
	s_add_u32 s0, s12, s0
	s_addc_u32 s1, s13, s1
	s_load_dword s33, s[0:1], 0x0
	s_waitcnt lgkmcnt(0)
	v_cmp_eq_f32_e64 s[0:1], s33, 0
	s_and_b64 vcc, exec, s[0:1]
	s_cbranch_vccnz .LBB6_63
; %bb.1:
	s_load_dwordx4 s[28:31], s[4:5], 0x0
	s_waitcnt lgkmcnt(0)
	s_add_i32 s0, s30, -1
	s_ashr_i32 s1, s0, 31
	s_lshr_b32 s1, s1, 27
	s_add_i32 s0, s0, s1
	s_ashr_i32 s31, s0, 5
	s_cmp_gt_i32 s7, s31
	s_cbranch_scc1 .LBB6_63
; %bb.2:
	s_mul_i32 s0, s8, s23
	s_mul_hi_u32 s1, s8, s22
	s_add_i32 s1, s1, s0
	s_mul_i32 s0, s8, s22
	s_load_dwordx4 s[44:47], s[4:5], 0x70
	s_load_dword s48, s[4:5], 0x8c
	s_lshl_b64 s[10:11], s[0:1], 2
	s_add_u32 s0, s16, s10
	s_load_dwordx8 s[36:43], s[4:5], 0x50
	s_addc_u32 s1, s17, s11
	s_lshl_b64 s[12:13], s[18:19], 2
	s_add_u32 s2, s0, s12
	s_addc_u32 s3, s1, s13
	s_waitcnt lgkmcnt(0)
	s_mul_i32 s0, s8, s47
	s_mul_hi_u32 s1, s8, s46
	s_add_i32 s1, s1, s0
	s_mul_i32 s0, s8, s46
	s_lshl_b64 s[0:1], s[0:1], 2
	s_add_u32 s4, s40, s0
	s_addc_u32 s5, s41, s1
	s_lshl_b64 s[0:1], s[42:43], 2
	s_add_u32 s46, s4, s0
	s_addc_u32 s47, s5, s1
	s_lshl_b32 s49, s6, 5
	v_and_b32_e32 v14, 0x3ff, v0
	v_add_u32_e32 v16, s49, v14
	v_ashrrev_i32_e32 v17, 31, v16
	v_bfe_u32 v12, v0, 10, 10
	v_mul_lo_u32 v2, v17, s20
	v_mul_lo_u32 v3, v16, s21
	v_mad_u64_u32 v[0:1], s[0:1], v16, s20, 0
	v_add3_u32 v1, v1, v3, v2
	v_lshlrev_b64 v[0:1], 2, v[0:1]
	v_mov_b32_e32 v2, s3
	v_add_co_u32_e32 v0, vcc, s2, v0
	v_addc_co_u32_e32 v1, vcc, v2, v1, vcc
	v_lshlrev_b32_e32 v2, 2, v12
	v_add_co_u32_e32 v15, vcc, v0, v2
	s_cmp_gt_i32 s6, -1
	v_addc_co_u32_e32 v38, vcc, 0, v1, vcc
	s_cselect_b64 s[18:19], -1, 0
	s_cmpk_eq_i32 s28, 0x84
	s_cselect_b64 s[22:23], -1, 0
	s_ashr_i32 s35, s29, 31
	s_ashr_i32 s6, s30, 31
	v_add_co_u32_e32 v18, vcc, 16, v16
	v_addc_co_u32_e32 v19, vcc, 0, v17, vcc
	s_add_u32 s40, s29, -16
	s_mul_i32 s9, s39, s8
	s_mul_hi_u32 s28, s38, s8
	s_addc_u32 s41, s35, -1
	v_sub_co_u32_e32 v22, vcc, v16, v12
	s_add_i32 s9, s28, s9
	s_mul_i32 s8, s38, s8
	v_subbrev_co_u32_e32 v23, vcc, 0, v17, vcc
	s_lshl_b64 s[8:9], s[8:9], 2
	s_lshl_b64 s[26:27], s[26:27], 2
	v_add_co_u32_e32 v24, vcc, 16, v22
	s_add_u32 s8, s8, s26
	v_addc_co_u32_e32 v25, vcc, 0, v23, vcc
	s_addc_u32 s9, s9, s27
	v_add_co_u32_e32 v26, vcc, -16, v22
	s_add_u32 s8, s24, s8
	v_lshlrev_b32_e32 v0, 7, v12
	v_lshlrev_b32_e32 v39, 2, v14
	v_addc_co_u32_e32 v27, vcc, -1, v23, vcc
	s_addc_u32 s9, s25, s9
	v_add_u32_e32 v40, v39, v0
	v_add_u32_e32 v41, 0x1000, v0
	v_mov_b32_e32 v0, s9
	v_add_co_u32_e32 v1, vcc, s8, v39
	v_addc_co_u32_e32 v0, vcc, 0, v0, vcc
	v_add_co_u32_e32 v28, vcc, 64, v1
	v_addc_co_u32_e32 v29, vcc, 0, v0, vcc
	s_lshl_b64 s[24:25], s[36:37], 2
	s_lshl_b32 s50, s48, 5
	v_lshlrev_b64 v[32:33], 2, v[16:17]
	v_add_co_u32_e32 v3, vcc, 64, v32
	s_add_u32 s8, s12, s10
	v_addc_co_u32_e32 v0, vcc, 0, v33, vcc
	s_addc_u32 s9, s13, s11
	v_mul_lo_u32 v4, s20, v0
	v_pk_mov_b32 v[0:1], s[8:9], s[8:9] op_sel:[0,1]
	v_mul_lo_u32 v5, s21, v3
	v_mad_u64_u32 v[0:1], s[8:9], s20, v3, v[0:1]
	v_add3_u32 v1, v5, v1, v4
	v_add_co_u32_e32 v0, vcc, v0, v2
	v_addc_co_u32_e32 v1, vcc, 0, v1, vcc
	s_mov_b32 s34, s29
	v_add_u32_e32 v20, 16, v16
	v_mov_b32_e32 v2, s17
	v_add_co_u32_e32 v43, vcc, s16, v0
	v_mov_b32_e32 v13, 0
	v_cmp_le_i32_e64 s[0:1], s29, v16
	v_cmp_le_i64_e64 s[2:3], s[34:35], v[18:19]
	v_add_u32_e32 v42, v41, v39
	v_cmp_gt_i32_e64 s[4:5], s29, v16
	v_cmp_gt_i32_e64 s[14:15], s29, v20
	v_ashrrev_i32_e32 v21, 31, v20
	v_lshl_add_u32 v30, s7, 5, v12
	v_addc_co_u32_e32 v44, vcc, v2, v1, vcc
	v_mov_b32_e32 v45, 1.0
	s_branch .LBB6_4
.LBB6_3:                                ;   in Loop: Header=BB6_4 Depth=1
	s_or_b64 exec, exec, s[8:9]
	s_add_i32 s7, s48, s7
	s_cmp_le_i32 s7, s31
	v_add_u32_e32 v30, s50, v30
	s_cbranch_scc0 .LBB6_63
.LBB6_4:                                ; =>This Loop Header: Depth=1
                                        ;     Child Loop BB6_7 Depth 2
	v_lshl_add_u32 v46, s7, 5, v12
	v_ashrrev_i32_e32 v49, 31, v46
	s_andn2_b64 vcc, exec, s[18:19]
	v_mov_b32_e32 v50, 0
	v_mov_b32_e32 v48, 0
	;; [unrolled: 1-line block ×4, first 2 shown]
	s_cbranch_vccnz .LBB6_55
; %bb.5:                                ;   in Loop: Header=BB6_4 Depth=1
	v_ashrrev_i32_e32 v31, 31, v30
	v_mad_u64_u32 v[34:35], s[8:9], s24, v30, v[28:29]
	v_mul_lo_u32 v0, s25, v30
	v_mul_lo_u32 v1, s24, v31
	v_add3_u32 v35, v0, v35, v1
	v_lshlrev_b64 v[0:1], 2, v[30:31]
	v_add_co_u32_e32 v0, vcc, 64, v0
	v_addc_co_u32_e32 v1, vcc, 0, v1, vcc
	v_mul_lo_u32 v1, s36, v1
	v_mul_lo_u32 v2, s37, v0
	v_mad_u64_u32 v[36:37], s[8:9], s36, v0, v[28:29]
	v_add3_u32 v37, v2, v37, v1
	v_mov_b32_e32 v1, s6
	v_sub_co_u32_e32 v0, vcc, s30, v46
	v_subb_co_u32_e32 v1, vcc, v1, v49, vcc
	s_mov_b64 s[20:21], 0
	v_cmp_lt_i64_e32 vcc, 0, v[0:1]
	v_cmp_lt_i64_e64 s[8:9], 16, v[0:1]
	v_mov_b32_e32 v31, 0
	s_mov_b64 s[26:27], 0
	v_mov_b32_e32 v47, 0
	v_mov_b32_e32 v48, 0
	;; [unrolled: 1-line block ×3, first 2 shown]
	s_branch .LBB6_7
.LBB6_6:                                ;   in Loop: Header=BB6_7 Depth=2
	s_or_b64 exec, exec, s[12:13]
	s_waitcnt lgkmcnt(0)
	s_barrier
	ds_read_b128 v[52:55], v41
	ds_read_b128 v[8:11], v41 offset:16
	ds_read_b128 v[4:7], v41 offset:32
	;; [unrolled: 1-line block ×3, first 2 shown]
	ds_read2_b32 v[60:61], v39 offset1:16
	ds_read_b128 v[56:59], v41 offset:2048
	v_add_u32_e32 v51, 0x400, v39
	s_add_u32 s26, s26, 32
	s_addc_u32 s27, s27, 0
	s_waitcnt lgkmcnt(1)
	v_fmac_f32_e32 v50, v60, v52
	v_fmac_f32_e32 v48, v61, v52
	s_waitcnt lgkmcnt(0)
	v_fmac_f32_e32 v47, v60, v56
	v_fmac_f32_e32 v31, v61, v56
	ds_read2_b32 v[60:61], v39 offset0:32 offset1:48
	s_sub_i32 s10, s26, 32
	s_add_u32 s20, s20, 0x80
	s_addc_u32 s21, s21, 0
	s_cmp_ge_i32 s10, s49
	s_waitcnt lgkmcnt(0)
	v_fmac_f32_e32 v50, v60, v53
	v_fmac_f32_e32 v48, v61, v53
	ds_read2_b32 v[52:53], v39 offset0:64 offset1:80
	v_fmac_f32_e32 v47, v60, v57
	v_fmac_f32_e32 v31, v61, v57
	ds_read2_b32 v[56:57], v39 offset0:128 offset1:144
	s_waitcnt lgkmcnt(1)
	v_fmac_f32_e32 v50, v52, v54
	v_fmac_f32_e32 v48, v53, v54
	;; [unrolled: 1-line block ×4, first 2 shown]
	ds_read2_b32 v[52:53], v39 offset0:96 offset1:112
	s_waitcnt lgkmcnt(0)
	v_fmac_f32_e32 v50, v52, v55
	v_fmac_f32_e32 v48, v53, v55
	;; [unrolled: 1-line block ×4, first 2 shown]
	ds_read_b128 v[52:55], v41 offset:2064
	v_fmac_f32_e32 v50, v56, v8
	v_fmac_f32_e32 v48, v57, v8
	s_waitcnt lgkmcnt(0)
	v_fmac_f32_e32 v47, v56, v52
	v_fmac_f32_e32 v31, v57, v52
	ds_read2_b32 v[56:57], v39 offset0:160 offset1:176
	s_waitcnt lgkmcnt(0)
	v_fmac_f32_e32 v50, v56, v9
	v_fmac_f32_e32 v48, v57, v9
	ds_read2_b32 v[8:9], v39 offset0:192 offset1:208
	v_fmac_f32_e32 v47, v56, v53
	v_fmac_f32_e32 v31, v57, v53
	ds_read2_b32 v[52:53], v51 offset1:16
	s_waitcnt lgkmcnt(1)
	v_fmac_f32_e32 v50, v8, v10
	v_fmac_f32_e32 v48, v9, v10
	;; [unrolled: 1-line block ×4, first 2 shown]
	ds_read2_b32 v[8:9], v39 offset0:224 offset1:240
	s_waitcnt lgkmcnt(0)
	v_fmac_f32_e32 v50, v8, v11
	v_fmac_f32_e32 v48, v9, v11
	;; [unrolled: 1-line block ×4, first 2 shown]
	ds_read_b128 v[8:11], v41 offset:2080
	v_fmac_f32_e32 v50, v52, v4
	v_fmac_f32_e32 v48, v53, v4
	s_waitcnt lgkmcnt(0)
	v_fmac_f32_e32 v47, v52, v8
	v_fmac_f32_e32 v31, v53, v8
	ds_read2_b32 v[52:53], v51 offset0:32 offset1:48
	s_waitcnt lgkmcnt(0)
	v_fmac_f32_e32 v50, v52, v5
	v_fmac_f32_e32 v48, v53, v5
	ds_read2_b32 v[4:5], v51 offset0:64 offset1:80
	v_fmac_f32_e32 v47, v52, v9
	v_fmac_f32_e32 v31, v53, v9
	ds_read2_b32 v[8:9], v51 offset0:128 offset1:144
	s_waitcnt lgkmcnt(1)
	v_fmac_f32_e32 v50, v4, v6
	v_fmac_f32_e32 v48, v5, v6
	;; [unrolled: 1-line block ×4, first 2 shown]
	ds_read2_b32 v[4:5], v51 offset0:96 offset1:112
	v_add_u32_e32 v10, 0x800, v39
	s_waitcnt lgkmcnt(0)
	v_fmac_f32_e32 v50, v4, v7
	v_fmac_f32_e32 v48, v5, v7
	v_fmac_f32_e32 v47, v4, v11
	v_fmac_f32_e32 v31, v5, v11
	ds_read_b128 v[4:7], v41 offset:2096
	v_fmac_f32_e32 v50, v8, v0
	v_fmac_f32_e32 v48, v9, v0
	s_waitcnt lgkmcnt(0)
	v_fmac_f32_e32 v47, v8, v4
	v_fmac_f32_e32 v31, v9, v4
	ds_read2_b32 v[8:9], v51 offset0:160 offset1:176
	s_waitcnt lgkmcnt(0)
	v_fmac_f32_e32 v50, v8, v1
	v_fmac_f32_e32 v48, v9, v1
	ds_read2_b32 v[0:1], v51 offset0:192 offset1:208
	v_fmac_f32_e32 v47, v8, v5
	v_fmac_f32_e32 v31, v9, v5
	ds_read2_b32 v[8:9], v10 offset1:16
	s_waitcnt lgkmcnt(1)
	v_fmac_f32_e32 v50, v0, v2
	v_fmac_f32_e32 v48, v1, v2
	;; [unrolled: 1-line block ×4, first 2 shown]
	ds_read2_b32 v[0:1], v51 offset0:224 offset1:240
	s_waitcnt lgkmcnt(0)
	v_fmac_f32_e32 v50, v0, v3
	v_fmac_f32_e32 v48, v1, v3
	;; [unrolled: 1-line block ×4, first 2 shown]
	ds_read_b128 v[0:3], v41 offset:64
	ds_read_b128 v[4:7], v41 offset:2112
	s_waitcnt lgkmcnt(1)
	v_fmac_f32_e32 v50, v8, v0
	v_fmac_f32_e32 v48, v9, v0
	s_waitcnt lgkmcnt(0)
	v_fmac_f32_e32 v47, v8, v4
	v_fmac_f32_e32 v31, v9, v4
	ds_read2_b32 v[8:9], v10 offset0:32 offset1:48
	s_waitcnt lgkmcnt(0)
	v_fmac_f32_e32 v50, v8, v1
	v_fmac_f32_e32 v48, v9, v1
	ds_read2_b32 v[0:1], v10 offset0:64 offset1:80
	v_fmac_f32_e32 v47, v8, v5
	v_fmac_f32_e32 v31, v9, v5
	s_waitcnt lgkmcnt(0)
	v_fmac_f32_e32 v50, v0, v2
	v_fmac_f32_e32 v48, v1, v2
	;; [unrolled: 1-line block ×4, first 2 shown]
	ds_read2_b32 v[0:1], v10 offset0:96 offset1:112
	s_waitcnt lgkmcnt(0)
	v_fmac_f32_e32 v50, v0, v3
	v_fmac_f32_e32 v48, v1, v3
	;; [unrolled: 1-line block ×4, first 2 shown]
	ds_read_b128 v[0:3], v41 offset:80
	ds_read2_b32 v[8:9], v10 offset0:128 offset1:144
	ds_read_b128 v[4:7], v41 offset:2128
	s_waitcnt lgkmcnt(1)
	v_fmac_f32_e32 v50, v8, v0
	v_fmac_f32_e32 v48, v9, v0
	s_waitcnt lgkmcnt(0)
	v_fmac_f32_e32 v47, v8, v4
	v_fmac_f32_e32 v31, v9, v4
	ds_read2_b32 v[8:9], v10 offset0:160 offset1:176
	s_waitcnt lgkmcnt(0)
	v_fmac_f32_e32 v50, v8, v1
	v_fmac_f32_e32 v48, v9, v1
	ds_read2_b32 v[0:1], v10 offset0:192 offset1:208
	v_fmac_f32_e32 v47, v8, v5
	v_fmac_f32_e32 v31, v9, v5
	s_waitcnt lgkmcnt(0)
	v_fmac_f32_e32 v50, v0, v2
	v_fmac_f32_e32 v48, v1, v2
	;; [unrolled: 1-line block ×4, first 2 shown]
	ds_read2_b32 v[0:1], v10 offset0:224 offset1:240
	v_add_u32_e32 v10, 0xc00, v39
	ds_read2_b32 v[8:9], v10 offset1:16
	s_waitcnt lgkmcnt(1)
	v_fmac_f32_e32 v50, v0, v3
	v_fmac_f32_e32 v48, v1, v3
	;; [unrolled: 1-line block ×4, first 2 shown]
	ds_read_b128 v[0:3], v41 offset:96
	ds_read_b128 v[4:7], v41 offset:2144
	s_waitcnt lgkmcnt(1)
	v_fmac_f32_e32 v50, v8, v0
	v_fmac_f32_e32 v48, v9, v0
	s_waitcnt lgkmcnt(0)
	v_fmac_f32_e32 v47, v8, v4
	v_fmac_f32_e32 v31, v9, v4
	ds_read2_b32 v[8:9], v10 offset0:32 offset1:48
	s_waitcnt lgkmcnt(0)
	v_fmac_f32_e32 v50, v8, v1
	v_fmac_f32_e32 v48, v9, v1
	ds_read2_b32 v[0:1], v10 offset0:64 offset1:80
	v_fmac_f32_e32 v47, v8, v5
	v_fmac_f32_e32 v31, v9, v5
	s_waitcnt lgkmcnt(0)
	v_fmac_f32_e32 v50, v0, v2
	v_fmac_f32_e32 v48, v1, v2
	;; [unrolled: 1-line block ×4, first 2 shown]
	ds_read2_b32 v[0:1], v10 offset0:96 offset1:112
	s_waitcnt lgkmcnt(0)
	v_fmac_f32_e32 v50, v0, v3
	v_fmac_f32_e32 v48, v1, v3
	;; [unrolled: 1-line block ×4, first 2 shown]
	ds_read_b128 v[0:3], v41 offset:112
	ds_read2_b32 v[8:9], v10 offset0:128 offset1:144
	ds_read_b128 v[4:7], v41 offset:2160
	s_waitcnt lgkmcnt(1)
	v_fmac_f32_e32 v50, v8, v0
	v_fmac_f32_e32 v48, v9, v0
	s_waitcnt lgkmcnt(0)
	v_fmac_f32_e32 v47, v8, v4
	v_fmac_f32_e32 v31, v9, v4
	ds_read2_b32 v[8:9], v10 offset0:160 offset1:176
	s_waitcnt lgkmcnt(0)
	v_fmac_f32_e32 v50, v8, v1
	v_fmac_f32_e32 v48, v9, v1
	ds_read2_b32 v[0:1], v10 offset0:192 offset1:208
	v_fmac_f32_e32 v47, v8, v5
	v_fmac_f32_e32 v31, v9, v5
	s_waitcnt lgkmcnt(0)
	v_fmac_f32_e32 v50, v0, v2
	v_fmac_f32_e32 v48, v1, v2
	;; [unrolled: 1-line block ×4, first 2 shown]
	ds_read2_b32 v[0:1], v10 offset0:224 offset1:240
	s_waitcnt lgkmcnt(0)
	s_barrier
	v_fmac_f32_e32 v50, v0, v3
	v_fmac_f32_e32 v48, v1, v3
	;; [unrolled: 1-line block ×4, first 2 shown]
	s_cbranch_scc1 .LBB6_55
.LBB6_7:                                ;   Parent Loop BB6_4 Depth=1
                                        ; =>  This Inner Loop Header: Depth=2
	v_mov_b32_e32 v0, s27
	v_add_co_u32_e64 v2, s[10:11], s26, v12
	v_addc_co_u32_e64 v3, s[10:11], 0, v0, s[10:11]
	v_mov_b32_e32 v1, s21
	v_add_co_u32_e64 v0, s[10:11], s20, v15
	v_addc_co_u32_e64 v1, s[10:11], v38, v1, s[10:11]
	v_cmp_eq_u64_e64 s[10:11], s[26:27], v[22:23]
	v_cmp_le_i64_e64 s[12:13], s[34:35], v[2:3]
	s_and_b64 s[38:39], s[22:23], s[10:11]
	v_cmp_gt_i64_e64 s[10:11], v[2:3], v[16:17]
	s_or_b64 s[16:17], s[12:13], s[10:11]
	s_or_b64 s[16:17], s[16:17], s[38:39]
	;; [unrolled: 1-line block ×3, first 2 shown]
	s_xor_b64 s[16:17], s[16:17], -1
	s_and_saveexec_b64 s[28:29], s[16:17]
	s_xor_b64 s[16:17], exec, s[28:29]
	s_cbranch_execz .LBB6_9
; %bb.8:                                ;   in Loop: Header=BB6_7 Depth=2
	global_load_dword v4, v[0:1], off
	s_waitcnt vmcnt(0)
	ds_write_b32 v40, v4
.LBB6_9:                                ;   in Loop: Header=BB6_7 Depth=2
	s_or_saveexec_b64 s[16:17], s[16:17]
	s_xor_b64 s[28:29], s[38:39], -1
	s_xor_b64 exec, exec, s[16:17]
	s_cbranch_execz .LBB6_15
; %bb.10:                               ;   in Loop: Header=BB6_7 Depth=2
	s_and_saveexec_b64 s[42:43], s[28:29]
	s_xor_b64 s[42:43], exec, s[42:43]
	s_cbranch_execz .LBB6_12
; %bb.11:                               ;   in Loop: Header=BB6_7 Depth=2
	ds_write_b32 v40, v13
.LBB6_12:                               ;   in Loop: Header=BB6_7 Depth=2
	s_andn2_saveexec_b64 s[42:43], s[42:43]
	s_cbranch_execz .LBB6_14
; %bb.13:                               ;   in Loop: Header=BB6_7 Depth=2
	ds_write_b32 v40, v45
.LBB6_14:                               ;   in Loop: Header=BB6_7 Depth=2
	s_or_b64 exec, exec, s[42:43]
.LBB6_15:                               ;   in Loop: Header=BB6_7 Depth=2
	s_or_b64 exec, exec, s[16:17]
	v_cmp_eq_u64_e64 s[16:17], s[26:27], v[24:25]
	s_and_b64 s[42:43], s[22:23], s[16:17]
	v_cmp_lt_i64_e64 s[16:17], v[18:19], v[2:3]
	s_or_b64 s[12:13], s[12:13], s[16:17]
	s_or_b64 s[12:13], s[12:13], s[42:43]
	;; [unrolled: 1-line block ×3, first 2 shown]
	s_xor_b64 s[12:13], s[12:13], -1
	s_and_saveexec_b64 s[16:17], s[12:13]
	s_xor_b64 s[16:17], exec, s[16:17]
	s_cbranch_execz .LBB6_17
; %bb.16:                               ;   in Loop: Header=BB6_7 Depth=2
	v_mov_b32_e32 v5, s21
	v_add_co_u32_e64 v4, s[12:13], s20, v43
	v_addc_co_u32_e64 v5, s[12:13], v44, v5, s[12:13]
	global_load_dword v4, v[4:5], off
	s_waitcnt vmcnt(0)
	ds_write_b32 v40, v4 offset:64
.LBB6_17:                               ;   in Loop: Header=BB6_7 Depth=2
	s_andn2_saveexec_b64 s[12:13], s[16:17]
	s_cbranch_execz .LBB6_23
; %bb.18:                               ;   in Loop: Header=BB6_7 Depth=2
	s_xor_b64 s[16:17], s[42:43], -1
	s_and_saveexec_b64 s[42:43], s[16:17]
	s_xor_b64 s[16:17], exec, s[42:43]
	s_cbranch_execz .LBB6_20
; %bb.19:                               ;   in Loop: Header=BB6_7 Depth=2
	ds_write_b32 v40, v13 offset:64
.LBB6_20:                               ;   in Loop: Header=BB6_7 Depth=2
	s_andn2_saveexec_b64 s[16:17], s[16:17]
	s_cbranch_execz .LBB6_22
; %bb.21:                               ;   in Loop: Header=BB6_7 Depth=2
	ds_write_b32 v40, v45 offset:64
.LBB6_22:                               ;   in Loop: Header=BB6_7 Depth=2
	s_or_b64 exec, exec, s[16:17]
.LBB6_23:                               ;   in Loop: Header=BB6_7 Depth=2
	s_or_b64 exec, exec, s[12:13]
	v_add_co_u32_e64 v2, s[12:13], 16, v2
	v_addc_co_u32_e64 v3, s[12:13], 0, v3, s[12:13]
	v_cmp_eq_u64_e64 s[16:17], s[26:27], v[26:27]
	v_cmp_le_i64_e64 s[12:13], s[34:35], v[2:3]
	s_and_b64 s[42:43], s[22:23], s[16:17]
	v_cmp_gt_i64_e64 s[16:17], v[2:3], v[16:17]
	s_or_b64 s[16:17], s[12:13], s[16:17]
	s_or_b64 s[16:17], s[16:17], s[42:43]
	;; [unrolled: 1-line block ×3, first 2 shown]
	s_xor_b64 s[16:17], s[16:17], -1
	s_and_saveexec_b64 s[52:53], s[16:17]
	s_xor_b64 s[16:17], exec, s[52:53]
	s_cbranch_execz .LBB6_25
; %bb.24:                               ;   in Loop: Header=BB6_7 Depth=2
	global_load_dword v0, v[0:1], off offset:64
	s_waitcnt vmcnt(0)
	ds_write_b32 v40, v0 offset:2048
.LBB6_25:                               ;   in Loop: Header=BB6_7 Depth=2
	s_andn2_saveexec_b64 s[16:17], s[16:17]
	s_cbranch_execz .LBB6_31
; %bb.26:                               ;   in Loop: Header=BB6_7 Depth=2
	s_xor_b64 s[42:43], s[42:43], -1
	s_and_saveexec_b64 s[52:53], s[42:43]
	s_xor_b64 s[42:43], exec, s[52:53]
	s_cbranch_execz .LBB6_28
; %bb.27:                               ;   in Loop: Header=BB6_7 Depth=2
	ds_write_b32 v40, v13 offset:2048
.LBB6_28:                               ;   in Loop: Header=BB6_7 Depth=2
	s_andn2_saveexec_b64 s[42:43], s[42:43]
	s_cbranch_execz .LBB6_30
; %bb.29:                               ;   in Loop: Header=BB6_7 Depth=2
	ds_write_b32 v40, v45 offset:2048
.LBB6_30:                               ;   in Loop: Header=BB6_7 Depth=2
	s_or_b64 exec, exec, s[42:43]
.LBB6_31:                               ;   in Loop: Header=BB6_7 Depth=2
	s_or_b64 exec, exec, s[16:17]
	s_or_b64 s[10:11], s[12:13], s[10:11]
	s_or_b64 s[10:11], s[10:11], s[38:39]
	;; [unrolled: 1-line block ×3, first 2 shown]
	s_xor_b64 s[10:11], s[10:11], -1
	s_and_saveexec_b64 s[12:13], s[10:11]
	s_xor_b64 s[12:13], exec, s[12:13]
	s_cbranch_execz .LBB6_33
; %bb.32:                               ;   in Loop: Header=BB6_7 Depth=2
	v_mov_b32_e32 v1, s21
	v_add_co_u32_e64 v0, s[10:11], s20, v43
	v_addc_co_u32_e64 v1, s[10:11], v44, v1, s[10:11]
	global_load_dword v0, v[0:1], off offset:64
	s_waitcnt vmcnt(0)
	ds_write_b32 v40, v0 offset:2112
.LBB6_33:                               ;   in Loop: Header=BB6_7 Depth=2
	s_andn2_saveexec_b64 s[10:11], s[12:13]
	s_cbranch_execz .LBB6_39
; %bb.34:                               ;   in Loop: Header=BB6_7 Depth=2
	s_and_saveexec_b64 s[12:13], s[28:29]
	s_xor_b64 s[12:13], exec, s[12:13]
	s_cbranch_execz .LBB6_36
; %bb.35:                               ;   in Loop: Header=BB6_7 Depth=2
	ds_write_b32 v40, v13 offset:2112
.LBB6_36:                               ;   in Loop: Header=BB6_7 Depth=2
	s_andn2_saveexec_b64 s[12:13], s[12:13]
	s_cbranch_execz .LBB6_38
; %bb.37:                               ;   in Loop: Header=BB6_7 Depth=2
	ds_write_b32 v40, v45 offset:2112
.LBB6_38:                               ;   in Loop: Header=BB6_7 Depth=2
	s_or_b64 exec, exec, s[12:13]
.LBB6_39:                               ;   in Loop: Header=BB6_7 Depth=2
	s_or_b64 exec, exec, s[10:11]
	v_mov_b32_e32 v1, s27
	v_add_co_u32_e64 v0, s[10:11], s26, v14
	v_addc_co_u32_e64 v1, s[10:11], 0, v1, s[10:11]
	v_cmp_gt_i64_e64 s[10:11], s[34:35], v[0:1]
	s_and_b64 s[12:13], vcc, s[10:11]
	s_xor_b64 s[12:13], s[12:13], -1
	s_and_saveexec_b64 s[16:17], s[12:13]
	s_xor_b64 s[12:13], exec, s[16:17]
	s_cbranch_execz .LBB6_41
; %bb.40:                               ;   in Loop: Header=BB6_7 Depth=2
	ds_write_b32 v42, v13
.LBB6_41:                               ;   in Loop: Header=BB6_7 Depth=2
	s_or_saveexec_b64 s[16:17], s[12:13]
	v_mov_b32_e32 v3, s21
	v_add_co_u32_e64 v2, s[12:13], s20, v34
	v_addc_co_u32_e64 v3, s[12:13], v35, v3, s[12:13]
	s_xor_b64 exec, exec, s[16:17]
	s_cbranch_execz .LBB6_43
; %bb.42:                               ;   in Loop: Header=BB6_7 Depth=2
	global_load_dword v4, v[2:3], off offset:-64
	s_waitcnt vmcnt(0)
	ds_write_b32 v42, v4
.LBB6_43:                               ;   in Loop: Header=BB6_7 Depth=2
	s_or_b64 exec, exec, s[16:17]
	v_cmp_gt_i64_e64 s[12:13], s[40:41], v[0:1]
	s_and_b64 s[16:17], vcc, s[12:13]
	s_xor_b64 s[16:17], s[16:17], -1
	s_and_saveexec_b64 s[28:29], s[16:17]
	s_xor_b64 s[16:17], exec, s[28:29]
	s_cbranch_execz .LBB6_45
; %bb.44:                               ;   in Loop: Header=BB6_7 Depth=2
	ds_write_b32 v42, v13 offset:64
                                        ; implicit-def: $vgpr2_vgpr3
.LBB6_45:                               ;   in Loop: Header=BB6_7 Depth=2
	s_andn2_saveexec_b64 s[16:17], s[16:17]
	s_cbranch_execz .LBB6_47
; %bb.46:                               ;   in Loop: Header=BB6_7 Depth=2
	global_load_dword v0, v[2:3], off
	s_waitcnt vmcnt(0)
	ds_write_b32 v42, v0 offset:64
.LBB6_47:                               ;   in Loop: Header=BB6_7 Depth=2
	s_or_b64 exec, exec, s[16:17]
	s_and_b64 s[10:11], s[8:9], s[10:11]
	s_xor_b64 s[10:11], s[10:11], -1
	s_and_saveexec_b64 s[16:17], s[10:11]
	s_xor_b64 s[10:11], exec, s[16:17]
	s_cbranch_execz .LBB6_49
; %bb.48:                               ;   in Loop: Header=BB6_7 Depth=2
	ds_write_b32 v42, v13 offset:2048
.LBB6_49:                               ;   in Loop: Header=BB6_7 Depth=2
	s_andn2_saveexec_b64 s[16:17], s[10:11]
	s_cbranch_execz .LBB6_51
; %bb.50:                               ;   in Loop: Header=BB6_7 Depth=2
	v_mov_b32_e32 v1, s21
	v_add_co_u32_e64 v0, s[10:11], s20, v36
	v_addc_co_u32_e64 v1, s[10:11], v37, v1, s[10:11]
	global_load_dword v0, v[0:1], off offset:-64
	s_waitcnt vmcnt(0)
	ds_write_b32 v42, v0 offset:2048
.LBB6_51:                               ;   in Loop: Header=BB6_7 Depth=2
	s_or_b64 exec, exec, s[16:17]
	s_and_b64 s[10:11], s[8:9], s[12:13]
	s_xor_b64 s[10:11], s[10:11], -1
	s_and_saveexec_b64 s[12:13], s[10:11]
	s_xor_b64 s[10:11], exec, s[12:13]
	s_cbranch_execz .LBB6_53
; %bb.52:                               ;   in Loop: Header=BB6_7 Depth=2
	ds_write_b32 v42, v13 offset:2112
.LBB6_53:                               ;   in Loop: Header=BB6_7 Depth=2
	s_andn2_saveexec_b64 s[12:13], s[10:11]
	s_cbranch_execz .LBB6_6
; %bb.54:                               ;   in Loop: Header=BB6_7 Depth=2
	v_mov_b32_e32 v1, s21
	v_add_co_u32_e64 v0, s[10:11], s20, v36
	v_addc_co_u32_e64 v1, s[10:11], v37, v1, s[10:11]
	global_load_dword v0, v[0:1], off
	s_waitcnt vmcnt(0)
	ds_write_b32 v42, v0 offset:2112
	s_branch .LBB6_6
.LBB6_55:                               ;   in Loop: Header=BB6_4 Depth=1
	v_mul_lo_u32 v2, v49, s44
	v_mul_lo_u32 v3, v46, s45
	v_mad_u64_u32 v[0:1], s[8:9], v46, s44, 0
	v_add3_u32 v1, v1, v3, v2
	v_lshlrev_b64 v[0:1], 2, v[0:1]
	v_mov_b32_e32 v2, s47
	v_add_co_u32_e64 v0, s[8:9], s46, v0
	v_cmp_gt_i32_e32 vcc, s30, v46
	v_addc_co_u32_e64 v1, s[8:9], v2, v1, s[8:9]
	s_and_b64 s[8:9], s[4:5], vcc
	s_and_saveexec_b64 s[10:11], s[8:9]
	s_cbranch_execz .LBB6_57
; %bb.56:                               ;   in Loop: Header=BB6_4 Depth=1
	v_add_co_u32_e64 v2, s[8:9], v0, v32
	v_addc_co_u32_e64 v3, s[8:9], v1, v33, s[8:9]
	global_load_dword v4, v[2:3], off
	s_waitcnt vmcnt(0)
	v_fmac_f32_e32 v4, s33, v50
	global_store_dword v[2:3], v4, off
.LBB6_57:                               ;   in Loop: Header=BB6_4 Depth=1
	s_or_b64 exec, exec, s[10:11]
	s_and_b64 s[10:11], s[14:15], vcc
	s_and_saveexec_b64 s[8:9], s[10:11]
	s_cbranch_execz .LBB6_59
; %bb.58:                               ;   in Loop: Header=BB6_4 Depth=1
	v_lshlrev_b64 v[2:3], 2, v[20:21]
	v_add_co_u32_e32 v0, vcc, v0, v2
	v_addc_co_u32_e32 v1, vcc, v1, v3, vcc
	global_load_dword v2, v[0:1], off
	s_waitcnt vmcnt(0)
	v_fmac_f32_e32 v2, s33, v48
	global_store_dword v[0:1], v2, off
.LBB6_59:                               ;   in Loop: Header=BB6_4 Depth=1
	s_or_b64 exec, exec, s[8:9]
	v_add_u32_e32 v0, 16, v46
	v_ashrrev_i32_e32 v1, 31, v0
	v_cmp_gt_i32_e32 vcc, s30, v0
	v_mul_lo_u32 v2, v1, s44
	v_mul_lo_u32 v3, v0, s45
	v_mad_u64_u32 v[0:1], s[8:9], v0, s44, 0
	v_add3_u32 v1, v1, v3, v2
	v_lshlrev_b64 v[0:1], 2, v[0:1]
	v_mov_b32_e32 v2, s47
	v_add_co_u32_e64 v0, s[8:9], s46, v0
	v_addc_co_u32_e64 v1, s[8:9], v2, v1, s[8:9]
	s_and_b64 s[8:9], s[4:5], vcc
	s_and_saveexec_b64 s[10:11], s[8:9]
	s_cbranch_execz .LBB6_61
; %bb.60:                               ;   in Loop: Header=BB6_4 Depth=1
	v_add_co_u32_e64 v2, s[8:9], v0, v32
	v_addc_co_u32_e64 v3, s[8:9], v1, v33, s[8:9]
	global_load_dword v4, v[2:3], off
	s_waitcnt vmcnt(0)
	v_fmac_f32_e32 v4, s33, v47
	global_store_dword v[2:3], v4, off
.LBB6_61:                               ;   in Loop: Header=BB6_4 Depth=1
	s_or_b64 exec, exec, s[10:11]
	s_and_b64 s[10:11], s[14:15], vcc
	s_and_saveexec_b64 s[8:9], s[10:11]
	s_cbranch_execz .LBB6_3
; %bb.62:                               ;   in Loop: Header=BB6_4 Depth=1
	v_lshlrev_b64 v[2:3], 2, v[20:21]
	v_add_co_u32_e32 v0, vcc, v0, v2
	v_addc_co_u32_e32 v1, vcc, v1, v3, vcc
	global_load_dword v2, v[0:1], off
	s_waitcnt vmcnt(0)
	v_fmac_f32_e32 v2, s33, v31
	global_store_dword v[0:1], v2, off
	s_branch .LBB6_3
.LBB6_63:
	s_endpgm
	.section	.rodata,"a",@progbits
	.p2align	6, 0x0
	.amdhsa_kernel _ZL30rocblas_trmm_outofplace_kernelIfLi32ELi2ELb1ELb1ELb1ELb0EPKfS0_fEv17rocblas_diagonal_iiT6_lPT7_lllS5_lllPT8_llli
		.amdhsa_group_segment_fixed_size 8192
		.amdhsa_private_segment_fixed_size 0
		.amdhsa_kernarg_size 392
		.amdhsa_user_sgpr_count 6
		.amdhsa_user_sgpr_private_segment_buffer 1
		.amdhsa_user_sgpr_dispatch_ptr 0
		.amdhsa_user_sgpr_queue_ptr 0
		.amdhsa_user_sgpr_kernarg_segment_ptr 1
		.amdhsa_user_sgpr_dispatch_id 0
		.amdhsa_user_sgpr_flat_scratch_init 0
		.amdhsa_user_sgpr_kernarg_preload_length 0
		.amdhsa_user_sgpr_kernarg_preload_offset 0
		.amdhsa_user_sgpr_private_segment_size 0
		.amdhsa_uses_dynamic_stack 0
		.amdhsa_system_sgpr_private_segment_wavefront_offset 0
		.amdhsa_system_sgpr_workgroup_id_x 1
		.amdhsa_system_sgpr_workgroup_id_y 1
		.amdhsa_system_sgpr_workgroup_id_z 1
		.amdhsa_system_sgpr_workgroup_info 0
		.amdhsa_system_vgpr_workitem_id 1
		.amdhsa_next_free_vgpr 62
		.amdhsa_next_free_sgpr 54
		.amdhsa_accum_offset 64
		.amdhsa_reserve_vcc 1
		.amdhsa_reserve_flat_scratch 0
		.amdhsa_float_round_mode_32 0
		.amdhsa_float_round_mode_16_64 0
		.amdhsa_float_denorm_mode_32 3
		.amdhsa_float_denorm_mode_16_64 3
		.amdhsa_dx10_clamp 1
		.amdhsa_ieee_mode 1
		.amdhsa_fp16_overflow 0
		.amdhsa_tg_split 0
		.amdhsa_exception_fp_ieee_invalid_op 0
		.amdhsa_exception_fp_denorm_src 0
		.amdhsa_exception_fp_ieee_div_zero 0
		.amdhsa_exception_fp_ieee_overflow 0
		.amdhsa_exception_fp_ieee_underflow 0
		.amdhsa_exception_fp_ieee_inexact 0
		.amdhsa_exception_int_div_zero 0
	.end_amdhsa_kernel
	.section	.text._ZL30rocblas_trmm_outofplace_kernelIfLi32ELi2ELb1ELb1ELb1ELb0EPKfS0_fEv17rocblas_diagonal_iiT6_lPT7_lllS5_lllPT8_llli,"axG",@progbits,_ZL30rocblas_trmm_outofplace_kernelIfLi32ELi2ELb1ELb1ELb1ELb0EPKfS0_fEv17rocblas_diagonal_iiT6_lPT7_lllS5_lllPT8_llli,comdat
.Lfunc_end6:
	.size	_ZL30rocblas_trmm_outofplace_kernelIfLi32ELi2ELb1ELb1ELb1ELb0EPKfS0_fEv17rocblas_diagonal_iiT6_lPT7_lllS5_lllPT8_llli, .Lfunc_end6-_ZL30rocblas_trmm_outofplace_kernelIfLi32ELi2ELb1ELb1ELb1ELb0EPKfS0_fEv17rocblas_diagonal_iiT6_lPT7_lllS5_lllPT8_llli
                                        ; -- End function
	.section	.AMDGPU.csdata,"",@progbits
; Kernel info:
; codeLenInByte = 3212
; NumSgprs: 58
; NumVgprs: 62
; NumAgprs: 0
; TotalNumVgprs: 62
; ScratchSize: 0
; MemoryBound: 0
; FloatMode: 240
; IeeeMode: 1
; LDSByteSize: 8192 bytes/workgroup (compile time only)
; SGPRBlocks: 7
; VGPRBlocks: 7
; NumSGPRsForWavesPerEU: 58
; NumVGPRsForWavesPerEU: 62
; AccumOffset: 64
; Occupancy: 8
; WaveLimiterHint : 0
; COMPUTE_PGM_RSRC2:SCRATCH_EN: 0
; COMPUTE_PGM_RSRC2:USER_SGPR: 6
; COMPUTE_PGM_RSRC2:TRAP_HANDLER: 0
; COMPUTE_PGM_RSRC2:TGID_X_EN: 1
; COMPUTE_PGM_RSRC2:TGID_Y_EN: 1
; COMPUTE_PGM_RSRC2:TGID_Z_EN: 1
; COMPUTE_PGM_RSRC2:TIDIG_COMP_CNT: 1
; COMPUTE_PGM_RSRC3_GFX90A:ACCUM_OFFSET: 15
; COMPUTE_PGM_RSRC3_GFX90A:TG_SPLIT: 0
	.section	.text._ZL30rocblas_trmm_outofplace_kernelIfLi32ELi2ELb1ELb1ELb1ELb0EfKffEv17rocblas_diagonal_iiT6_lPT7_lllS4_lllPT8_llli,"axG",@progbits,_ZL30rocblas_trmm_outofplace_kernelIfLi32ELi2ELb1ELb1ELb1ELb0EfKffEv17rocblas_diagonal_iiT6_lPT7_lllS4_lllPT8_llli,comdat
	.globl	_ZL30rocblas_trmm_outofplace_kernelIfLi32ELi2ELb1ELb1ELb1ELb0EfKffEv17rocblas_diagonal_iiT6_lPT7_lllS4_lllPT8_llli ; -- Begin function _ZL30rocblas_trmm_outofplace_kernelIfLi32ELi2ELb1ELb1ELb1ELb0EfKffEv17rocblas_diagonal_iiT6_lPT7_lllS4_lllPT8_llli
	.p2align	8
	.type	_ZL30rocblas_trmm_outofplace_kernelIfLi32ELi2ELb1ELb1ELb1ELb0EfKffEv17rocblas_diagonal_iiT6_lPT7_lllS4_lllPT8_llli,@function
_ZL30rocblas_trmm_outofplace_kernelIfLi32ELi2ELb1ELb1ELb1ELb0EfKffEv17rocblas_diagonal_iiT6_lPT7_lllS4_lllPT8_llli: ; @_ZL30rocblas_trmm_outofplace_kernelIfLi32ELi2ELb1ELb1ELb1ELb0EfKffEv17rocblas_diagonal_iiT6_lPT7_lllS4_lllPT8_llli
; %bb.0:
	s_load_dwordx4 s[28:31], s[4:5], 0x0
	s_waitcnt lgkmcnt(0)
	v_cmp_eq_f32_e64 s[0:1], s31, 0
	s_and_b64 vcc, exec, s[0:1]
	s_cbranch_vccnz .LBB7_63
; %bb.1:
	s_add_i32 s0, s30, -1
	s_ashr_i32 s1, s0, 31
	s_lshr_b32 s1, s1, 27
	s_add_i32 s0, s0, s1
	s_ashr_i32 s33, s0, 5
	s_cmp_gt_i32 s7, s33
	s_cbranch_scc1 .LBB7_63
; %bb.2:
	s_load_dwordx16 s[12:27], s[4:5], 0x18
	s_load_dwordx8 s[36:43], s[4:5], 0x58
	v_and_b32_e32 v14, 0x3ff, v0
	v_bfe_u32 v12, v0, 10, 10
	s_load_dword s50, s[4:5], 0x84
	s_waitcnt lgkmcnt(0)
	s_mul_i32 s1, s8, s19
	s_mul_hi_u32 s2, s8, s18
	s_mul_i32 s0, s8, s18
	s_add_i32 s1, s2, s1
	s_lshl_b64 s[10:11], s[0:1], 2
	s_add_u32 s0, s12, s10
	s_addc_u32 s1, s13, s11
	s_lshl_b64 s[44:45], s[14:15], 2
	s_add_u32 s2, s0, s44
	s_addc_u32 s3, s1, s45
	s_mul_i32 s0, s8, s43
	s_mul_hi_u32 s1, s8, s42
	s_add_i32 s1, s1, s0
	s_mul_i32 s0, s8, s42
	s_lshl_b64 s[0:1], s[0:1], 2
	s_add_u32 s9, s36, s0
	s_addc_u32 s14, s37, s1
	s_lshl_b64 s[0:1], s[38:39], 2
	s_add_u32 s46, s9, s0
	s_addc_u32 s47, s14, s1
	s_lshl_b32 s48, s6, 5
	v_add_u32_e32 v16, s48, v14
	v_ashrrev_i32_e32 v17, 31, v16
	v_mul_lo_u32 v2, v17, s16
	v_mul_lo_u32 v3, v16, s17
	v_mad_u64_u32 v[0:1], s[0:1], v16, s16, 0
	v_add3_u32 v1, v1, v3, v2
	v_lshlrev_b64 v[0:1], 2, v[0:1]
	v_mov_b32_e32 v2, s3
	v_add_co_u32_e32 v0, vcc, s2, v0
	v_addc_co_u32_e32 v1, vcc, v2, v1, vcc
	v_lshlrev_b32_e32 v2, 2, v12
	v_add_co_u32_e32 v15, vcc, v0, v2
	s_cmp_gt_i32 s6, -1
	v_addc_co_u32_e32 v38, vcc, 0, v1, vcc
	s_cselect_b64 s[18:19], -1, 0
	s_cmpk_eq_i32 s28, 0x84
	s_cselect_b64 s[34:35], -1, 0
	s_ashr_i32 s37, s29, 31
	s_ashr_i32 s6, s30, 31
	v_add_co_u32_e32 v18, vcc, 16, v16
	v_addc_co_u32_e32 v19, vcc, 0, v17, vcc
	s_add_u32 s38, s29, -16
	s_mul_i32 s9, s27, s8
	s_mul_hi_u32 s27, s26, s8
	s_addc_u32 s39, s37, -1
	v_sub_co_u32_e32 v22, vcc, v16, v12
	s_add_i32 s9, s27, s9
	s_mul_i32 s8, s26, s8
	v_subbrev_co_u32_e32 v23, vcc, 0, v17, vcc
	s_lshl_b64 s[8:9], s[8:9], 2
	s_lshl_b64 s[22:23], s[22:23], 2
	v_add_co_u32_e32 v24, vcc, 16, v22
	s_add_u32 s8, s8, s22
	v_addc_co_u32_e32 v25, vcc, 0, v23, vcc
	s_addc_u32 s9, s9, s23
	v_add_co_u32_e32 v26, vcc, -16, v22
	s_add_u32 s8, s20, s8
	v_lshlrev_b32_e32 v0, 7, v12
	v_lshlrev_b32_e32 v39, 2, v14
	v_addc_co_u32_e32 v27, vcc, -1, v23, vcc
	s_addc_u32 s9, s21, s9
	v_add_u32_e32 v40, v39, v0
	v_add_u32_e32 v41, 0x1000, v0
	v_mov_b32_e32 v0, s9
	v_add_co_u32_e32 v1, vcc, s8, v39
	v_addc_co_u32_e32 v0, vcc, 0, v0, vcc
	v_add_co_u32_e32 v28, vcc, 64, v1
	v_addc_co_u32_e32 v29, vcc, 0, v0, vcc
	s_lshl_b64 s[20:21], s[24:25], 2
	s_lshl_b32 s51, s50, 5
	v_lshlrev_b64 v[32:33], 2, v[16:17]
	v_add_co_u32_e32 v3, vcc, 64, v32
	s_add_u32 s8, s44, s10
	v_addc_co_u32_e32 v0, vcc, 0, v33, vcc
	s_addc_u32 s9, s45, s11
	v_mul_lo_u32 v4, s16, v0
	v_pk_mov_b32 v[0:1], s[8:9], s[8:9] op_sel:[0,1]
	v_mul_lo_u32 v5, s17, v3
	v_mad_u64_u32 v[0:1], s[8:9], s16, v3, v[0:1]
	v_add3_u32 v1, v5, v1, v4
	v_add_co_u32_e32 v0, vcc, v0, v2
	v_addc_co_u32_e32 v1, vcc, 0, v1, vcc
	s_mov_b32 s36, s29
	v_add_u32_e32 v20, 16, v16
	v_mov_b32_e32 v2, s13
	v_add_co_u32_e32 v43, vcc, s12, v0
	v_mov_b32_e32 v13, 0
	s_mov_b32 s49, s30
	v_cmp_le_i32_e64 s[0:1], s29, v16
	v_cmp_le_i64_e64 s[2:3], s[36:37], v[18:19]
	v_add_u32_e32 v42, v41, v39
	v_cmp_gt_i32_e64 s[4:5], s29, v16
	v_cmp_gt_i32_e64 s[14:15], s29, v20
	v_ashrrev_i32_e32 v21, 31, v20
	v_lshl_add_u32 v30, s7, 5, v12
	v_addc_co_u32_e32 v44, vcc, v2, v1, vcc
	v_mov_b32_e32 v45, 1.0
	s_branch .LBB7_4
.LBB7_3:                                ;   in Loop: Header=BB7_4 Depth=1
	s_or_b64 exec, exec, s[8:9]
	s_add_i32 s7, s50, s7
	s_cmp_le_i32 s7, s33
	v_add_u32_e32 v30, s51, v30
	s_cbranch_scc0 .LBB7_63
.LBB7_4:                                ; =>This Loop Header: Depth=1
                                        ;     Child Loop BB7_7 Depth 2
	v_lshl_add_u32 v46, s7, 5, v12
	v_ashrrev_i32_e32 v49, 31, v46
	s_andn2_b64 vcc, exec, s[18:19]
	v_mov_b32_e32 v50, 0
	v_mov_b32_e32 v48, 0
	;; [unrolled: 1-line block ×4, first 2 shown]
	s_cbranch_vccnz .LBB7_55
; %bb.5:                                ;   in Loop: Header=BB7_4 Depth=1
	v_ashrrev_i32_e32 v31, 31, v30
	v_mad_u64_u32 v[34:35], s[8:9], s20, v30, v[28:29]
	v_mul_lo_u32 v0, s21, v30
	v_mul_lo_u32 v1, s20, v31
	v_add3_u32 v35, v0, v35, v1
	v_lshlrev_b64 v[0:1], 2, v[30:31]
	v_add_co_u32_e32 v0, vcc, 64, v0
	v_addc_co_u32_e32 v1, vcc, 0, v1, vcc
	v_mul_lo_u32 v1, s24, v1
	v_mul_lo_u32 v2, s25, v0
	v_mad_u64_u32 v[36:37], s[8:9], s24, v0, v[28:29]
	v_add3_u32 v37, v2, v37, v1
	v_mov_b32_e32 v1, s6
	v_sub_co_u32_e32 v0, vcc, s49, v46
	v_subb_co_u32_e32 v1, vcc, v1, v49, vcc
	s_mov_b64 s[22:23], 0
	v_cmp_lt_i64_e32 vcc, 0, v[0:1]
	v_cmp_lt_i64_e64 s[8:9], 16, v[0:1]
	v_mov_b32_e32 v31, 0
	s_mov_b64 s[26:27], 0
	v_mov_b32_e32 v47, 0
	v_mov_b32_e32 v48, 0
	;; [unrolled: 1-line block ×3, first 2 shown]
	s_branch .LBB7_7
.LBB7_6:                                ;   in Loop: Header=BB7_7 Depth=2
	s_or_b64 exec, exec, s[12:13]
	s_waitcnt lgkmcnt(0)
	s_barrier
	ds_read_b128 v[52:55], v41
	ds_read_b128 v[8:11], v41 offset:16
	ds_read_b128 v[4:7], v41 offset:32
	;; [unrolled: 1-line block ×3, first 2 shown]
	ds_read2_b32 v[60:61], v39 offset1:16
	ds_read_b128 v[56:59], v41 offset:2048
	v_add_u32_e32 v51, 0x400, v39
	s_add_u32 s26, s26, 32
	s_addc_u32 s27, s27, 0
	s_waitcnt lgkmcnt(1)
	v_fmac_f32_e32 v50, v60, v52
	v_fmac_f32_e32 v48, v61, v52
	s_waitcnt lgkmcnt(0)
	v_fmac_f32_e32 v47, v60, v56
	v_fmac_f32_e32 v31, v61, v56
	ds_read2_b32 v[60:61], v39 offset0:32 offset1:48
	s_sub_i32 s10, s26, 32
	s_add_u32 s22, s22, 0x80
	s_addc_u32 s23, s23, 0
	s_cmp_ge_i32 s10, s48
	s_waitcnt lgkmcnt(0)
	v_fmac_f32_e32 v50, v60, v53
	v_fmac_f32_e32 v48, v61, v53
	ds_read2_b32 v[52:53], v39 offset0:64 offset1:80
	v_fmac_f32_e32 v47, v60, v57
	v_fmac_f32_e32 v31, v61, v57
	ds_read2_b32 v[56:57], v39 offset0:128 offset1:144
	s_waitcnt lgkmcnt(1)
	v_fmac_f32_e32 v50, v52, v54
	v_fmac_f32_e32 v48, v53, v54
	;; [unrolled: 1-line block ×4, first 2 shown]
	ds_read2_b32 v[52:53], v39 offset0:96 offset1:112
	s_waitcnt lgkmcnt(0)
	v_fmac_f32_e32 v50, v52, v55
	v_fmac_f32_e32 v48, v53, v55
	;; [unrolled: 1-line block ×4, first 2 shown]
	ds_read_b128 v[52:55], v41 offset:2064
	v_fmac_f32_e32 v50, v56, v8
	v_fmac_f32_e32 v48, v57, v8
	s_waitcnt lgkmcnt(0)
	v_fmac_f32_e32 v47, v56, v52
	v_fmac_f32_e32 v31, v57, v52
	ds_read2_b32 v[56:57], v39 offset0:160 offset1:176
	s_waitcnt lgkmcnt(0)
	v_fmac_f32_e32 v50, v56, v9
	v_fmac_f32_e32 v48, v57, v9
	ds_read2_b32 v[8:9], v39 offset0:192 offset1:208
	v_fmac_f32_e32 v47, v56, v53
	v_fmac_f32_e32 v31, v57, v53
	ds_read2_b32 v[52:53], v51 offset1:16
	s_waitcnt lgkmcnt(1)
	v_fmac_f32_e32 v50, v8, v10
	v_fmac_f32_e32 v48, v9, v10
	;; [unrolled: 1-line block ×4, first 2 shown]
	ds_read2_b32 v[8:9], v39 offset0:224 offset1:240
	s_waitcnt lgkmcnt(0)
	v_fmac_f32_e32 v50, v8, v11
	v_fmac_f32_e32 v48, v9, v11
	;; [unrolled: 1-line block ×4, first 2 shown]
	ds_read_b128 v[8:11], v41 offset:2080
	v_fmac_f32_e32 v50, v52, v4
	v_fmac_f32_e32 v48, v53, v4
	s_waitcnt lgkmcnt(0)
	v_fmac_f32_e32 v47, v52, v8
	v_fmac_f32_e32 v31, v53, v8
	ds_read2_b32 v[52:53], v51 offset0:32 offset1:48
	s_waitcnt lgkmcnt(0)
	v_fmac_f32_e32 v50, v52, v5
	v_fmac_f32_e32 v48, v53, v5
	ds_read2_b32 v[4:5], v51 offset0:64 offset1:80
	v_fmac_f32_e32 v47, v52, v9
	v_fmac_f32_e32 v31, v53, v9
	ds_read2_b32 v[8:9], v51 offset0:128 offset1:144
	s_waitcnt lgkmcnt(1)
	v_fmac_f32_e32 v50, v4, v6
	v_fmac_f32_e32 v48, v5, v6
	;; [unrolled: 1-line block ×4, first 2 shown]
	ds_read2_b32 v[4:5], v51 offset0:96 offset1:112
	v_add_u32_e32 v10, 0x800, v39
	s_waitcnt lgkmcnt(0)
	v_fmac_f32_e32 v50, v4, v7
	v_fmac_f32_e32 v48, v5, v7
	;; [unrolled: 1-line block ×4, first 2 shown]
	ds_read_b128 v[4:7], v41 offset:2096
	v_fmac_f32_e32 v50, v8, v0
	v_fmac_f32_e32 v48, v9, v0
	s_waitcnt lgkmcnt(0)
	v_fmac_f32_e32 v47, v8, v4
	v_fmac_f32_e32 v31, v9, v4
	ds_read2_b32 v[8:9], v51 offset0:160 offset1:176
	s_waitcnt lgkmcnt(0)
	v_fmac_f32_e32 v50, v8, v1
	v_fmac_f32_e32 v48, v9, v1
	ds_read2_b32 v[0:1], v51 offset0:192 offset1:208
	v_fmac_f32_e32 v47, v8, v5
	v_fmac_f32_e32 v31, v9, v5
	ds_read2_b32 v[8:9], v10 offset1:16
	s_waitcnt lgkmcnt(1)
	v_fmac_f32_e32 v50, v0, v2
	v_fmac_f32_e32 v48, v1, v2
	;; [unrolled: 1-line block ×4, first 2 shown]
	ds_read2_b32 v[0:1], v51 offset0:224 offset1:240
	s_waitcnt lgkmcnt(0)
	v_fmac_f32_e32 v50, v0, v3
	v_fmac_f32_e32 v48, v1, v3
	;; [unrolled: 1-line block ×4, first 2 shown]
	ds_read_b128 v[0:3], v41 offset:64
	ds_read_b128 v[4:7], v41 offset:2112
	s_waitcnt lgkmcnt(1)
	v_fmac_f32_e32 v50, v8, v0
	v_fmac_f32_e32 v48, v9, v0
	s_waitcnt lgkmcnt(0)
	v_fmac_f32_e32 v47, v8, v4
	v_fmac_f32_e32 v31, v9, v4
	ds_read2_b32 v[8:9], v10 offset0:32 offset1:48
	s_waitcnt lgkmcnt(0)
	v_fmac_f32_e32 v50, v8, v1
	v_fmac_f32_e32 v48, v9, v1
	ds_read2_b32 v[0:1], v10 offset0:64 offset1:80
	v_fmac_f32_e32 v47, v8, v5
	v_fmac_f32_e32 v31, v9, v5
	s_waitcnt lgkmcnt(0)
	v_fmac_f32_e32 v50, v0, v2
	v_fmac_f32_e32 v48, v1, v2
	;; [unrolled: 1-line block ×4, first 2 shown]
	ds_read2_b32 v[0:1], v10 offset0:96 offset1:112
	s_waitcnt lgkmcnt(0)
	v_fmac_f32_e32 v50, v0, v3
	v_fmac_f32_e32 v48, v1, v3
	;; [unrolled: 1-line block ×4, first 2 shown]
	ds_read_b128 v[0:3], v41 offset:80
	ds_read2_b32 v[8:9], v10 offset0:128 offset1:144
	ds_read_b128 v[4:7], v41 offset:2128
	s_waitcnt lgkmcnt(1)
	v_fmac_f32_e32 v50, v8, v0
	v_fmac_f32_e32 v48, v9, v0
	s_waitcnt lgkmcnt(0)
	v_fmac_f32_e32 v47, v8, v4
	v_fmac_f32_e32 v31, v9, v4
	ds_read2_b32 v[8:9], v10 offset0:160 offset1:176
	s_waitcnt lgkmcnt(0)
	v_fmac_f32_e32 v50, v8, v1
	v_fmac_f32_e32 v48, v9, v1
	ds_read2_b32 v[0:1], v10 offset0:192 offset1:208
	v_fmac_f32_e32 v47, v8, v5
	v_fmac_f32_e32 v31, v9, v5
	s_waitcnt lgkmcnt(0)
	v_fmac_f32_e32 v50, v0, v2
	v_fmac_f32_e32 v48, v1, v2
	;; [unrolled: 1-line block ×4, first 2 shown]
	ds_read2_b32 v[0:1], v10 offset0:224 offset1:240
	v_add_u32_e32 v10, 0xc00, v39
	ds_read2_b32 v[8:9], v10 offset1:16
	s_waitcnt lgkmcnt(1)
	v_fmac_f32_e32 v50, v0, v3
	v_fmac_f32_e32 v48, v1, v3
	;; [unrolled: 1-line block ×4, first 2 shown]
	ds_read_b128 v[0:3], v41 offset:96
	ds_read_b128 v[4:7], v41 offset:2144
	s_waitcnt lgkmcnt(1)
	v_fmac_f32_e32 v50, v8, v0
	v_fmac_f32_e32 v48, v9, v0
	s_waitcnt lgkmcnt(0)
	v_fmac_f32_e32 v47, v8, v4
	v_fmac_f32_e32 v31, v9, v4
	ds_read2_b32 v[8:9], v10 offset0:32 offset1:48
	s_waitcnt lgkmcnt(0)
	v_fmac_f32_e32 v50, v8, v1
	v_fmac_f32_e32 v48, v9, v1
	ds_read2_b32 v[0:1], v10 offset0:64 offset1:80
	v_fmac_f32_e32 v47, v8, v5
	v_fmac_f32_e32 v31, v9, v5
	s_waitcnt lgkmcnt(0)
	v_fmac_f32_e32 v50, v0, v2
	v_fmac_f32_e32 v48, v1, v2
	;; [unrolled: 1-line block ×4, first 2 shown]
	ds_read2_b32 v[0:1], v10 offset0:96 offset1:112
	s_waitcnt lgkmcnt(0)
	v_fmac_f32_e32 v50, v0, v3
	v_fmac_f32_e32 v48, v1, v3
	;; [unrolled: 1-line block ×4, first 2 shown]
	ds_read_b128 v[0:3], v41 offset:112
	ds_read2_b32 v[8:9], v10 offset0:128 offset1:144
	ds_read_b128 v[4:7], v41 offset:2160
	s_waitcnt lgkmcnt(1)
	v_fmac_f32_e32 v50, v8, v0
	v_fmac_f32_e32 v48, v9, v0
	s_waitcnt lgkmcnt(0)
	v_fmac_f32_e32 v47, v8, v4
	v_fmac_f32_e32 v31, v9, v4
	ds_read2_b32 v[8:9], v10 offset0:160 offset1:176
	s_waitcnt lgkmcnt(0)
	v_fmac_f32_e32 v50, v8, v1
	v_fmac_f32_e32 v48, v9, v1
	ds_read2_b32 v[0:1], v10 offset0:192 offset1:208
	v_fmac_f32_e32 v47, v8, v5
	v_fmac_f32_e32 v31, v9, v5
	s_waitcnt lgkmcnt(0)
	v_fmac_f32_e32 v50, v0, v2
	v_fmac_f32_e32 v48, v1, v2
	;; [unrolled: 1-line block ×4, first 2 shown]
	ds_read2_b32 v[0:1], v10 offset0:224 offset1:240
	s_waitcnt lgkmcnt(0)
	s_barrier
	v_fmac_f32_e32 v50, v0, v3
	v_fmac_f32_e32 v48, v1, v3
	;; [unrolled: 1-line block ×4, first 2 shown]
	s_cbranch_scc1 .LBB7_55
.LBB7_7:                                ;   Parent Loop BB7_4 Depth=1
                                        ; =>  This Inner Loop Header: Depth=2
	v_mov_b32_e32 v0, s27
	v_add_co_u32_e64 v2, s[10:11], s26, v12
	v_addc_co_u32_e64 v3, s[10:11], 0, v0, s[10:11]
	v_mov_b32_e32 v1, s23
	v_add_co_u32_e64 v0, s[10:11], s22, v15
	v_addc_co_u32_e64 v1, s[10:11], v38, v1, s[10:11]
	v_cmp_eq_u64_e64 s[10:11], s[26:27], v[22:23]
	v_cmp_le_i64_e64 s[12:13], s[36:37], v[2:3]
	s_and_b64 s[42:43], s[34:35], s[10:11]
	v_cmp_gt_i64_e64 s[10:11], v[2:3], v[16:17]
	s_or_b64 s[16:17], s[12:13], s[10:11]
	s_or_b64 s[16:17], s[16:17], s[42:43]
	s_or_b64 s[16:17], s[0:1], s[16:17]
	s_xor_b64 s[16:17], s[16:17], -1
	s_and_saveexec_b64 s[28:29], s[16:17]
	s_xor_b64 s[16:17], exec, s[28:29]
	s_cbranch_execz .LBB7_9
; %bb.8:                                ;   in Loop: Header=BB7_7 Depth=2
	global_load_dword v4, v[0:1], off
	s_waitcnt vmcnt(0)
	ds_write_b32 v40, v4
.LBB7_9:                                ;   in Loop: Header=BB7_7 Depth=2
	s_or_saveexec_b64 s[16:17], s[16:17]
	s_xor_b64 s[28:29], s[42:43], -1
	s_xor_b64 exec, exec, s[16:17]
	s_cbranch_execz .LBB7_15
; %bb.10:                               ;   in Loop: Header=BB7_7 Depth=2
	s_and_saveexec_b64 s[44:45], s[28:29]
	s_xor_b64 s[44:45], exec, s[44:45]
	s_cbranch_execz .LBB7_12
; %bb.11:                               ;   in Loop: Header=BB7_7 Depth=2
	ds_write_b32 v40, v13
.LBB7_12:                               ;   in Loop: Header=BB7_7 Depth=2
	s_andn2_saveexec_b64 s[44:45], s[44:45]
	s_cbranch_execz .LBB7_14
; %bb.13:                               ;   in Loop: Header=BB7_7 Depth=2
	ds_write_b32 v40, v45
.LBB7_14:                               ;   in Loop: Header=BB7_7 Depth=2
	s_or_b64 exec, exec, s[44:45]
.LBB7_15:                               ;   in Loop: Header=BB7_7 Depth=2
	s_or_b64 exec, exec, s[16:17]
	v_cmp_eq_u64_e64 s[16:17], s[26:27], v[24:25]
	s_and_b64 s[44:45], s[34:35], s[16:17]
	v_cmp_lt_i64_e64 s[16:17], v[18:19], v[2:3]
	s_or_b64 s[12:13], s[12:13], s[16:17]
	s_or_b64 s[12:13], s[12:13], s[44:45]
	;; [unrolled: 1-line block ×3, first 2 shown]
	s_xor_b64 s[12:13], s[12:13], -1
	s_and_saveexec_b64 s[16:17], s[12:13]
	s_xor_b64 s[16:17], exec, s[16:17]
	s_cbranch_execz .LBB7_17
; %bb.16:                               ;   in Loop: Header=BB7_7 Depth=2
	v_mov_b32_e32 v5, s23
	v_add_co_u32_e64 v4, s[12:13], s22, v43
	v_addc_co_u32_e64 v5, s[12:13], v44, v5, s[12:13]
	global_load_dword v4, v[4:5], off
	s_waitcnt vmcnt(0)
	ds_write_b32 v40, v4 offset:64
.LBB7_17:                               ;   in Loop: Header=BB7_7 Depth=2
	s_andn2_saveexec_b64 s[12:13], s[16:17]
	s_cbranch_execz .LBB7_23
; %bb.18:                               ;   in Loop: Header=BB7_7 Depth=2
	s_xor_b64 s[16:17], s[44:45], -1
	s_and_saveexec_b64 s[44:45], s[16:17]
	s_xor_b64 s[16:17], exec, s[44:45]
	s_cbranch_execz .LBB7_20
; %bb.19:                               ;   in Loop: Header=BB7_7 Depth=2
	ds_write_b32 v40, v13 offset:64
.LBB7_20:                               ;   in Loop: Header=BB7_7 Depth=2
	s_andn2_saveexec_b64 s[16:17], s[16:17]
	s_cbranch_execz .LBB7_22
; %bb.21:                               ;   in Loop: Header=BB7_7 Depth=2
	ds_write_b32 v40, v45 offset:64
.LBB7_22:                               ;   in Loop: Header=BB7_7 Depth=2
	s_or_b64 exec, exec, s[16:17]
.LBB7_23:                               ;   in Loop: Header=BB7_7 Depth=2
	s_or_b64 exec, exec, s[12:13]
	v_add_co_u32_e64 v2, s[12:13], 16, v2
	v_addc_co_u32_e64 v3, s[12:13], 0, v3, s[12:13]
	v_cmp_eq_u64_e64 s[16:17], s[26:27], v[26:27]
	v_cmp_le_i64_e64 s[12:13], s[36:37], v[2:3]
	s_and_b64 s[44:45], s[34:35], s[16:17]
	v_cmp_gt_i64_e64 s[16:17], v[2:3], v[16:17]
	s_or_b64 s[16:17], s[12:13], s[16:17]
	s_or_b64 s[16:17], s[16:17], s[44:45]
	s_or_b64 s[16:17], s[0:1], s[16:17]
	s_xor_b64 s[16:17], s[16:17], -1
	s_and_saveexec_b64 s[52:53], s[16:17]
	s_xor_b64 s[16:17], exec, s[52:53]
	s_cbranch_execz .LBB7_25
; %bb.24:                               ;   in Loop: Header=BB7_7 Depth=2
	global_load_dword v0, v[0:1], off offset:64
	s_waitcnt vmcnt(0)
	ds_write_b32 v40, v0 offset:2048
.LBB7_25:                               ;   in Loop: Header=BB7_7 Depth=2
	s_andn2_saveexec_b64 s[16:17], s[16:17]
	s_cbranch_execz .LBB7_31
; %bb.26:                               ;   in Loop: Header=BB7_7 Depth=2
	s_xor_b64 s[44:45], s[44:45], -1
	s_and_saveexec_b64 s[52:53], s[44:45]
	s_xor_b64 s[44:45], exec, s[52:53]
	s_cbranch_execz .LBB7_28
; %bb.27:                               ;   in Loop: Header=BB7_7 Depth=2
	ds_write_b32 v40, v13 offset:2048
.LBB7_28:                               ;   in Loop: Header=BB7_7 Depth=2
	s_andn2_saveexec_b64 s[44:45], s[44:45]
	s_cbranch_execz .LBB7_30
; %bb.29:                               ;   in Loop: Header=BB7_7 Depth=2
	ds_write_b32 v40, v45 offset:2048
.LBB7_30:                               ;   in Loop: Header=BB7_7 Depth=2
	s_or_b64 exec, exec, s[44:45]
.LBB7_31:                               ;   in Loop: Header=BB7_7 Depth=2
	s_or_b64 exec, exec, s[16:17]
	s_or_b64 s[10:11], s[12:13], s[10:11]
	s_or_b64 s[10:11], s[10:11], s[42:43]
	;; [unrolled: 1-line block ×3, first 2 shown]
	s_xor_b64 s[10:11], s[10:11], -1
	s_and_saveexec_b64 s[12:13], s[10:11]
	s_xor_b64 s[12:13], exec, s[12:13]
	s_cbranch_execz .LBB7_33
; %bb.32:                               ;   in Loop: Header=BB7_7 Depth=2
	v_mov_b32_e32 v1, s23
	v_add_co_u32_e64 v0, s[10:11], s22, v43
	v_addc_co_u32_e64 v1, s[10:11], v44, v1, s[10:11]
	global_load_dword v0, v[0:1], off offset:64
	s_waitcnt vmcnt(0)
	ds_write_b32 v40, v0 offset:2112
.LBB7_33:                               ;   in Loop: Header=BB7_7 Depth=2
	s_andn2_saveexec_b64 s[10:11], s[12:13]
	s_cbranch_execz .LBB7_39
; %bb.34:                               ;   in Loop: Header=BB7_7 Depth=2
	s_and_saveexec_b64 s[12:13], s[28:29]
	s_xor_b64 s[12:13], exec, s[12:13]
	s_cbranch_execz .LBB7_36
; %bb.35:                               ;   in Loop: Header=BB7_7 Depth=2
	ds_write_b32 v40, v13 offset:2112
.LBB7_36:                               ;   in Loop: Header=BB7_7 Depth=2
	s_andn2_saveexec_b64 s[12:13], s[12:13]
	s_cbranch_execz .LBB7_38
; %bb.37:                               ;   in Loop: Header=BB7_7 Depth=2
	ds_write_b32 v40, v45 offset:2112
.LBB7_38:                               ;   in Loop: Header=BB7_7 Depth=2
	s_or_b64 exec, exec, s[12:13]
.LBB7_39:                               ;   in Loop: Header=BB7_7 Depth=2
	s_or_b64 exec, exec, s[10:11]
	v_mov_b32_e32 v1, s27
	v_add_co_u32_e64 v0, s[10:11], s26, v14
	v_addc_co_u32_e64 v1, s[10:11], 0, v1, s[10:11]
	v_cmp_gt_i64_e64 s[10:11], s[36:37], v[0:1]
	s_and_b64 s[12:13], vcc, s[10:11]
	s_xor_b64 s[12:13], s[12:13], -1
	s_and_saveexec_b64 s[16:17], s[12:13]
	s_xor_b64 s[12:13], exec, s[16:17]
	s_cbranch_execz .LBB7_41
; %bb.40:                               ;   in Loop: Header=BB7_7 Depth=2
	ds_write_b32 v42, v13
.LBB7_41:                               ;   in Loop: Header=BB7_7 Depth=2
	s_or_saveexec_b64 s[16:17], s[12:13]
	v_mov_b32_e32 v3, s23
	v_add_co_u32_e64 v2, s[12:13], s22, v34
	v_addc_co_u32_e64 v3, s[12:13], v35, v3, s[12:13]
	s_xor_b64 exec, exec, s[16:17]
	s_cbranch_execz .LBB7_43
; %bb.42:                               ;   in Loop: Header=BB7_7 Depth=2
	global_load_dword v4, v[2:3], off offset:-64
	s_waitcnt vmcnt(0)
	ds_write_b32 v42, v4
.LBB7_43:                               ;   in Loop: Header=BB7_7 Depth=2
	s_or_b64 exec, exec, s[16:17]
	v_cmp_gt_i64_e64 s[12:13], s[38:39], v[0:1]
	s_and_b64 s[16:17], vcc, s[12:13]
	s_xor_b64 s[16:17], s[16:17], -1
	s_and_saveexec_b64 s[28:29], s[16:17]
	s_xor_b64 s[16:17], exec, s[28:29]
	s_cbranch_execz .LBB7_45
; %bb.44:                               ;   in Loop: Header=BB7_7 Depth=2
	ds_write_b32 v42, v13 offset:64
                                        ; implicit-def: $vgpr2_vgpr3
.LBB7_45:                               ;   in Loop: Header=BB7_7 Depth=2
	s_andn2_saveexec_b64 s[16:17], s[16:17]
	s_cbranch_execz .LBB7_47
; %bb.46:                               ;   in Loop: Header=BB7_7 Depth=2
	global_load_dword v0, v[2:3], off
	s_waitcnt vmcnt(0)
	ds_write_b32 v42, v0 offset:64
.LBB7_47:                               ;   in Loop: Header=BB7_7 Depth=2
	s_or_b64 exec, exec, s[16:17]
	s_and_b64 s[10:11], s[8:9], s[10:11]
	s_xor_b64 s[10:11], s[10:11], -1
	s_and_saveexec_b64 s[16:17], s[10:11]
	s_xor_b64 s[10:11], exec, s[16:17]
	s_cbranch_execz .LBB7_49
; %bb.48:                               ;   in Loop: Header=BB7_7 Depth=2
	ds_write_b32 v42, v13 offset:2048
.LBB7_49:                               ;   in Loop: Header=BB7_7 Depth=2
	s_andn2_saveexec_b64 s[16:17], s[10:11]
	s_cbranch_execz .LBB7_51
; %bb.50:                               ;   in Loop: Header=BB7_7 Depth=2
	v_mov_b32_e32 v1, s23
	v_add_co_u32_e64 v0, s[10:11], s22, v36
	v_addc_co_u32_e64 v1, s[10:11], v37, v1, s[10:11]
	global_load_dword v0, v[0:1], off offset:-64
	s_waitcnt vmcnt(0)
	ds_write_b32 v42, v0 offset:2048
.LBB7_51:                               ;   in Loop: Header=BB7_7 Depth=2
	s_or_b64 exec, exec, s[16:17]
	s_and_b64 s[10:11], s[8:9], s[12:13]
	s_xor_b64 s[10:11], s[10:11], -1
	s_and_saveexec_b64 s[12:13], s[10:11]
	s_xor_b64 s[10:11], exec, s[12:13]
	s_cbranch_execz .LBB7_53
; %bb.52:                               ;   in Loop: Header=BB7_7 Depth=2
	ds_write_b32 v42, v13 offset:2112
.LBB7_53:                               ;   in Loop: Header=BB7_7 Depth=2
	s_andn2_saveexec_b64 s[12:13], s[10:11]
	s_cbranch_execz .LBB7_6
; %bb.54:                               ;   in Loop: Header=BB7_7 Depth=2
	v_mov_b32_e32 v1, s23
	v_add_co_u32_e64 v0, s[10:11], s22, v36
	v_addc_co_u32_e64 v1, s[10:11], v37, v1, s[10:11]
	global_load_dword v0, v[0:1], off
	s_waitcnt vmcnt(0)
	ds_write_b32 v42, v0 offset:2112
	s_branch .LBB7_6
.LBB7_55:                               ;   in Loop: Header=BB7_4 Depth=1
	v_mul_lo_u32 v2, v49, s40
	v_mul_lo_u32 v3, v46, s41
	v_mad_u64_u32 v[0:1], s[8:9], v46, s40, 0
	v_add3_u32 v1, v1, v3, v2
	v_lshlrev_b64 v[0:1], 2, v[0:1]
	v_mov_b32_e32 v2, s47
	v_add_co_u32_e64 v0, s[8:9], s46, v0
	v_cmp_gt_i32_e32 vcc, s30, v46
	v_addc_co_u32_e64 v1, s[8:9], v2, v1, s[8:9]
	s_and_b64 s[8:9], s[4:5], vcc
	s_and_saveexec_b64 s[10:11], s[8:9]
	s_cbranch_execz .LBB7_57
; %bb.56:                               ;   in Loop: Header=BB7_4 Depth=1
	v_add_co_u32_e64 v2, s[8:9], v0, v32
	v_addc_co_u32_e64 v3, s[8:9], v1, v33, s[8:9]
	global_load_dword v4, v[2:3], off
	s_waitcnt vmcnt(0)
	v_fmac_f32_e32 v4, s31, v50
	global_store_dword v[2:3], v4, off
.LBB7_57:                               ;   in Loop: Header=BB7_4 Depth=1
	s_or_b64 exec, exec, s[10:11]
	s_and_b64 s[10:11], s[14:15], vcc
	s_and_saveexec_b64 s[8:9], s[10:11]
	s_cbranch_execz .LBB7_59
; %bb.58:                               ;   in Loop: Header=BB7_4 Depth=1
	v_lshlrev_b64 v[2:3], 2, v[20:21]
	v_add_co_u32_e32 v0, vcc, v0, v2
	v_addc_co_u32_e32 v1, vcc, v1, v3, vcc
	global_load_dword v2, v[0:1], off
	s_waitcnt vmcnt(0)
	v_fmac_f32_e32 v2, s31, v48
	global_store_dword v[0:1], v2, off
.LBB7_59:                               ;   in Loop: Header=BB7_4 Depth=1
	s_or_b64 exec, exec, s[8:9]
	v_add_u32_e32 v0, 16, v46
	v_ashrrev_i32_e32 v1, 31, v0
	v_cmp_gt_i32_e32 vcc, s30, v0
	v_mul_lo_u32 v2, v1, s40
	v_mul_lo_u32 v3, v0, s41
	v_mad_u64_u32 v[0:1], s[8:9], v0, s40, 0
	v_add3_u32 v1, v1, v3, v2
	v_lshlrev_b64 v[0:1], 2, v[0:1]
	v_mov_b32_e32 v2, s47
	v_add_co_u32_e64 v0, s[8:9], s46, v0
	v_addc_co_u32_e64 v1, s[8:9], v2, v1, s[8:9]
	s_and_b64 s[8:9], s[4:5], vcc
	s_and_saveexec_b64 s[10:11], s[8:9]
	s_cbranch_execz .LBB7_61
; %bb.60:                               ;   in Loop: Header=BB7_4 Depth=1
	v_add_co_u32_e64 v2, s[8:9], v0, v32
	v_addc_co_u32_e64 v3, s[8:9], v1, v33, s[8:9]
	global_load_dword v4, v[2:3], off
	s_waitcnt vmcnt(0)
	v_fmac_f32_e32 v4, s31, v47
	global_store_dword v[2:3], v4, off
.LBB7_61:                               ;   in Loop: Header=BB7_4 Depth=1
	s_or_b64 exec, exec, s[10:11]
	s_and_b64 s[10:11], s[14:15], vcc
	s_and_saveexec_b64 s[8:9], s[10:11]
	s_cbranch_execz .LBB7_3
; %bb.62:                               ;   in Loop: Header=BB7_4 Depth=1
	v_lshlrev_b64 v[2:3], 2, v[20:21]
	v_add_co_u32_e32 v0, vcc, v0, v2
	v_addc_co_u32_e32 v1, vcc, v1, v3, vcc
	global_load_dword v2, v[0:1], off
	s_waitcnt vmcnt(0)
	v_fmac_f32_e32 v2, s31, v31
	global_store_dword v[0:1], v2, off
	s_branch .LBB7_3
.LBB7_63:
	s_endpgm
	.section	.rodata,"a",@progbits
	.p2align	6, 0x0
	.amdhsa_kernel _ZL30rocblas_trmm_outofplace_kernelIfLi32ELi2ELb1ELb1ELb1ELb0EfKffEv17rocblas_diagonal_iiT6_lPT7_lllS4_lllPT8_llli
		.amdhsa_group_segment_fixed_size 8192
		.amdhsa_private_segment_fixed_size 0
		.amdhsa_kernarg_size 384
		.amdhsa_user_sgpr_count 6
		.amdhsa_user_sgpr_private_segment_buffer 1
		.amdhsa_user_sgpr_dispatch_ptr 0
		.amdhsa_user_sgpr_queue_ptr 0
		.amdhsa_user_sgpr_kernarg_segment_ptr 1
		.amdhsa_user_sgpr_dispatch_id 0
		.amdhsa_user_sgpr_flat_scratch_init 0
		.amdhsa_user_sgpr_kernarg_preload_length 0
		.amdhsa_user_sgpr_kernarg_preload_offset 0
		.amdhsa_user_sgpr_private_segment_size 0
		.amdhsa_uses_dynamic_stack 0
		.amdhsa_system_sgpr_private_segment_wavefront_offset 0
		.amdhsa_system_sgpr_workgroup_id_x 1
		.amdhsa_system_sgpr_workgroup_id_y 1
		.amdhsa_system_sgpr_workgroup_id_z 1
		.amdhsa_system_sgpr_workgroup_info 0
		.amdhsa_system_vgpr_workitem_id 1
		.amdhsa_next_free_vgpr 62
		.amdhsa_next_free_sgpr 54
		.amdhsa_accum_offset 64
		.amdhsa_reserve_vcc 1
		.amdhsa_reserve_flat_scratch 0
		.amdhsa_float_round_mode_32 0
		.amdhsa_float_round_mode_16_64 0
		.amdhsa_float_denorm_mode_32 3
		.amdhsa_float_denorm_mode_16_64 3
		.amdhsa_dx10_clamp 1
		.amdhsa_ieee_mode 1
		.amdhsa_fp16_overflow 0
		.amdhsa_tg_split 0
		.amdhsa_exception_fp_ieee_invalid_op 0
		.amdhsa_exception_fp_denorm_src 0
		.amdhsa_exception_fp_ieee_div_zero 0
		.amdhsa_exception_fp_ieee_overflow 0
		.amdhsa_exception_fp_ieee_underflow 0
		.amdhsa_exception_fp_ieee_inexact 0
		.amdhsa_exception_int_div_zero 0
	.end_amdhsa_kernel
	.section	.text._ZL30rocblas_trmm_outofplace_kernelIfLi32ELi2ELb1ELb1ELb1ELb0EfKffEv17rocblas_diagonal_iiT6_lPT7_lllS4_lllPT8_llli,"axG",@progbits,_ZL30rocblas_trmm_outofplace_kernelIfLi32ELi2ELb1ELb1ELb1ELb0EfKffEv17rocblas_diagonal_iiT6_lPT7_lllS4_lllPT8_llli,comdat
.Lfunc_end7:
	.size	_ZL30rocblas_trmm_outofplace_kernelIfLi32ELi2ELb1ELb1ELb1ELb0EfKffEv17rocblas_diagonal_iiT6_lPT7_lllS4_lllPT8_llli, .Lfunc_end7-_ZL30rocblas_trmm_outofplace_kernelIfLi32ELi2ELb1ELb1ELb1ELb0EfKffEv17rocblas_diagonal_iiT6_lPT7_lllS4_lllPT8_llli
                                        ; -- End function
	.section	.AMDGPU.csdata,"",@progbits
; Kernel info:
; codeLenInByte = 3164
; NumSgprs: 58
; NumVgprs: 62
; NumAgprs: 0
; TotalNumVgprs: 62
; ScratchSize: 0
; MemoryBound: 0
; FloatMode: 240
; IeeeMode: 1
; LDSByteSize: 8192 bytes/workgroup (compile time only)
; SGPRBlocks: 7
; VGPRBlocks: 7
; NumSGPRsForWavesPerEU: 58
; NumVGPRsForWavesPerEU: 62
; AccumOffset: 64
; Occupancy: 8
; WaveLimiterHint : 0
; COMPUTE_PGM_RSRC2:SCRATCH_EN: 0
; COMPUTE_PGM_RSRC2:USER_SGPR: 6
; COMPUTE_PGM_RSRC2:TRAP_HANDLER: 0
; COMPUTE_PGM_RSRC2:TGID_X_EN: 1
; COMPUTE_PGM_RSRC2:TGID_Y_EN: 1
; COMPUTE_PGM_RSRC2:TGID_Z_EN: 1
; COMPUTE_PGM_RSRC2:TIDIG_COMP_CNT: 1
; COMPUTE_PGM_RSRC3_GFX90A:ACCUM_OFFSET: 15
; COMPUTE_PGM_RSRC3_GFX90A:TG_SPLIT: 0
	.section	.text._ZL30rocblas_trmm_outofplace_kernelIfLi32ELi2ELb1ELb0ELb1ELb1EPKfS0_fEv17rocblas_diagonal_iiT6_lPT7_lllS5_lllPT8_llli,"axG",@progbits,_ZL30rocblas_trmm_outofplace_kernelIfLi32ELi2ELb1ELb0ELb1ELb1EPKfS0_fEv17rocblas_diagonal_iiT6_lPT7_lllS5_lllPT8_llli,comdat
	.globl	_ZL30rocblas_trmm_outofplace_kernelIfLi32ELi2ELb1ELb0ELb1ELb1EPKfS0_fEv17rocblas_diagonal_iiT6_lPT7_lllS5_lllPT8_llli ; -- Begin function _ZL30rocblas_trmm_outofplace_kernelIfLi32ELi2ELb1ELb0ELb1ELb1EPKfS0_fEv17rocblas_diagonal_iiT6_lPT7_lllS5_lllPT8_llli
	.p2align	8
	.type	_ZL30rocblas_trmm_outofplace_kernelIfLi32ELi2ELb1ELb0ELb1ELb1EPKfS0_fEv17rocblas_diagonal_iiT6_lPT7_lllS5_lllPT8_llli,@function
_ZL30rocblas_trmm_outofplace_kernelIfLi32ELi2ELb1ELb0ELb1ELb1EPKfS0_fEv17rocblas_diagonal_iiT6_lPT7_lllS5_lllPT8_llli: ; @_ZL30rocblas_trmm_outofplace_kernelIfLi32ELi2ELb1ELb0ELb1ELb1EPKfS0_fEv17rocblas_diagonal_iiT6_lPT7_lllS5_lllPT8_llli
; %bb.0:
	s_load_dwordx16 s[12:27], s[4:5], 0x10
	s_waitcnt lgkmcnt(0)
	s_mul_i32 s0, s8, s15
	s_mul_hi_u32 s1, s8, s14
	s_add_i32 s1, s1, s0
	s_mul_i32 s0, s8, s14
	s_lshl_b64 s[0:1], s[0:1], 2
	s_add_u32 s0, s12, s0
	s_addc_u32 s1, s13, s1
	s_load_dword s33, s[0:1], 0x0
	s_waitcnt lgkmcnt(0)
	v_cmp_eq_f32_e64 s[0:1], s33, 0
	s_and_b64 vcc, exec, s[0:1]
	s_cbranch_vccnz .LBB8_63
; %bb.1:
	s_load_dwordx4 s[28:31], s[4:5], 0x0
	s_waitcnt lgkmcnt(0)
	s_add_i32 s0, s30, -1
	s_ashr_i32 s1, s0, 31
	s_lshr_b32 s1, s1, 27
	s_add_i32 s0, s0, s1
	s_ashr_i32 s31, s0, 5
	s_cmp_gt_i32 s7, s31
	s_cbranch_scc1 .LBB8_63
; %bb.2:
	s_mul_i32 s0, s8, s23
	s_mul_hi_u32 s1, s8, s22
	s_add_i32 s1, s1, s0
	s_mul_i32 s0, s8, s22
	s_load_dwordx4 s[44:47], s[4:5], 0x70
	s_load_dword s48, s[4:5], 0x8c
	s_lshl_b64 s[10:11], s[0:1], 2
	s_add_u32 s0, s16, s10
	s_load_dwordx8 s[36:43], s[4:5], 0x50
	s_addc_u32 s1, s17, s11
	s_lshl_b64 s[12:13], s[18:19], 2
	s_add_u32 s2, s0, s12
	s_addc_u32 s3, s1, s13
	s_waitcnt lgkmcnt(0)
	s_mul_i32 s0, s8, s47
	s_mul_hi_u32 s1, s8, s46
	s_add_i32 s1, s1, s0
	s_mul_i32 s0, s8, s46
	s_lshl_b64 s[0:1], s[0:1], 2
	s_add_u32 s4, s40, s0
	s_addc_u32 s5, s41, s1
	s_lshl_b64 s[0:1], s[42:43], 2
	s_add_u32 s46, s4, s0
	s_addc_u32 s47, s5, s1
	s_lshl_b32 s4, s6, 5
	v_and_b32_e32 v2, 0x3ff, v0
	v_add_u32_e32 v14, s4, v2
	v_ashrrev_i32_e32 v15, 31, v14
	v_bfe_u32 v36, v0, 10, 10
	v_mul_lo_u32 v3, v15, s20
	v_mul_lo_u32 v4, v14, s21
	v_mad_u64_u32 v[0:1], s[0:1], v14, s20, 0
	v_add3_u32 v1, v1, v4, v3
	v_add_u32_e32 v12, s4, v36
	v_lshlrev_b64 v[0:1], 2, v[0:1]
	v_ashrrev_i32_e32 v13, 31, v12
	v_mov_b32_e32 v3, s3
	v_add_co_u32_e32 v4, vcc, s2, v0
	v_addc_co_u32_e32 v3, vcc, v3, v1, vcc
	v_lshlrev_b64 v[0:1], 2, v[12:13]
	v_add_co_u32_e32 v37, vcc, v4, v0
	v_addc_co_u32_e32 v38, vcc, v3, v1, vcc
	s_sub_i32 s6, s29, s4
	s_cmp_gt_i32 s6, 0
	v_add_co_u32_e32 v16, vcc, 16, v14
	s_cselect_b64 s[18:19], -1, 0
	s_cmpk_eq_i32 s28, 0x84
	v_addc_co_u32_e32 v17, vcc, 0, v15, vcc
	s_cselect_b64 s[22:23], -1, 0
	s_ashr_i32 s35, s29, 31
	s_ashr_i32 s49, s30, 31
	v_sub_co_u32_e32 v20, vcc, v14, v12
	s_add_u32 s40, s29, -16
	v_subb_co_u32_e32 v21, vcc, v15, v13, vcc
	s_mul_i32 s9, s39, s8
	s_mul_hi_u32 s28, s38, s8
	s_addc_u32 s41, s35, -1
	v_add_co_u32_e32 v22, vcc, 16, v20
	s_add_i32 s9, s28, s9
	s_mul_i32 s8, s38, s8
	v_addc_co_u32_e32 v23, vcc, 0, v21, vcc
	s_lshl_b64 s[8:9], s[8:9], 2
	s_lshl_b64 s[26:27], s[26:27], 2
	v_add_co_u32_e32 v24, vcc, -16, v20
	s_add_u32 s8, s8, s26
	v_addc_co_u32_e32 v25, vcc, -1, v21, vcc
	s_addc_u32 s9, s9, s27
	v_lshlrev_b64 v[26:27], 2, v[14:15]
	s_add_u32 s8, s24, s8
	v_add_co_u32_e32 v4, vcc, 64, v26
	v_lshlrev_b32_e32 v39, 2, v2
	s_addc_u32 s9, s25, s9
	v_addc_co_u32_e32 v2, vcc, 0, v27, vcc
	s_lshl_b64 s[24:25], s[36:37], 2
	s_lshl_b32 s50, s48, 5
	v_lshlrev_b32_e32 v3, 7, v36
	v_add_co_u32_e32 v28, vcc, s8, v4
	s_add_u32 s8, s12, s10
	v_add_u32_e32 v40, v39, v3
	v_add_u32_e32 v41, 0x1000, v3
	v_mov_b32_e32 v3, s9
	s_addc_u32 s9, s13, s11
	v_addc_co_u32_e32 v29, vcc, v2, v3, vcc
	v_mul_lo_u32 v5, s20, v2
	v_pk_mov_b32 v[2:3], s[8:9], s[8:9] op_sel:[0,1]
	v_mul_lo_u32 v6, s21, v4
	v_mad_u64_u32 v[2:3], s[8:9], s20, v4, v[2:3]
	v_add3_u32 v3, v6, v3, v5
	v_add_co_u32_e32 v0, vcc, v2, v0
	v_addc_co_u32_e32 v1, vcc, v3, v1, vcc
	s_mov_b32 s34, s29
	v_add_u32_e32 v18, 16, v14
	v_mov_b32_e32 v2, s17
	v_add_co_u32_e32 v43, vcc, s16, v0
	v_cmp_le_i32_e64 s[0:1], s29, v14
	v_cmp_le_i64_e64 s[2:3], s[34:35], v[16:17]
	v_add_u32_e32 v42, v41, v39
	v_cmp_gt_i32_e64 s[4:5], s29, v14
	v_cmp_gt_i32_e64 s[14:15], s29, v18
	v_ashrrev_i32_e32 v19, 31, v18
	v_lshl_add_u32 v30, s7, 5, v36
	v_addc_co_u32_e32 v44, vcc, v2, v1, vcc
	v_mov_b32_e32 v45, 0
	v_mov_b32_e32 v46, 1.0
	s_branch .LBB8_4
.LBB8_3:                                ;   in Loop: Header=BB8_4 Depth=1
	s_or_b64 exec, exec, s[8:9]
	s_add_i32 s7, s48, s7
	s_cmp_le_i32 s7, s31
	v_add_u32_e32 v30, s50, v30
	s_cbranch_scc0 .LBB8_63
.LBB8_4:                                ; =>This Loop Header: Depth=1
                                        ;     Child Loop BB8_7 Depth 2
	v_lshl_add_u32 v47, s7, 5, v36
	v_ashrrev_i32_e32 v50, 31, v47
	s_andn2_b64 vcc, exec, s[18:19]
	v_mov_b32_e32 v51, 0
	v_mov_b32_e32 v49, 0
	v_mov_b32_e32 v48, 0
	v_mov_b32_e32 v31, 0
	s_cbranch_vccnz .LBB8_55
; %bb.5:                                ;   in Loop: Header=BB8_4 Depth=1
	v_ashrrev_i32_e32 v31, 31, v30
	v_mad_u64_u32 v[32:33], s[8:9], s24, v30, v[28:29]
	v_mul_lo_u32 v0, s25, v30
	v_mul_lo_u32 v1, s24, v31
	v_add3_u32 v33, v0, v33, v1
	v_lshlrev_b64 v[0:1], 2, v[30:31]
	v_add_co_u32_e32 v0, vcc, 64, v0
	v_addc_co_u32_e32 v1, vcc, 0, v1, vcc
	v_mul_lo_u32 v1, s36, v1
	v_mul_lo_u32 v2, s37, v0
	v_mad_u64_u32 v[34:35], s[8:9], s36, v0, v[28:29]
	v_add3_u32 v35, v2, v35, v1
	v_mov_b32_e32 v1, s49
	v_sub_co_u32_e32 v0, vcc, s30, v47
	v_subb_co_u32_e32 v1, vcc, v1, v50, vcc
	s_mov_b64 s[20:21], 0
	v_cmp_lt_i64_e32 vcc, 0, v[0:1]
	v_cmp_lt_i64_e64 s[8:9], 16, v[0:1]
	v_mov_b32_e32 v31, 0
	s_mov_b64 s[26:27], 0
	v_mov_b32_e32 v48, 0
	v_mov_b32_e32 v49, 0
	v_mov_b32_e32 v51, 0
	s_branch .LBB8_7
.LBB8_6:                                ;   in Loop: Header=BB8_7 Depth=2
	s_or_b64 exec, exec, s[12:13]
	s_waitcnt lgkmcnt(0)
	s_barrier
	ds_read_b128 v[52:55], v41
	ds_read_b128 v[8:11], v41 offset:16
	ds_read_b128 v[4:7], v41 offset:32
	;; [unrolled: 1-line block ×3, first 2 shown]
	ds_read2_b32 v[60:61], v39 offset1:16
	ds_read_b128 v[56:59], v41 offset:2048
	s_add_u32 s26, s26, 32
	s_addc_u32 s27, s27, 0
	s_add_u32 s20, s20, 0x80
	s_waitcnt lgkmcnt(1)
	v_fmac_f32_e32 v51, v60, v52
	v_fmac_f32_e32 v49, v61, v52
	s_waitcnt lgkmcnt(0)
	v_fmac_f32_e32 v48, v60, v56
	v_fmac_f32_e32 v31, v61, v56
	ds_read2_b32 v[60:61], v39 offset0:32 offset1:48
	s_addc_u32 s21, s21, 0
	s_cmp_ge_i32 s26, s6
	s_waitcnt lgkmcnt(0)
	v_fmac_f32_e32 v51, v60, v53
	v_fmac_f32_e32 v49, v61, v53
	ds_read2_b32 v[52:53], v39 offset0:64 offset1:80
	v_fmac_f32_e32 v48, v60, v57
	v_fmac_f32_e32 v31, v61, v57
	ds_read2_b32 v[56:57], v39 offset0:128 offset1:144
	s_waitcnt lgkmcnt(1)
	v_fmac_f32_e32 v51, v52, v54
	v_fmac_f32_e32 v49, v53, v54
	;; [unrolled: 1-line block ×4, first 2 shown]
	ds_read2_b32 v[52:53], v39 offset0:96 offset1:112
	s_waitcnt lgkmcnt(0)
	v_fmac_f32_e32 v51, v52, v55
	v_fmac_f32_e32 v49, v53, v55
	;; [unrolled: 1-line block ×4, first 2 shown]
	ds_read_b128 v[52:55], v41 offset:2064
	v_fmac_f32_e32 v51, v56, v8
	v_fmac_f32_e32 v49, v57, v8
	s_waitcnt lgkmcnt(0)
	v_fmac_f32_e32 v48, v56, v52
	v_fmac_f32_e32 v31, v57, v52
	ds_read2_b32 v[56:57], v39 offset0:160 offset1:176
	s_waitcnt lgkmcnt(0)
	v_fmac_f32_e32 v51, v56, v9
	v_fmac_f32_e32 v49, v57, v9
	ds_read2_b32 v[8:9], v39 offset0:192 offset1:208
	v_fmac_f32_e32 v48, v56, v53
	v_fmac_f32_e32 v31, v57, v53
	s_waitcnt lgkmcnt(0)
	v_fmac_f32_e32 v51, v8, v10
	v_fmac_f32_e32 v49, v9, v10
	;; [unrolled: 1-line block ×4, first 2 shown]
	ds_read2_b32 v[8:9], v39 offset0:224 offset1:240
	v_add_u32_e32 v54, 0x400, v39
	ds_read2_b32 v[52:53], v54 offset1:16
	s_waitcnt lgkmcnt(1)
	v_fmac_f32_e32 v51, v8, v11
	v_fmac_f32_e32 v49, v9, v11
	;; [unrolled: 1-line block ×4, first 2 shown]
	ds_read_b128 v[8:11], v41 offset:2080
	s_waitcnt lgkmcnt(1)
	v_fmac_f32_e32 v51, v52, v4
	v_fmac_f32_e32 v49, v53, v4
	s_waitcnt lgkmcnt(0)
	v_fmac_f32_e32 v48, v52, v8
	v_fmac_f32_e32 v31, v53, v8
	ds_read2_b32 v[52:53], v54 offset0:32 offset1:48
	s_waitcnt lgkmcnt(0)
	v_fmac_f32_e32 v51, v52, v5
	v_fmac_f32_e32 v49, v53, v5
	ds_read2_b32 v[4:5], v54 offset0:64 offset1:80
	v_fmac_f32_e32 v48, v52, v9
	v_fmac_f32_e32 v31, v53, v9
	ds_read2_b32 v[8:9], v54 offset0:128 offset1:144
	s_waitcnt lgkmcnt(1)
	v_fmac_f32_e32 v51, v4, v6
	v_fmac_f32_e32 v49, v5, v6
	v_fmac_f32_e32 v48, v4, v10
	v_fmac_f32_e32 v31, v5, v10
	ds_read2_b32 v[4:5], v54 offset0:96 offset1:112
	v_add_u32_e32 v10, 0x800, v39
	s_waitcnt lgkmcnt(0)
	v_fmac_f32_e32 v51, v4, v7
	v_fmac_f32_e32 v49, v5, v7
	;; [unrolled: 1-line block ×4, first 2 shown]
	ds_read_b128 v[4:7], v41 offset:2096
	v_fmac_f32_e32 v51, v8, v0
	v_fmac_f32_e32 v49, v9, v0
	s_waitcnt lgkmcnt(0)
	v_fmac_f32_e32 v48, v8, v4
	v_fmac_f32_e32 v31, v9, v4
	ds_read2_b32 v[8:9], v54 offset0:160 offset1:176
	s_waitcnt lgkmcnt(0)
	v_fmac_f32_e32 v51, v8, v1
	v_fmac_f32_e32 v49, v9, v1
	ds_read2_b32 v[0:1], v54 offset0:192 offset1:208
	v_fmac_f32_e32 v48, v8, v5
	v_fmac_f32_e32 v31, v9, v5
	ds_read2_b32 v[8:9], v10 offset1:16
	s_waitcnt lgkmcnt(1)
	v_fmac_f32_e32 v51, v0, v2
	v_fmac_f32_e32 v49, v1, v2
	v_fmac_f32_e32 v48, v0, v6
	v_fmac_f32_e32 v31, v1, v6
	ds_read2_b32 v[0:1], v54 offset0:224 offset1:240
	s_waitcnt lgkmcnt(0)
	v_fmac_f32_e32 v51, v0, v3
	v_fmac_f32_e32 v49, v1, v3
	;; [unrolled: 1-line block ×4, first 2 shown]
	ds_read_b128 v[0:3], v41 offset:64
	ds_read_b128 v[4:7], v41 offset:2112
	s_waitcnt lgkmcnt(1)
	v_fmac_f32_e32 v51, v8, v0
	v_fmac_f32_e32 v49, v9, v0
	s_waitcnt lgkmcnt(0)
	v_fmac_f32_e32 v48, v8, v4
	v_fmac_f32_e32 v31, v9, v4
	ds_read2_b32 v[8:9], v10 offset0:32 offset1:48
	s_waitcnt lgkmcnt(0)
	v_fmac_f32_e32 v51, v8, v1
	v_fmac_f32_e32 v49, v9, v1
	ds_read2_b32 v[0:1], v10 offset0:64 offset1:80
	v_fmac_f32_e32 v48, v8, v5
	v_fmac_f32_e32 v31, v9, v5
	s_waitcnt lgkmcnt(0)
	v_fmac_f32_e32 v51, v0, v2
	v_fmac_f32_e32 v49, v1, v2
	;; [unrolled: 1-line block ×4, first 2 shown]
	ds_read2_b32 v[0:1], v10 offset0:96 offset1:112
	s_waitcnt lgkmcnt(0)
	v_fmac_f32_e32 v51, v0, v3
	v_fmac_f32_e32 v49, v1, v3
	;; [unrolled: 1-line block ×4, first 2 shown]
	ds_read_b128 v[0:3], v41 offset:80
	ds_read2_b32 v[8:9], v10 offset0:128 offset1:144
	ds_read_b128 v[4:7], v41 offset:2128
	s_waitcnt lgkmcnt(1)
	v_fmac_f32_e32 v51, v8, v0
	v_fmac_f32_e32 v49, v9, v0
	s_waitcnt lgkmcnt(0)
	v_fmac_f32_e32 v48, v8, v4
	v_fmac_f32_e32 v31, v9, v4
	ds_read2_b32 v[8:9], v10 offset0:160 offset1:176
	s_waitcnt lgkmcnt(0)
	v_fmac_f32_e32 v51, v8, v1
	v_fmac_f32_e32 v49, v9, v1
	ds_read2_b32 v[0:1], v10 offset0:192 offset1:208
	v_fmac_f32_e32 v48, v8, v5
	v_fmac_f32_e32 v31, v9, v5
	s_waitcnt lgkmcnt(0)
	v_fmac_f32_e32 v51, v0, v2
	v_fmac_f32_e32 v49, v1, v2
	;; [unrolled: 1-line block ×4, first 2 shown]
	ds_read2_b32 v[0:1], v10 offset0:224 offset1:240
	v_add_u32_e32 v10, 0xc00, v39
	ds_read2_b32 v[8:9], v10 offset1:16
	s_waitcnt lgkmcnt(1)
	v_fmac_f32_e32 v51, v0, v3
	v_fmac_f32_e32 v49, v1, v3
	;; [unrolled: 1-line block ×4, first 2 shown]
	ds_read_b128 v[0:3], v41 offset:96
	ds_read_b128 v[4:7], v41 offset:2144
	s_waitcnt lgkmcnt(1)
	v_fmac_f32_e32 v51, v8, v0
	v_fmac_f32_e32 v49, v9, v0
	s_waitcnt lgkmcnt(0)
	v_fmac_f32_e32 v48, v8, v4
	v_fmac_f32_e32 v31, v9, v4
	ds_read2_b32 v[8:9], v10 offset0:32 offset1:48
	s_waitcnt lgkmcnt(0)
	v_fmac_f32_e32 v51, v8, v1
	v_fmac_f32_e32 v49, v9, v1
	ds_read2_b32 v[0:1], v10 offset0:64 offset1:80
	v_fmac_f32_e32 v48, v8, v5
	v_fmac_f32_e32 v31, v9, v5
	s_waitcnt lgkmcnt(0)
	v_fmac_f32_e32 v51, v0, v2
	v_fmac_f32_e32 v49, v1, v2
	;; [unrolled: 1-line block ×4, first 2 shown]
	ds_read2_b32 v[0:1], v10 offset0:96 offset1:112
	s_waitcnt lgkmcnt(0)
	v_fmac_f32_e32 v51, v0, v3
	v_fmac_f32_e32 v49, v1, v3
	;; [unrolled: 1-line block ×4, first 2 shown]
	ds_read_b128 v[0:3], v41 offset:112
	ds_read2_b32 v[8:9], v10 offset0:128 offset1:144
	ds_read_b128 v[4:7], v41 offset:2160
	s_waitcnt lgkmcnt(1)
	v_fmac_f32_e32 v51, v8, v0
	v_fmac_f32_e32 v49, v9, v0
	s_waitcnt lgkmcnt(0)
	v_fmac_f32_e32 v48, v8, v4
	v_fmac_f32_e32 v31, v9, v4
	ds_read2_b32 v[8:9], v10 offset0:160 offset1:176
	s_waitcnt lgkmcnt(0)
	v_fmac_f32_e32 v51, v8, v1
	v_fmac_f32_e32 v49, v9, v1
	ds_read2_b32 v[0:1], v10 offset0:192 offset1:208
	v_fmac_f32_e32 v48, v8, v5
	v_fmac_f32_e32 v31, v9, v5
	s_waitcnt lgkmcnt(0)
	v_fmac_f32_e32 v51, v0, v2
	v_fmac_f32_e32 v49, v1, v2
	v_fmac_f32_e32 v48, v0, v6
	v_fmac_f32_e32 v31, v1, v6
	ds_read2_b32 v[0:1], v10 offset0:224 offset1:240
	s_waitcnt lgkmcnt(0)
	s_barrier
	v_fmac_f32_e32 v51, v0, v3
	v_fmac_f32_e32 v49, v1, v3
	;; [unrolled: 1-line block ×4, first 2 shown]
	s_cbranch_scc1 .LBB8_55
.LBB8_7:                                ;   Parent Loop BB8_4 Depth=1
                                        ; =>  This Inner Loop Header: Depth=2
	v_mov_b32_e32 v0, s27
	v_add_co_u32_e64 v2, s[10:11], s26, v12
	v_addc_co_u32_e64 v3, s[10:11], v13, v0, s[10:11]
	v_mov_b32_e32 v1, s21
	v_add_co_u32_e64 v0, s[10:11], s20, v37
	v_addc_co_u32_e64 v1, s[10:11], v38, v1, s[10:11]
	v_cmp_eq_u64_e64 s[10:11], s[26:27], v[20:21]
	v_cmp_le_i64_e64 s[12:13], s[34:35], v[2:3]
	s_and_b64 s[38:39], s[22:23], s[10:11]
	v_cmp_lt_i64_e64 s[10:11], v[2:3], v[14:15]
	s_or_b64 s[16:17], s[12:13], s[10:11]
	s_or_b64 s[16:17], s[16:17], s[38:39]
	;; [unrolled: 1-line block ×3, first 2 shown]
	s_xor_b64 s[16:17], s[16:17], -1
	s_and_saveexec_b64 s[28:29], s[16:17]
	s_xor_b64 s[16:17], exec, s[28:29]
	s_cbranch_execz .LBB8_9
; %bb.8:                                ;   in Loop: Header=BB8_7 Depth=2
	global_load_dword v4, v[0:1], off
	s_waitcnt vmcnt(0)
	ds_write_b32 v40, v4
.LBB8_9:                                ;   in Loop: Header=BB8_7 Depth=2
	s_or_saveexec_b64 s[16:17], s[16:17]
	s_xor_b64 s[28:29], s[38:39], -1
	s_xor_b64 exec, exec, s[16:17]
	s_cbranch_execz .LBB8_15
; %bb.10:                               ;   in Loop: Header=BB8_7 Depth=2
	s_and_saveexec_b64 s[42:43], s[28:29]
	s_xor_b64 s[42:43], exec, s[42:43]
	s_cbranch_execz .LBB8_12
; %bb.11:                               ;   in Loop: Header=BB8_7 Depth=2
	ds_write_b32 v40, v45
.LBB8_12:                               ;   in Loop: Header=BB8_7 Depth=2
	s_andn2_saveexec_b64 s[42:43], s[42:43]
	s_cbranch_execz .LBB8_14
; %bb.13:                               ;   in Loop: Header=BB8_7 Depth=2
	ds_write_b32 v40, v46
.LBB8_14:                               ;   in Loop: Header=BB8_7 Depth=2
	s_or_b64 exec, exec, s[42:43]
.LBB8_15:                               ;   in Loop: Header=BB8_7 Depth=2
	s_or_b64 exec, exec, s[16:17]
	v_cmp_eq_u64_e64 s[16:17], s[26:27], v[22:23]
	s_and_b64 s[42:43], s[22:23], s[16:17]
	v_cmp_gt_i64_e64 s[16:17], v[16:17], v[2:3]
	s_or_b64 s[12:13], s[12:13], s[16:17]
	s_or_b64 s[12:13], s[12:13], s[42:43]
	;; [unrolled: 1-line block ×3, first 2 shown]
	s_xor_b64 s[12:13], s[12:13], -1
	s_and_saveexec_b64 s[16:17], s[12:13]
	s_xor_b64 s[16:17], exec, s[16:17]
	s_cbranch_execz .LBB8_17
; %bb.16:                               ;   in Loop: Header=BB8_7 Depth=2
	v_mov_b32_e32 v5, s21
	v_add_co_u32_e64 v4, s[12:13], s20, v43
	v_addc_co_u32_e64 v5, s[12:13], v44, v5, s[12:13]
	global_load_dword v4, v[4:5], off
	s_waitcnt vmcnt(0)
	ds_write_b32 v40, v4 offset:64
.LBB8_17:                               ;   in Loop: Header=BB8_7 Depth=2
	s_andn2_saveexec_b64 s[12:13], s[16:17]
	s_cbranch_execz .LBB8_23
; %bb.18:                               ;   in Loop: Header=BB8_7 Depth=2
	s_xor_b64 s[16:17], s[42:43], -1
	s_and_saveexec_b64 s[42:43], s[16:17]
	s_xor_b64 s[16:17], exec, s[42:43]
	s_cbranch_execz .LBB8_20
; %bb.19:                               ;   in Loop: Header=BB8_7 Depth=2
	ds_write_b32 v40, v45 offset:64
.LBB8_20:                               ;   in Loop: Header=BB8_7 Depth=2
	s_andn2_saveexec_b64 s[16:17], s[16:17]
	s_cbranch_execz .LBB8_22
; %bb.21:                               ;   in Loop: Header=BB8_7 Depth=2
	ds_write_b32 v40, v46 offset:64
.LBB8_22:                               ;   in Loop: Header=BB8_7 Depth=2
	s_or_b64 exec, exec, s[16:17]
.LBB8_23:                               ;   in Loop: Header=BB8_7 Depth=2
	s_or_b64 exec, exec, s[12:13]
	v_add_co_u32_e64 v2, s[12:13], 16, v2
	v_addc_co_u32_e64 v3, s[12:13], 0, v3, s[12:13]
	v_cmp_eq_u64_e64 s[16:17], s[26:27], v[24:25]
	v_cmp_le_i64_e64 s[12:13], s[34:35], v[2:3]
	s_and_b64 s[42:43], s[22:23], s[16:17]
	v_cmp_lt_i64_e64 s[16:17], v[2:3], v[14:15]
	s_or_b64 s[16:17], s[12:13], s[16:17]
	s_or_b64 s[16:17], s[16:17], s[42:43]
	;; [unrolled: 1-line block ×3, first 2 shown]
	s_xor_b64 s[16:17], s[16:17], -1
	s_and_saveexec_b64 s[52:53], s[16:17]
	s_xor_b64 s[16:17], exec, s[52:53]
	s_cbranch_execz .LBB8_25
; %bb.24:                               ;   in Loop: Header=BB8_7 Depth=2
	global_load_dword v0, v[0:1], off offset:64
	s_waitcnt vmcnt(0)
	ds_write_b32 v40, v0 offset:2048
.LBB8_25:                               ;   in Loop: Header=BB8_7 Depth=2
	s_andn2_saveexec_b64 s[16:17], s[16:17]
	s_cbranch_execz .LBB8_31
; %bb.26:                               ;   in Loop: Header=BB8_7 Depth=2
	s_xor_b64 s[42:43], s[42:43], -1
	s_and_saveexec_b64 s[52:53], s[42:43]
	s_xor_b64 s[42:43], exec, s[52:53]
	s_cbranch_execz .LBB8_28
; %bb.27:                               ;   in Loop: Header=BB8_7 Depth=2
	ds_write_b32 v40, v45 offset:2048
.LBB8_28:                               ;   in Loop: Header=BB8_7 Depth=2
	s_andn2_saveexec_b64 s[42:43], s[42:43]
	s_cbranch_execz .LBB8_30
; %bb.29:                               ;   in Loop: Header=BB8_7 Depth=2
	ds_write_b32 v40, v46 offset:2048
.LBB8_30:                               ;   in Loop: Header=BB8_7 Depth=2
	s_or_b64 exec, exec, s[42:43]
.LBB8_31:                               ;   in Loop: Header=BB8_7 Depth=2
	s_or_b64 exec, exec, s[16:17]
	s_or_b64 s[10:11], s[12:13], s[10:11]
	s_or_b64 s[10:11], s[10:11], s[38:39]
	s_or_b64 s[10:11], s[2:3], s[10:11]
	s_xor_b64 s[10:11], s[10:11], -1
	s_and_saveexec_b64 s[12:13], s[10:11]
	s_xor_b64 s[12:13], exec, s[12:13]
	s_cbranch_execz .LBB8_33
; %bb.32:                               ;   in Loop: Header=BB8_7 Depth=2
	v_mov_b32_e32 v1, s21
	v_add_co_u32_e64 v0, s[10:11], s20, v43
	v_addc_co_u32_e64 v1, s[10:11], v44, v1, s[10:11]
	global_load_dword v0, v[0:1], off offset:64
	s_waitcnt vmcnt(0)
	ds_write_b32 v40, v0 offset:2112
.LBB8_33:                               ;   in Loop: Header=BB8_7 Depth=2
	s_andn2_saveexec_b64 s[10:11], s[12:13]
	s_cbranch_execz .LBB8_39
; %bb.34:                               ;   in Loop: Header=BB8_7 Depth=2
	s_and_saveexec_b64 s[12:13], s[28:29]
	s_xor_b64 s[12:13], exec, s[12:13]
	s_cbranch_execz .LBB8_36
; %bb.35:                               ;   in Loop: Header=BB8_7 Depth=2
	ds_write_b32 v40, v45 offset:2112
.LBB8_36:                               ;   in Loop: Header=BB8_7 Depth=2
	s_andn2_saveexec_b64 s[12:13], s[12:13]
	s_cbranch_execz .LBB8_38
; %bb.37:                               ;   in Loop: Header=BB8_7 Depth=2
	ds_write_b32 v40, v46 offset:2112
.LBB8_38:                               ;   in Loop: Header=BB8_7 Depth=2
	s_or_b64 exec, exec, s[12:13]
.LBB8_39:                               ;   in Loop: Header=BB8_7 Depth=2
	s_or_b64 exec, exec, s[10:11]
	v_mov_b32_e32 v1, s27
	v_add_co_u32_e64 v0, s[10:11], s26, v14
	v_addc_co_u32_e64 v1, s[10:11], v15, v1, s[10:11]
	v_cmp_gt_i64_e64 s[10:11], s[34:35], v[0:1]
	s_and_b64 s[12:13], vcc, s[10:11]
	s_xor_b64 s[12:13], s[12:13], -1
	s_and_saveexec_b64 s[16:17], s[12:13]
	s_xor_b64 s[12:13], exec, s[16:17]
	s_cbranch_execz .LBB8_41
; %bb.40:                               ;   in Loop: Header=BB8_7 Depth=2
	ds_write_b32 v42, v45
.LBB8_41:                               ;   in Loop: Header=BB8_7 Depth=2
	s_or_saveexec_b64 s[16:17], s[12:13]
	v_mov_b32_e32 v3, s21
	v_add_co_u32_e64 v2, s[12:13], s20, v32
	v_addc_co_u32_e64 v3, s[12:13], v33, v3, s[12:13]
	s_xor_b64 exec, exec, s[16:17]
	s_cbranch_execz .LBB8_43
; %bb.42:                               ;   in Loop: Header=BB8_7 Depth=2
	global_load_dword v4, v[2:3], off offset:-64
	s_waitcnt vmcnt(0)
	ds_write_b32 v42, v4
.LBB8_43:                               ;   in Loop: Header=BB8_7 Depth=2
	s_or_b64 exec, exec, s[16:17]
	v_cmp_gt_i64_e64 s[12:13], s[40:41], v[0:1]
	s_and_b64 s[16:17], vcc, s[12:13]
	s_xor_b64 s[16:17], s[16:17], -1
	s_and_saveexec_b64 s[28:29], s[16:17]
	s_xor_b64 s[16:17], exec, s[28:29]
	s_cbranch_execz .LBB8_45
; %bb.44:                               ;   in Loop: Header=BB8_7 Depth=2
	ds_write_b32 v42, v45 offset:64
                                        ; implicit-def: $vgpr2_vgpr3
.LBB8_45:                               ;   in Loop: Header=BB8_7 Depth=2
	s_andn2_saveexec_b64 s[16:17], s[16:17]
	s_cbranch_execz .LBB8_47
; %bb.46:                               ;   in Loop: Header=BB8_7 Depth=2
	global_load_dword v0, v[2:3], off
	s_waitcnt vmcnt(0)
	ds_write_b32 v42, v0 offset:64
.LBB8_47:                               ;   in Loop: Header=BB8_7 Depth=2
	s_or_b64 exec, exec, s[16:17]
	s_and_b64 s[10:11], s[8:9], s[10:11]
	s_xor_b64 s[10:11], s[10:11], -1
	s_and_saveexec_b64 s[16:17], s[10:11]
	s_xor_b64 s[10:11], exec, s[16:17]
	s_cbranch_execz .LBB8_49
; %bb.48:                               ;   in Loop: Header=BB8_7 Depth=2
	ds_write_b32 v42, v45 offset:2048
.LBB8_49:                               ;   in Loop: Header=BB8_7 Depth=2
	s_andn2_saveexec_b64 s[16:17], s[10:11]
	s_cbranch_execz .LBB8_51
; %bb.50:                               ;   in Loop: Header=BB8_7 Depth=2
	v_mov_b32_e32 v1, s21
	v_add_co_u32_e64 v0, s[10:11], s20, v34
	v_addc_co_u32_e64 v1, s[10:11], v35, v1, s[10:11]
	global_load_dword v0, v[0:1], off offset:-64
	s_waitcnt vmcnt(0)
	ds_write_b32 v42, v0 offset:2048
.LBB8_51:                               ;   in Loop: Header=BB8_7 Depth=2
	s_or_b64 exec, exec, s[16:17]
	s_and_b64 s[10:11], s[8:9], s[12:13]
	s_xor_b64 s[10:11], s[10:11], -1
	s_and_saveexec_b64 s[12:13], s[10:11]
	s_xor_b64 s[10:11], exec, s[12:13]
	s_cbranch_execz .LBB8_53
; %bb.52:                               ;   in Loop: Header=BB8_7 Depth=2
	ds_write_b32 v42, v45 offset:2112
.LBB8_53:                               ;   in Loop: Header=BB8_7 Depth=2
	s_andn2_saveexec_b64 s[12:13], s[10:11]
	s_cbranch_execz .LBB8_6
; %bb.54:                               ;   in Loop: Header=BB8_7 Depth=2
	v_mov_b32_e32 v1, s21
	v_add_co_u32_e64 v0, s[10:11], s20, v34
	v_addc_co_u32_e64 v1, s[10:11], v35, v1, s[10:11]
	global_load_dword v0, v[0:1], off
	s_waitcnt vmcnt(0)
	ds_write_b32 v42, v0 offset:2112
	s_branch .LBB8_6
.LBB8_55:                               ;   in Loop: Header=BB8_4 Depth=1
	v_mul_lo_u32 v2, v50, s44
	v_mul_lo_u32 v3, v47, s45
	v_mad_u64_u32 v[0:1], s[8:9], v47, s44, 0
	v_add3_u32 v1, v1, v3, v2
	v_lshlrev_b64 v[0:1], 2, v[0:1]
	v_mov_b32_e32 v2, s47
	v_add_co_u32_e64 v0, s[8:9], s46, v0
	v_cmp_gt_i32_e32 vcc, s30, v47
	v_addc_co_u32_e64 v1, s[8:9], v2, v1, s[8:9]
	s_and_b64 s[8:9], s[4:5], vcc
	s_and_saveexec_b64 s[10:11], s[8:9]
	s_cbranch_execz .LBB8_57
; %bb.56:                               ;   in Loop: Header=BB8_4 Depth=1
	v_add_co_u32_e64 v2, s[8:9], v0, v26
	v_addc_co_u32_e64 v3, s[8:9], v1, v27, s[8:9]
	global_load_dword v4, v[2:3], off
	s_waitcnt vmcnt(0)
	v_fmac_f32_e32 v4, s33, v51
	global_store_dword v[2:3], v4, off
.LBB8_57:                               ;   in Loop: Header=BB8_4 Depth=1
	s_or_b64 exec, exec, s[10:11]
	s_and_b64 s[10:11], s[14:15], vcc
	s_and_saveexec_b64 s[8:9], s[10:11]
	s_cbranch_execz .LBB8_59
; %bb.58:                               ;   in Loop: Header=BB8_4 Depth=1
	v_lshlrev_b64 v[2:3], 2, v[18:19]
	v_add_co_u32_e32 v0, vcc, v0, v2
	v_addc_co_u32_e32 v1, vcc, v1, v3, vcc
	global_load_dword v2, v[0:1], off
	s_waitcnt vmcnt(0)
	v_fmac_f32_e32 v2, s33, v49
	global_store_dword v[0:1], v2, off
.LBB8_59:                               ;   in Loop: Header=BB8_4 Depth=1
	s_or_b64 exec, exec, s[8:9]
	v_add_u32_e32 v0, 16, v47
	v_ashrrev_i32_e32 v1, 31, v0
	v_cmp_gt_i32_e32 vcc, s30, v0
	v_mul_lo_u32 v2, v1, s44
	v_mul_lo_u32 v3, v0, s45
	v_mad_u64_u32 v[0:1], s[8:9], v0, s44, 0
	v_add3_u32 v1, v1, v3, v2
	v_lshlrev_b64 v[0:1], 2, v[0:1]
	v_mov_b32_e32 v2, s47
	v_add_co_u32_e64 v0, s[8:9], s46, v0
	v_addc_co_u32_e64 v1, s[8:9], v2, v1, s[8:9]
	s_and_b64 s[8:9], s[4:5], vcc
	s_and_saveexec_b64 s[10:11], s[8:9]
	s_cbranch_execz .LBB8_61
; %bb.60:                               ;   in Loop: Header=BB8_4 Depth=1
	v_add_co_u32_e64 v2, s[8:9], v0, v26
	v_addc_co_u32_e64 v3, s[8:9], v1, v27, s[8:9]
	global_load_dword v4, v[2:3], off
	s_waitcnt vmcnt(0)
	v_fmac_f32_e32 v4, s33, v48
	global_store_dword v[2:3], v4, off
.LBB8_61:                               ;   in Loop: Header=BB8_4 Depth=1
	s_or_b64 exec, exec, s[10:11]
	s_and_b64 s[10:11], s[14:15], vcc
	s_and_saveexec_b64 s[8:9], s[10:11]
	s_cbranch_execz .LBB8_3
; %bb.62:                               ;   in Loop: Header=BB8_4 Depth=1
	v_lshlrev_b64 v[2:3], 2, v[18:19]
	v_add_co_u32_e32 v0, vcc, v0, v2
	v_addc_co_u32_e32 v1, vcc, v1, v3, vcc
	global_load_dword v2, v[0:1], off
	s_waitcnt vmcnt(0)
	v_fmac_f32_e32 v2, s33, v31
	global_store_dword v[0:1], v2, off
	s_branch .LBB8_3
.LBB8_63:
	s_endpgm
	.section	.rodata,"a",@progbits
	.p2align	6, 0x0
	.amdhsa_kernel _ZL30rocblas_trmm_outofplace_kernelIfLi32ELi2ELb1ELb0ELb1ELb1EPKfS0_fEv17rocblas_diagonal_iiT6_lPT7_lllS5_lllPT8_llli
		.amdhsa_group_segment_fixed_size 8192
		.amdhsa_private_segment_fixed_size 0
		.amdhsa_kernarg_size 392
		.amdhsa_user_sgpr_count 6
		.amdhsa_user_sgpr_private_segment_buffer 1
		.amdhsa_user_sgpr_dispatch_ptr 0
		.amdhsa_user_sgpr_queue_ptr 0
		.amdhsa_user_sgpr_kernarg_segment_ptr 1
		.amdhsa_user_sgpr_dispatch_id 0
		.amdhsa_user_sgpr_flat_scratch_init 0
		.amdhsa_user_sgpr_kernarg_preload_length 0
		.amdhsa_user_sgpr_kernarg_preload_offset 0
		.amdhsa_user_sgpr_private_segment_size 0
		.amdhsa_uses_dynamic_stack 0
		.amdhsa_system_sgpr_private_segment_wavefront_offset 0
		.amdhsa_system_sgpr_workgroup_id_x 1
		.amdhsa_system_sgpr_workgroup_id_y 1
		.amdhsa_system_sgpr_workgroup_id_z 1
		.amdhsa_system_sgpr_workgroup_info 0
		.amdhsa_system_vgpr_workitem_id 1
		.amdhsa_next_free_vgpr 62
		.amdhsa_next_free_sgpr 54
		.amdhsa_accum_offset 64
		.amdhsa_reserve_vcc 1
		.amdhsa_reserve_flat_scratch 0
		.amdhsa_float_round_mode_32 0
		.amdhsa_float_round_mode_16_64 0
		.amdhsa_float_denorm_mode_32 3
		.amdhsa_float_denorm_mode_16_64 3
		.amdhsa_dx10_clamp 1
		.amdhsa_ieee_mode 1
		.amdhsa_fp16_overflow 0
		.amdhsa_tg_split 0
		.amdhsa_exception_fp_ieee_invalid_op 0
		.amdhsa_exception_fp_denorm_src 0
		.amdhsa_exception_fp_ieee_div_zero 0
		.amdhsa_exception_fp_ieee_overflow 0
		.amdhsa_exception_fp_ieee_underflow 0
		.amdhsa_exception_fp_ieee_inexact 0
		.amdhsa_exception_int_div_zero 0
	.end_amdhsa_kernel
	.section	.text._ZL30rocblas_trmm_outofplace_kernelIfLi32ELi2ELb1ELb0ELb1ELb1EPKfS0_fEv17rocblas_diagonal_iiT6_lPT7_lllS5_lllPT8_llli,"axG",@progbits,_ZL30rocblas_trmm_outofplace_kernelIfLi32ELi2ELb1ELb0ELb1ELb1EPKfS0_fEv17rocblas_diagonal_iiT6_lPT7_lllS5_lllPT8_llli,comdat
.Lfunc_end8:
	.size	_ZL30rocblas_trmm_outofplace_kernelIfLi32ELi2ELb1ELb0ELb1ELb1EPKfS0_fEv17rocblas_diagonal_iiT6_lPT7_lllS5_lllPT8_llli, .Lfunc_end8-_ZL30rocblas_trmm_outofplace_kernelIfLi32ELi2ELb1ELb0ELb1ELb1EPKfS0_fEv17rocblas_diagonal_iiT6_lPT7_lllS5_lllPT8_llli
                                        ; -- End function
	.section	.AMDGPU.csdata,"",@progbits
; Kernel info:
; codeLenInByte = 3220
; NumSgprs: 58
; NumVgprs: 62
; NumAgprs: 0
; TotalNumVgprs: 62
; ScratchSize: 0
; MemoryBound: 0
; FloatMode: 240
; IeeeMode: 1
; LDSByteSize: 8192 bytes/workgroup (compile time only)
; SGPRBlocks: 7
; VGPRBlocks: 7
; NumSGPRsForWavesPerEU: 58
; NumVGPRsForWavesPerEU: 62
; AccumOffset: 64
; Occupancy: 8
; WaveLimiterHint : 0
; COMPUTE_PGM_RSRC2:SCRATCH_EN: 0
; COMPUTE_PGM_RSRC2:USER_SGPR: 6
; COMPUTE_PGM_RSRC2:TRAP_HANDLER: 0
; COMPUTE_PGM_RSRC2:TGID_X_EN: 1
; COMPUTE_PGM_RSRC2:TGID_Y_EN: 1
; COMPUTE_PGM_RSRC2:TGID_Z_EN: 1
; COMPUTE_PGM_RSRC2:TIDIG_COMP_CNT: 1
; COMPUTE_PGM_RSRC3_GFX90A:ACCUM_OFFSET: 15
; COMPUTE_PGM_RSRC3_GFX90A:TG_SPLIT: 0
	.section	.text._ZL30rocblas_trmm_outofplace_kernelIfLi32ELi2ELb1ELb0ELb1ELb1EfKffEv17rocblas_diagonal_iiT6_lPT7_lllS4_lllPT8_llli,"axG",@progbits,_ZL30rocblas_trmm_outofplace_kernelIfLi32ELi2ELb1ELb0ELb1ELb1EfKffEv17rocblas_diagonal_iiT6_lPT7_lllS4_lllPT8_llli,comdat
	.globl	_ZL30rocblas_trmm_outofplace_kernelIfLi32ELi2ELb1ELb0ELb1ELb1EfKffEv17rocblas_diagonal_iiT6_lPT7_lllS4_lllPT8_llli ; -- Begin function _ZL30rocblas_trmm_outofplace_kernelIfLi32ELi2ELb1ELb0ELb1ELb1EfKffEv17rocblas_diagonal_iiT6_lPT7_lllS4_lllPT8_llli
	.p2align	8
	.type	_ZL30rocblas_trmm_outofplace_kernelIfLi32ELi2ELb1ELb0ELb1ELb1EfKffEv17rocblas_diagonal_iiT6_lPT7_lllS4_lllPT8_llli,@function
_ZL30rocblas_trmm_outofplace_kernelIfLi32ELi2ELb1ELb0ELb1ELb1EfKffEv17rocblas_diagonal_iiT6_lPT7_lllS4_lllPT8_llli: ; @_ZL30rocblas_trmm_outofplace_kernelIfLi32ELi2ELb1ELb0ELb1ELb1EfKffEv17rocblas_diagonal_iiT6_lPT7_lllS4_lllPT8_llli
; %bb.0:
	s_load_dwordx4 s[28:31], s[4:5], 0x0
	s_waitcnt lgkmcnt(0)
	v_cmp_eq_f32_e64 s[0:1], s31, 0
	s_and_b64 vcc, exec, s[0:1]
	s_cbranch_vccnz .LBB9_63
; %bb.1:
	s_add_i32 s0, s30, -1
	s_ashr_i32 s1, s0, 31
	s_lshr_b32 s1, s1, 27
	s_add_i32 s0, s0, s1
	s_ashr_i32 s33, s0, 5
	s_cmp_gt_i32 s7, s33
	s_cbranch_scc1 .LBB9_63
; %bb.2:
	s_load_dwordx16 s[12:27], s[4:5], 0x18
	s_load_dwordx8 s[36:43], s[4:5], 0x58
	v_and_b32_e32 v2, 0x3ff, v0
	v_bfe_u32 v36, v0, 10, 10
	s_load_dword s50, s[4:5], 0x84
	s_waitcnt lgkmcnt(0)
	s_mul_i32 s1, s8, s19
	s_mul_hi_u32 s2, s8, s18
	s_mul_i32 s0, s8, s18
	s_add_i32 s1, s2, s1
	s_lshl_b64 s[10:11], s[0:1], 2
	s_add_u32 s0, s12, s10
	s_addc_u32 s1, s13, s11
	s_lshl_b64 s[44:45], s[14:15], 2
	s_add_u32 s2, s0, s44
	s_addc_u32 s3, s1, s45
	s_mul_i32 s0, s8, s43
	s_mul_hi_u32 s1, s8, s42
	s_add_i32 s1, s1, s0
	s_mul_i32 s0, s8, s42
	s_lshl_b64 s[0:1], s[0:1], 2
	s_add_u32 s9, s36, s0
	s_addc_u32 s14, s37, s1
	s_lshl_b64 s[0:1], s[38:39], 2
	s_add_u32 s46, s9, s0
	s_addc_u32 s47, s14, s1
	s_lshl_b32 s6, s6, 5
	v_add_u32_e32 v14, s6, v2
	v_ashrrev_i32_e32 v15, 31, v14
	v_mul_lo_u32 v3, v15, s16
	v_mul_lo_u32 v4, v14, s17
	v_mad_u64_u32 v[0:1], s[0:1], v14, s16, 0
	v_add3_u32 v1, v1, v4, v3
	v_add_u32_e32 v12, s6, v36
	v_lshlrev_b64 v[0:1], 2, v[0:1]
	v_ashrrev_i32_e32 v13, 31, v12
	v_mov_b32_e32 v3, s3
	v_add_co_u32_e32 v4, vcc, s2, v0
	v_addc_co_u32_e32 v3, vcc, v3, v1, vcc
	v_lshlrev_b64 v[0:1], 2, v[12:13]
	v_add_co_u32_e32 v37, vcc, v4, v0
	v_addc_co_u32_e32 v38, vcc, v3, v1, vcc
	s_sub_i32 s6, s29, s6
	s_cmp_gt_i32 s6, 0
	v_add_co_u32_e32 v16, vcc, 16, v14
	s_cselect_b64 s[18:19], -1, 0
	s_cmpk_eq_i32 s28, 0x84
	v_addc_co_u32_e32 v17, vcc, 0, v15, vcc
	s_cselect_b64 s[34:35], -1, 0
	s_ashr_i32 s37, s29, 31
	s_ashr_i32 s48, s30, 31
	v_sub_co_u32_e32 v20, vcc, v14, v12
	s_add_u32 s38, s29, -16
	v_subb_co_u32_e32 v21, vcc, v15, v13, vcc
	s_mul_i32 s9, s27, s8
	s_mul_hi_u32 s27, s26, s8
	s_addc_u32 s39, s37, -1
	v_add_co_u32_e32 v22, vcc, 16, v20
	s_add_i32 s9, s27, s9
	s_mul_i32 s8, s26, s8
	v_addc_co_u32_e32 v23, vcc, 0, v21, vcc
	s_lshl_b64 s[8:9], s[8:9], 2
	s_lshl_b64 s[22:23], s[22:23], 2
	v_add_co_u32_e32 v24, vcc, -16, v20
	s_add_u32 s8, s8, s22
	v_addc_co_u32_e32 v25, vcc, -1, v21, vcc
	s_addc_u32 s9, s9, s23
	v_lshlrev_b64 v[26:27], 2, v[14:15]
	s_add_u32 s8, s20, s8
	v_add_co_u32_e32 v4, vcc, 64, v26
	v_lshlrev_b32_e32 v39, 2, v2
	s_addc_u32 s9, s21, s9
	v_addc_co_u32_e32 v2, vcc, 0, v27, vcc
	s_lshl_b64 s[20:21], s[24:25], 2
	s_lshl_b32 s51, s50, 5
	v_lshlrev_b32_e32 v3, 7, v36
	v_add_co_u32_e32 v28, vcc, s8, v4
	s_add_u32 s8, s44, s10
	v_add_u32_e32 v40, v39, v3
	v_add_u32_e32 v41, 0x1000, v3
	v_mov_b32_e32 v3, s9
	s_addc_u32 s9, s45, s11
	v_addc_co_u32_e32 v29, vcc, v2, v3, vcc
	v_mul_lo_u32 v5, s16, v2
	v_pk_mov_b32 v[2:3], s[8:9], s[8:9] op_sel:[0,1]
	v_mul_lo_u32 v6, s17, v4
	v_mad_u64_u32 v[2:3], s[8:9], s16, v4, v[2:3]
	v_add3_u32 v3, v6, v3, v5
	v_add_co_u32_e32 v0, vcc, v2, v0
	v_addc_co_u32_e32 v1, vcc, v3, v1, vcc
	s_mov_b32 s36, s29
	v_add_u32_e32 v18, 16, v14
	v_mov_b32_e32 v2, s13
	v_add_co_u32_e32 v43, vcc, s12, v0
	s_mov_b32 s49, s30
	v_cmp_le_i32_e64 s[0:1], s29, v14
	v_cmp_le_i64_e64 s[2:3], s[36:37], v[16:17]
	v_add_u32_e32 v42, v41, v39
	v_cmp_gt_i32_e64 s[4:5], s29, v14
	v_cmp_gt_i32_e64 s[14:15], s29, v18
	v_ashrrev_i32_e32 v19, 31, v18
	v_lshl_add_u32 v30, s7, 5, v36
	v_addc_co_u32_e32 v44, vcc, v2, v1, vcc
	v_mov_b32_e32 v45, 0
	v_mov_b32_e32 v46, 1.0
	s_branch .LBB9_4
.LBB9_3:                                ;   in Loop: Header=BB9_4 Depth=1
	s_or_b64 exec, exec, s[8:9]
	s_add_i32 s7, s50, s7
	s_cmp_le_i32 s7, s33
	v_add_u32_e32 v30, s51, v30
	s_cbranch_scc0 .LBB9_63
.LBB9_4:                                ; =>This Loop Header: Depth=1
                                        ;     Child Loop BB9_7 Depth 2
	v_lshl_add_u32 v47, s7, 5, v36
	v_ashrrev_i32_e32 v50, 31, v47
	s_andn2_b64 vcc, exec, s[18:19]
	v_mov_b32_e32 v51, 0
	v_mov_b32_e32 v49, 0
	;; [unrolled: 1-line block ×4, first 2 shown]
	s_cbranch_vccnz .LBB9_55
; %bb.5:                                ;   in Loop: Header=BB9_4 Depth=1
	v_ashrrev_i32_e32 v31, 31, v30
	v_mad_u64_u32 v[32:33], s[8:9], s20, v30, v[28:29]
	v_mul_lo_u32 v0, s21, v30
	v_mul_lo_u32 v1, s20, v31
	v_add3_u32 v33, v0, v33, v1
	v_lshlrev_b64 v[0:1], 2, v[30:31]
	v_add_co_u32_e32 v0, vcc, 64, v0
	v_addc_co_u32_e32 v1, vcc, 0, v1, vcc
	v_mul_lo_u32 v1, s24, v1
	v_mul_lo_u32 v2, s25, v0
	v_mad_u64_u32 v[34:35], s[8:9], s24, v0, v[28:29]
	v_add3_u32 v35, v2, v35, v1
	v_mov_b32_e32 v1, s48
	v_sub_co_u32_e32 v0, vcc, s49, v47
	v_subb_co_u32_e32 v1, vcc, v1, v50, vcc
	s_mov_b64 s[22:23], 0
	v_cmp_lt_i64_e32 vcc, 0, v[0:1]
	v_cmp_lt_i64_e64 s[8:9], 16, v[0:1]
	v_mov_b32_e32 v31, 0
	s_mov_b64 s[26:27], 0
	v_mov_b32_e32 v48, 0
	v_mov_b32_e32 v49, 0
	;; [unrolled: 1-line block ×3, first 2 shown]
	s_branch .LBB9_7
.LBB9_6:                                ;   in Loop: Header=BB9_7 Depth=2
	s_or_b64 exec, exec, s[12:13]
	s_waitcnt lgkmcnt(0)
	s_barrier
	ds_read_b128 v[52:55], v41
	ds_read_b128 v[8:11], v41 offset:16
	ds_read_b128 v[4:7], v41 offset:32
	;; [unrolled: 1-line block ×3, first 2 shown]
	ds_read2_b32 v[60:61], v39 offset1:16
	ds_read_b128 v[56:59], v41 offset:2048
	s_add_u32 s26, s26, 32
	s_addc_u32 s27, s27, 0
	s_add_u32 s22, s22, 0x80
	s_waitcnt lgkmcnt(1)
	v_fmac_f32_e32 v51, v60, v52
	v_fmac_f32_e32 v49, v61, v52
	s_waitcnt lgkmcnt(0)
	v_fmac_f32_e32 v48, v60, v56
	v_fmac_f32_e32 v31, v61, v56
	ds_read2_b32 v[60:61], v39 offset0:32 offset1:48
	s_addc_u32 s23, s23, 0
	s_cmp_ge_i32 s26, s6
	s_waitcnt lgkmcnt(0)
	v_fmac_f32_e32 v51, v60, v53
	v_fmac_f32_e32 v49, v61, v53
	ds_read2_b32 v[52:53], v39 offset0:64 offset1:80
	v_fmac_f32_e32 v48, v60, v57
	v_fmac_f32_e32 v31, v61, v57
	ds_read2_b32 v[56:57], v39 offset0:128 offset1:144
	s_waitcnt lgkmcnt(1)
	v_fmac_f32_e32 v51, v52, v54
	v_fmac_f32_e32 v49, v53, v54
	;; [unrolled: 1-line block ×4, first 2 shown]
	ds_read2_b32 v[52:53], v39 offset0:96 offset1:112
	s_waitcnt lgkmcnt(0)
	v_fmac_f32_e32 v51, v52, v55
	v_fmac_f32_e32 v49, v53, v55
	;; [unrolled: 1-line block ×4, first 2 shown]
	ds_read_b128 v[52:55], v41 offset:2064
	v_fmac_f32_e32 v51, v56, v8
	v_fmac_f32_e32 v49, v57, v8
	s_waitcnt lgkmcnt(0)
	v_fmac_f32_e32 v48, v56, v52
	v_fmac_f32_e32 v31, v57, v52
	ds_read2_b32 v[56:57], v39 offset0:160 offset1:176
	s_waitcnt lgkmcnt(0)
	v_fmac_f32_e32 v51, v56, v9
	v_fmac_f32_e32 v49, v57, v9
	ds_read2_b32 v[8:9], v39 offset0:192 offset1:208
	v_fmac_f32_e32 v48, v56, v53
	v_fmac_f32_e32 v31, v57, v53
	s_waitcnt lgkmcnt(0)
	v_fmac_f32_e32 v51, v8, v10
	v_fmac_f32_e32 v49, v9, v10
	;; [unrolled: 1-line block ×4, first 2 shown]
	ds_read2_b32 v[8:9], v39 offset0:224 offset1:240
	v_add_u32_e32 v54, 0x400, v39
	ds_read2_b32 v[52:53], v54 offset1:16
	s_waitcnt lgkmcnt(1)
	v_fmac_f32_e32 v51, v8, v11
	v_fmac_f32_e32 v49, v9, v11
	v_fmac_f32_e32 v48, v8, v55
	v_fmac_f32_e32 v31, v9, v55
	ds_read_b128 v[8:11], v41 offset:2080
	s_waitcnt lgkmcnt(1)
	v_fmac_f32_e32 v51, v52, v4
	v_fmac_f32_e32 v49, v53, v4
	s_waitcnt lgkmcnt(0)
	v_fmac_f32_e32 v48, v52, v8
	v_fmac_f32_e32 v31, v53, v8
	ds_read2_b32 v[52:53], v54 offset0:32 offset1:48
	s_waitcnt lgkmcnt(0)
	v_fmac_f32_e32 v51, v52, v5
	v_fmac_f32_e32 v49, v53, v5
	ds_read2_b32 v[4:5], v54 offset0:64 offset1:80
	v_fmac_f32_e32 v48, v52, v9
	v_fmac_f32_e32 v31, v53, v9
	ds_read2_b32 v[8:9], v54 offset0:128 offset1:144
	s_waitcnt lgkmcnt(1)
	v_fmac_f32_e32 v51, v4, v6
	v_fmac_f32_e32 v49, v5, v6
	;; [unrolled: 1-line block ×4, first 2 shown]
	ds_read2_b32 v[4:5], v54 offset0:96 offset1:112
	v_add_u32_e32 v10, 0x800, v39
	s_waitcnt lgkmcnt(0)
	v_fmac_f32_e32 v51, v4, v7
	v_fmac_f32_e32 v49, v5, v7
	;; [unrolled: 1-line block ×4, first 2 shown]
	ds_read_b128 v[4:7], v41 offset:2096
	v_fmac_f32_e32 v51, v8, v0
	v_fmac_f32_e32 v49, v9, v0
	s_waitcnt lgkmcnt(0)
	v_fmac_f32_e32 v48, v8, v4
	v_fmac_f32_e32 v31, v9, v4
	ds_read2_b32 v[8:9], v54 offset0:160 offset1:176
	s_waitcnt lgkmcnt(0)
	v_fmac_f32_e32 v51, v8, v1
	v_fmac_f32_e32 v49, v9, v1
	ds_read2_b32 v[0:1], v54 offset0:192 offset1:208
	v_fmac_f32_e32 v48, v8, v5
	v_fmac_f32_e32 v31, v9, v5
	ds_read2_b32 v[8:9], v10 offset1:16
	s_waitcnt lgkmcnt(1)
	v_fmac_f32_e32 v51, v0, v2
	v_fmac_f32_e32 v49, v1, v2
	;; [unrolled: 1-line block ×4, first 2 shown]
	ds_read2_b32 v[0:1], v54 offset0:224 offset1:240
	s_waitcnt lgkmcnt(0)
	v_fmac_f32_e32 v51, v0, v3
	v_fmac_f32_e32 v49, v1, v3
	;; [unrolled: 1-line block ×4, first 2 shown]
	ds_read_b128 v[0:3], v41 offset:64
	ds_read_b128 v[4:7], v41 offset:2112
	s_waitcnt lgkmcnt(1)
	v_fmac_f32_e32 v51, v8, v0
	v_fmac_f32_e32 v49, v9, v0
	s_waitcnt lgkmcnt(0)
	v_fmac_f32_e32 v48, v8, v4
	v_fmac_f32_e32 v31, v9, v4
	ds_read2_b32 v[8:9], v10 offset0:32 offset1:48
	s_waitcnt lgkmcnt(0)
	v_fmac_f32_e32 v51, v8, v1
	v_fmac_f32_e32 v49, v9, v1
	ds_read2_b32 v[0:1], v10 offset0:64 offset1:80
	v_fmac_f32_e32 v48, v8, v5
	v_fmac_f32_e32 v31, v9, v5
	s_waitcnt lgkmcnt(0)
	v_fmac_f32_e32 v51, v0, v2
	v_fmac_f32_e32 v49, v1, v2
	;; [unrolled: 1-line block ×4, first 2 shown]
	ds_read2_b32 v[0:1], v10 offset0:96 offset1:112
	s_waitcnt lgkmcnt(0)
	v_fmac_f32_e32 v51, v0, v3
	v_fmac_f32_e32 v49, v1, v3
	;; [unrolled: 1-line block ×4, first 2 shown]
	ds_read_b128 v[0:3], v41 offset:80
	ds_read2_b32 v[8:9], v10 offset0:128 offset1:144
	ds_read_b128 v[4:7], v41 offset:2128
	s_waitcnt lgkmcnt(1)
	v_fmac_f32_e32 v51, v8, v0
	v_fmac_f32_e32 v49, v9, v0
	s_waitcnt lgkmcnt(0)
	v_fmac_f32_e32 v48, v8, v4
	v_fmac_f32_e32 v31, v9, v4
	ds_read2_b32 v[8:9], v10 offset0:160 offset1:176
	s_waitcnt lgkmcnt(0)
	v_fmac_f32_e32 v51, v8, v1
	v_fmac_f32_e32 v49, v9, v1
	ds_read2_b32 v[0:1], v10 offset0:192 offset1:208
	v_fmac_f32_e32 v48, v8, v5
	v_fmac_f32_e32 v31, v9, v5
	s_waitcnt lgkmcnt(0)
	v_fmac_f32_e32 v51, v0, v2
	v_fmac_f32_e32 v49, v1, v2
	;; [unrolled: 1-line block ×4, first 2 shown]
	ds_read2_b32 v[0:1], v10 offset0:224 offset1:240
	v_add_u32_e32 v10, 0xc00, v39
	ds_read2_b32 v[8:9], v10 offset1:16
	s_waitcnt lgkmcnt(1)
	v_fmac_f32_e32 v51, v0, v3
	v_fmac_f32_e32 v49, v1, v3
	;; [unrolled: 1-line block ×4, first 2 shown]
	ds_read_b128 v[0:3], v41 offset:96
	ds_read_b128 v[4:7], v41 offset:2144
	s_waitcnt lgkmcnt(1)
	v_fmac_f32_e32 v51, v8, v0
	v_fmac_f32_e32 v49, v9, v0
	s_waitcnt lgkmcnt(0)
	v_fmac_f32_e32 v48, v8, v4
	v_fmac_f32_e32 v31, v9, v4
	ds_read2_b32 v[8:9], v10 offset0:32 offset1:48
	s_waitcnt lgkmcnt(0)
	v_fmac_f32_e32 v51, v8, v1
	v_fmac_f32_e32 v49, v9, v1
	ds_read2_b32 v[0:1], v10 offset0:64 offset1:80
	v_fmac_f32_e32 v48, v8, v5
	v_fmac_f32_e32 v31, v9, v5
	s_waitcnt lgkmcnt(0)
	v_fmac_f32_e32 v51, v0, v2
	v_fmac_f32_e32 v49, v1, v2
	v_fmac_f32_e32 v48, v0, v6
	v_fmac_f32_e32 v31, v1, v6
	ds_read2_b32 v[0:1], v10 offset0:96 offset1:112
	s_waitcnt lgkmcnt(0)
	v_fmac_f32_e32 v51, v0, v3
	v_fmac_f32_e32 v49, v1, v3
	;; [unrolled: 1-line block ×4, first 2 shown]
	ds_read_b128 v[0:3], v41 offset:112
	ds_read2_b32 v[8:9], v10 offset0:128 offset1:144
	ds_read_b128 v[4:7], v41 offset:2160
	s_waitcnt lgkmcnt(1)
	v_fmac_f32_e32 v51, v8, v0
	v_fmac_f32_e32 v49, v9, v0
	s_waitcnt lgkmcnt(0)
	v_fmac_f32_e32 v48, v8, v4
	v_fmac_f32_e32 v31, v9, v4
	ds_read2_b32 v[8:9], v10 offset0:160 offset1:176
	s_waitcnt lgkmcnt(0)
	v_fmac_f32_e32 v51, v8, v1
	v_fmac_f32_e32 v49, v9, v1
	ds_read2_b32 v[0:1], v10 offset0:192 offset1:208
	v_fmac_f32_e32 v48, v8, v5
	v_fmac_f32_e32 v31, v9, v5
	s_waitcnt lgkmcnt(0)
	v_fmac_f32_e32 v51, v0, v2
	v_fmac_f32_e32 v49, v1, v2
	v_fmac_f32_e32 v48, v0, v6
	v_fmac_f32_e32 v31, v1, v6
	ds_read2_b32 v[0:1], v10 offset0:224 offset1:240
	s_waitcnt lgkmcnt(0)
	s_barrier
	v_fmac_f32_e32 v51, v0, v3
	v_fmac_f32_e32 v49, v1, v3
	;; [unrolled: 1-line block ×4, first 2 shown]
	s_cbranch_scc1 .LBB9_55
.LBB9_7:                                ;   Parent Loop BB9_4 Depth=1
                                        ; =>  This Inner Loop Header: Depth=2
	v_mov_b32_e32 v0, s27
	v_add_co_u32_e64 v2, s[10:11], s26, v12
	v_addc_co_u32_e64 v3, s[10:11], v13, v0, s[10:11]
	v_mov_b32_e32 v1, s23
	v_add_co_u32_e64 v0, s[10:11], s22, v37
	v_addc_co_u32_e64 v1, s[10:11], v38, v1, s[10:11]
	v_cmp_eq_u64_e64 s[10:11], s[26:27], v[20:21]
	v_cmp_le_i64_e64 s[12:13], s[36:37], v[2:3]
	s_and_b64 s[42:43], s[34:35], s[10:11]
	v_cmp_lt_i64_e64 s[10:11], v[2:3], v[14:15]
	s_or_b64 s[16:17], s[12:13], s[10:11]
	s_or_b64 s[16:17], s[16:17], s[42:43]
	;; [unrolled: 1-line block ×3, first 2 shown]
	s_xor_b64 s[16:17], s[16:17], -1
	s_and_saveexec_b64 s[28:29], s[16:17]
	s_xor_b64 s[16:17], exec, s[28:29]
	s_cbranch_execz .LBB9_9
; %bb.8:                                ;   in Loop: Header=BB9_7 Depth=2
	global_load_dword v4, v[0:1], off
	s_waitcnt vmcnt(0)
	ds_write_b32 v40, v4
.LBB9_9:                                ;   in Loop: Header=BB9_7 Depth=2
	s_or_saveexec_b64 s[16:17], s[16:17]
	s_xor_b64 s[28:29], s[42:43], -1
	s_xor_b64 exec, exec, s[16:17]
	s_cbranch_execz .LBB9_15
; %bb.10:                               ;   in Loop: Header=BB9_7 Depth=2
	s_and_saveexec_b64 s[44:45], s[28:29]
	s_xor_b64 s[44:45], exec, s[44:45]
	s_cbranch_execz .LBB9_12
; %bb.11:                               ;   in Loop: Header=BB9_7 Depth=2
	ds_write_b32 v40, v45
.LBB9_12:                               ;   in Loop: Header=BB9_7 Depth=2
	s_andn2_saveexec_b64 s[44:45], s[44:45]
	s_cbranch_execz .LBB9_14
; %bb.13:                               ;   in Loop: Header=BB9_7 Depth=2
	ds_write_b32 v40, v46
.LBB9_14:                               ;   in Loop: Header=BB9_7 Depth=2
	s_or_b64 exec, exec, s[44:45]
.LBB9_15:                               ;   in Loop: Header=BB9_7 Depth=2
	s_or_b64 exec, exec, s[16:17]
	v_cmp_eq_u64_e64 s[16:17], s[26:27], v[22:23]
	s_and_b64 s[44:45], s[34:35], s[16:17]
	v_cmp_gt_i64_e64 s[16:17], v[16:17], v[2:3]
	s_or_b64 s[12:13], s[12:13], s[16:17]
	s_or_b64 s[12:13], s[12:13], s[44:45]
	;; [unrolled: 1-line block ×3, first 2 shown]
	s_xor_b64 s[12:13], s[12:13], -1
	s_and_saveexec_b64 s[16:17], s[12:13]
	s_xor_b64 s[16:17], exec, s[16:17]
	s_cbranch_execz .LBB9_17
; %bb.16:                               ;   in Loop: Header=BB9_7 Depth=2
	v_mov_b32_e32 v5, s23
	v_add_co_u32_e64 v4, s[12:13], s22, v43
	v_addc_co_u32_e64 v5, s[12:13], v44, v5, s[12:13]
	global_load_dword v4, v[4:5], off
	s_waitcnt vmcnt(0)
	ds_write_b32 v40, v4 offset:64
.LBB9_17:                               ;   in Loop: Header=BB9_7 Depth=2
	s_andn2_saveexec_b64 s[12:13], s[16:17]
	s_cbranch_execz .LBB9_23
; %bb.18:                               ;   in Loop: Header=BB9_7 Depth=2
	s_xor_b64 s[16:17], s[44:45], -1
	s_and_saveexec_b64 s[44:45], s[16:17]
	s_xor_b64 s[16:17], exec, s[44:45]
	s_cbranch_execz .LBB9_20
; %bb.19:                               ;   in Loop: Header=BB9_7 Depth=2
	ds_write_b32 v40, v45 offset:64
.LBB9_20:                               ;   in Loop: Header=BB9_7 Depth=2
	s_andn2_saveexec_b64 s[16:17], s[16:17]
	s_cbranch_execz .LBB9_22
; %bb.21:                               ;   in Loop: Header=BB9_7 Depth=2
	ds_write_b32 v40, v46 offset:64
.LBB9_22:                               ;   in Loop: Header=BB9_7 Depth=2
	s_or_b64 exec, exec, s[16:17]
.LBB9_23:                               ;   in Loop: Header=BB9_7 Depth=2
	s_or_b64 exec, exec, s[12:13]
	v_add_co_u32_e64 v2, s[12:13], 16, v2
	v_addc_co_u32_e64 v3, s[12:13], 0, v3, s[12:13]
	v_cmp_eq_u64_e64 s[16:17], s[26:27], v[24:25]
	v_cmp_le_i64_e64 s[12:13], s[36:37], v[2:3]
	s_and_b64 s[44:45], s[34:35], s[16:17]
	v_cmp_lt_i64_e64 s[16:17], v[2:3], v[14:15]
	s_or_b64 s[16:17], s[12:13], s[16:17]
	s_or_b64 s[16:17], s[16:17], s[44:45]
	;; [unrolled: 1-line block ×3, first 2 shown]
	s_xor_b64 s[16:17], s[16:17], -1
	s_and_saveexec_b64 s[52:53], s[16:17]
	s_xor_b64 s[16:17], exec, s[52:53]
	s_cbranch_execz .LBB9_25
; %bb.24:                               ;   in Loop: Header=BB9_7 Depth=2
	global_load_dword v0, v[0:1], off offset:64
	s_waitcnt vmcnt(0)
	ds_write_b32 v40, v0 offset:2048
.LBB9_25:                               ;   in Loop: Header=BB9_7 Depth=2
	s_andn2_saveexec_b64 s[16:17], s[16:17]
	s_cbranch_execz .LBB9_31
; %bb.26:                               ;   in Loop: Header=BB9_7 Depth=2
	s_xor_b64 s[44:45], s[44:45], -1
	s_and_saveexec_b64 s[52:53], s[44:45]
	s_xor_b64 s[44:45], exec, s[52:53]
	s_cbranch_execz .LBB9_28
; %bb.27:                               ;   in Loop: Header=BB9_7 Depth=2
	ds_write_b32 v40, v45 offset:2048
.LBB9_28:                               ;   in Loop: Header=BB9_7 Depth=2
	s_andn2_saveexec_b64 s[44:45], s[44:45]
	s_cbranch_execz .LBB9_30
; %bb.29:                               ;   in Loop: Header=BB9_7 Depth=2
	ds_write_b32 v40, v46 offset:2048
.LBB9_30:                               ;   in Loop: Header=BB9_7 Depth=2
	s_or_b64 exec, exec, s[44:45]
.LBB9_31:                               ;   in Loop: Header=BB9_7 Depth=2
	s_or_b64 exec, exec, s[16:17]
	s_or_b64 s[10:11], s[12:13], s[10:11]
	s_or_b64 s[10:11], s[10:11], s[42:43]
	;; [unrolled: 1-line block ×3, first 2 shown]
	s_xor_b64 s[10:11], s[10:11], -1
	s_and_saveexec_b64 s[12:13], s[10:11]
	s_xor_b64 s[12:13], exec, s[12:13]
	s_cbranch_execz .LBB9_33
; %bb.32:                               ;   in Loop: Header=BB9_7 Depth=2
	v_mov_b32_e32 v1, s23
	v_add_co_u32_e64 v0, s[10:11], s22, v43
	v_addc_co_u32_e64 v1, s[10:11], v44, v1, s[10:11]
	global_load_dword v0, v[0:1], off offset:64
	s_waitcnt vmcnt(0)
	ds_write_b32 v40, v0 offset:2112
.LBB9_33:                               ;   in Loop: Header=BB9_7 Depth=2
	s_andn2_saveexec_b64 s[10:11], s[12:13]
	s_cbranch_execz .LBB9_39
; %bb.34:                               ;   in Loop: Header=BB9_7 Depth=2
	s_and_saveexec_b64 s[12:13], s[28:29]
	s_xor_b64 s[12:13], exec, s[12:13]
	s_cbranch_execz .LBB9_36
; %bb.35:                               ;   in Loop: Header=BB9_7 Depth=2
	ds_write_b32 v40, v45 offset:2112
.LBB9_36:                               ;   in Loop: Header=BB9_7 Depth=2
	s_andn2_saveexec_b64 s[12:13], s[12:13]
	s_cbranch_execz .LBB9_38
; %bb.37:                               ;   in Loop: Header=BB9_7 Depth=2
	ds_write_b32 v40, v46 offset:2112
.LBB9_38:                               ;   in Loop: Header=BB9_7 Depth=2
	s_or_b64 exec, exec, s[12:13]
.LBB9_39:                               ;   in Loop: Header=BB9_7 Depth=2
	s_or_b64 exec, exec, s[10:11]
	v_mov_b32_e32 v1, s27
	v_add_co_u32_e64 v0, s[10:11], s26, v14
	v_addc_co_u32_e64 v1, s[10:11], v15, v1, s[10:11]
	v_cmp_gt_i64_e64 s[10:11], s[36:37], v[0:1]
	s_and_b64 s[12:13], vcc, s[10:11]
	s_xor_b64 s[12:13], s[12:13], -1
	s_and_saveexec_b64 s[16:17], s[12:13]
	s_xor_b64 s[12:13], exec, s[16:17]
	s_cbranch_execz .LBB9_41
; %bb.40:                               ;   in Loop: Header=BB9_7 Depth=2
	ds_write_b32 v42, v45
.LBB9_41:                               ;   in Loop: Header=BB9_7 Depth=2
	s_or_saveexec_b64 s[16:17], s[12:13]
	v_mov_b32_e32 v3, s23
	v_add_co_u32_e64 v2, s[12:13], s22, v32
	v_addc_co_u32_e64 v3, s[12:13], v33, v3, s[12:13]
	s_xor_b64 exec, exec, s[16:17]
	s_cbranch_execz .LBB9_43
; %bb.42:                               ;   in Loop: Header=BB9_7 Depth=2
	global_load_dword v4, v[2:3], off offset:-64
	s_waitcnt vmcnt(0)
	ds_write_b32 v42, v4
.LBB9_43:                               ;   in Loop: Header=BB9_7 Depth=2
	s_or_b64 exec, exec, s[16:17]
	v_cmp_gt_i64_e64 s[12:13], s[38:39], v[0:1]
	s_and_b64 s[16:17], vcc, s[12:13]
	s_xor_b64 s[16:17], s[16:17], -1
	s_and_saveexec_b64 s[28:29], s[16:17]
	s_xor_b64 s[16:17], exec, s[28:29]
	s_cbranch_execz .LBB9_45
; %bb.44:                               ;   in Loop: Header=BB9_7 Depth=2
	ds_write_b32 v42, v45 offset:64
                                        ; implicit-def: $vgpr2_vgpr3
.LBB9_45:                               ;   in Loop: Header=BB9_7 Depth=2
	s_andn2_saveexec_b64 s[16:17], s[16:17]
	s_cbranch_execz .LBB9_47
; %bb.46:                               ;   in Loop: Header=BB9_7 Depth=2
	global_load_dword v0, v[2:3], off
	s_waitcnt vmcnt(0)
	ds_write_b32 v42, v0 offset:64
.LBB9_47:                               ;   in Loop: Header=BB9_7 Depth=2
	s_or_b64 exec, exec, s[16:17]
	s_and_b64 s[10:11], s[8:9], s[10:11]
	s_xor_b64 s[10:11], s[10:11], -1
	s_and_saveexec_b64 s[16:17], s[10:11]
	s_xor_b64 s[10:11], exec, s[16:17]
	s_cbranch_execz .LBB9_49
; %bb.48:                               ;   in Loop: Header=BB9_7 Depth=2
	ds_write_b32 v42, v45 offset:2048
.LBB9_49:                               ;   in Loop: Header=BB9_7 Depth=2
	s_andn2_saveexec_b64 s[16:17], s[10:11]
	s_cbranch_execz .LBB9_51
; %bb.50:                               ;   in Loop: Header=BB9_7 Depth=2
	v_mov_b32_e32 v1, s23
	v_add_co_u32_e64 v0, s[10:11], s22, v34
	v_addc_co_u32_e64 v1, s[10:11], v35, v1, s[10:11]
	global_load_dword v0, v[0:1], off offset:-64
	s_waitcnt vmcnt(0)
	ds_write_b32 v42, v0 offset:2048
.LBB9_51:                               ;   in Loop: Header=BB9_7 Depth=2
	s_or_b64 exec, exec, s[16:17]
	s_and_b64 s[10:11], s[8:9], s[12:13]
	s_xor_b64 s[10:11], s[10:11], -1
	s_and_saveexec_b64 s[12:13], s[10:11]
	s_xor_b64 s[10:11], exec, s[12:13]
	s_cbranch_execz .LBB9_53
; %bb.52:                               ;   in Loop: Header=BB9_7 Depth=2
	ds_write_b32 v42, v45 offset:2112
.LBB9_53:                               ;   in Loop: Header=BB9_7 Depth=2
	s_andn2_saveexec_b64 s[12:13], s[10:11]
	s_cbranch_execz .LBB9_6
; %bb.54:                               ;   in Loop: Header=BB9_7 Depth=2
	v_mov_b32_e32 v1, s23
	v_add_co_u32_e64 v0, s[10:11], s22, v34
	v_addc_co_u32_e64 v1, s[10:11], v35, v1, s[10:11]
	global_load_dword v0, v[0:1], off
	s_waitcnt vmcnt(0)
	ds_write_b32 v42, v0 offset:2112
	s_branch .LBB9_6
.LBB9_55:                               ;   in Loop: Header=BB9_4 Depth=1
	v_mul_lo_u32 v2, v50, s40
	v_mul_lo_u32 v3, v47, s41
	v_mad_u64_u32 v[0:1], s[8:9], v47, s40, 0
	v_add3_u32 v1, v1, v3, v2
	v_lshlrev_b64 v[0:1], 2, v[0:1]
	v_mov_b32_e32 v2, s47
	v_add_co_u32_e64 v0, s[8:9], s46, v0
	v_cmp_gt_i32_e32 vcc, s30, v47
	v_addc_co_u32_e64 v1, s[8:9], v2, v1, s[8:9]
	s_and_b64 s[8:9], s[4:5], vcc
	s_and_saveexec_b64 s[10:11], s[8:9]
	s_cbranch_execz .LBB9_57
; %bb.56:                               ;   in Loop: Header=BB9_4 Depth=1
	v_add_co_u32_e64 v2, s[8:9], v0, v26
	v_addc_co_u32_e64 v3, s[8:9], v1, v27, s[8:9]
	global_load_dword v4, v[2:3], off
	s_waitcnt vmcnt(0)
	v_fmac_f32_e32 v4, s31, v51
	global_store_dword v[2:3], v4, off
.LBB9_57:                               ;   in Loop: Header=BB9_4 Depth=1
	s_or_b64 exec, exec, s[10:11]
	s_and_b64 s[10:11], s[14:15], vcc
	s_and_saveexec_b64 s[8:9], s[10:11]
	s_cbranch_execz .LBB9_59
; %bb.58:                               ;   in Loop: Header=BB9_4 Depth=1
	v_lshlrev_b64 v[2:3], 2, v[18:19]
	v_add_co_u32_e32 v0, vcc, v0, v2
	v_addc_co_u32_e32 v1, vcc, v1, v3, vcc
	global_load_dword v2, v[0:1], off
	s_waitcnt vmcnt(0)
	v_fmac_f32_e32 v2, s31, v49
	global_store_dword v[0:1], v2, off
.LBB9_59:                               ;   in Loop: Header=BB9_4 Depth=1
	s_or_b64 exec, exec, s[8:9]
	v_add_u32_e32 v0, 16, v47
	v_ashrrev_i32_e32 v1, 31, v0
	v_cmp_gt_i32_e32 vcc, s30, v0
	v_mul_lo_u32 v2, v1, s40
	v_mul_lo_u32 v3, v0, s41
	v_mad_u64_u32 v[0:1], s[8:9], v0, s40, 0
	v_add3_u32 v1, v1, v3, v2
	v_lshlrev_b64 v[0:1], 2, v[0:1]
	v_mov_b32_e32 v2, s47
	v_add_co_u32_e64 v0, s[8:9], s46, v0
	v_addc_co_u32_e64 v1, s[8:9], v2, v1, s[8:9]
	s_and_b64 s[8:9], s[4:5], vcc
	s_and_saveexec_b64 s[10:11], s[8:9]
	s_cbranch_execz .LBB9_61
; %bb.60:                               ;   in Loop: Header=BB9_4 Depth=1
	v_add_co_u32_e64 v2, s[8:9], v0, v26
	v_addc_co_u32_e64 v3, s[8:9], v1, v27, s[8:9]
	global_load_dword v4, v[2:3], off
	s_waitcnt vmcnt(0)
	v_fmac_f32_e32 v4, s31, v48
	global_store_dword v[2:3], v4, off
.LBB9_61:                               ;   in Loop: Header=BB9_4 Depth=1
	s_or_b64 exec, exec, s[10:11]
	s_and_b64 s[10:11], s[14:15], vcc
	s_and_saveexec_b64 s[8:9], s[10:11]
	s_cbranch_execz .LBB9_3
; %bb.62:                               ;   in Loop: Header=BB9_4 Depth=1
	v_lshlrev_b64 v[2:3], 2, v[18:19]
	v_add_co_u32_e32 v0, vcc, v0, v2
	v_addc_co_u32_e32 v1, vcc, v1, v3, vcc
	global_load_dword v2, v[0:1], off
	s_waitcnt vmcnt(0)
	v_fmac_f32_e32 v2, s31, v31
	global_store_dword v[0:1], v2, off
	s_branch .LBB9_3
.LBB9_63:
	s_endpgm
	.section	.rodata,"a",@progbits
	.p2align	6, 0x0
	.amdhsa_kernel _ZL30rocblas_trmm_outofplace_kernelIfLi32ELi2ELb1ELb0ELb1ELb1EfKffEv17rocblas_diagonal_iiT6_lPT7_lllS4_lllPT8_llli
		.amdhsa_group_segment_fixed_size 8192
		.amdhsa_private_segment_fixed_size 0
		.amdhsa_kernarg_size 384
		.amdhsa_user_sgpr_count 6
		.amdhsa_user_sgpr_private_segment_buffer 1
		.amdhsa_user_sgpr_dispatch_ptr 0
		.amdhsa_user_sgpr_queue_ptr 0
		.amdhsa_user_sgpr_kernarg_segment_ptr 1
		.amdhsa_user_sgpr_dispatch_id 0
		.amdhsa_user_sgpr_flat_scratch_init 0
		.amdhsa_user_sgpr_kernarg_preload_length 0
		.amdhsa_user_sgpr_kernarg_preload_offset 0
		.amdhsa_user_sgpr_private_segment_size 0
		.amdhsa_uses_dynamic_stack 0
		.amdhsa_system_sgpr_private_segment_wavefront_offset 0
		.amdhsa_system_sgpr_workgroup_id_x 1
		.amdhsa_system_sgpr_workgroup_id_y 1
		.amdhsa_system_sgpr_workgroup_id_z 1
		.amdhsa_system_sgpr_workgroup_info 0
		.amdhsa_system_vgpr_workitem_id 1
		.amdhsa_next_free_vgpr 62
		.amdhsa_next_free_sgpr 54
		.amdhsa_accum_offset 64
		.amdhsa_reserve_vcc 1
		.amdhsa_reserve_flat_scratch 0
		.amdhsa_float_round_mode_32 0
		.amdhsa_float_round_mode_16_64 0
		.amdhsa_float_denorm_mode_32 3
		.amdhsa_float_denorm_mode_16_64 3
		.amdhsa_dx10_clamp 1
		.amdhsa_ieee_mode 1
		.amdhsa_fp16_overflow 0
		.amdhsa_tg_split 0
		.amdhsa_exception_fp_ieee_invalid_op 0
		.amdhsa_exception_fp_denorm_src 0
		.amdhsa_exception_fp_ieee_div_zero 0
		.amdhsa_exception_fp_ieee_overflow 0
		.amdhsa_exception_fp_ieee_underflow 0
		.amdhsa_exception_fp_ieee_inexact 0
		.amdhsa_exception_int_div_zero 0
	.end_amdhsa_kernel
	.section	.text._ZL30rocblas_trmm_outofplace_kernelIfLi32ELi2ELb1ELb0ELb1ELb1EfKffEv17rocblas_diagonal_iiT6_lPT7_lllS4_lllPT8_llli,"axG",@progbits,_ZL30rocblas_trmm_outofplace_kernelIfLi32ELi2ELb1ELb0ELb1ELb1EfKffEv17rocblas_diagonal_iiT6_lPT7_lllS4_lllPT8_llli,comdat
.Lfunc_end9:
	.size	_ZL30rocblas_trmm_outofplace_kernelIfLi32ELi2ELb1ELb0ELb1ELb1EfKffEv17rocblas_diagonal_iiT6_lPT7_lllS4_lllPT8_llli, .Lfunc_end9-_ZL30rocblas_trmm_outofplace_kernelIfLi32ELi2ELb1ELb0ELb1ELb1EfKffEv17rocblas_diagonal_iiT6_lPT7_lllS4_lllPT8_llli
                                        ; -- End function
	.section	.AMDGPU.csdata,"",@progbits
; Kernel info:
; codeLenInByte = 3172
; NumSgprs: 58
; NumVgprs: 62
; NumAgprs: 0
; TotalNumVgprs: 62
; ScratchSize: 0
; MemoryBound: 0
; FloatMode: 240
; IeeeMode: 1
; LDSByteSize: 8192 bytes/workgroup (compile time only)
; SGPRBlocks: 7
; VGPRBlocks: 7
; NumSGPRsForWavesPerEU: 58
; NumVGPRsForWavesPerEU: 62
; AccumOffset: 64
; Occupancy: 8
; WaveLimiterHint : 0
; COMPUTE_PGM_RSRC2:SCRATCH_EN: 0
; COMPUTE_PGM_RSRC2:USER_SGPR: 6
; COMPUTE_PGM_RSRC2:TRAP_HANDLER: 0
; COMPUTE_PGM_RSRC2:TGID_X_EN: 1
; COMPUTE_PGM_RSRC2:TGID_Y_EN: 1
; COMPUTE_PGM_RSRC2:TGID_Z_EN: 1
; COMPUTE_PGM_RSRC2:TIDIG_COMP_CNT: 1
; COMPUTE_PGM_RSRC3_GFX90A:ACCUM_OFFSET: 15
; COMPUTE_PGM_RSRC3_GFX90A:TG_SPLIT: 0
	.section	.text._ZL30rocblas_trmm_outofplace_kernelIfLi32ELi2ELb1ELb1ELb1ELb1EPKfS0_fEv17rocblas_diagonal_iiT6_lPT7_lllS5_lllPT8_llli,"axG",@progbits,_ZL30rocblas_trmm_outofplace_kernelIfLi32ELi2ELb1ELb1ELb1ELb1EPKfS0_fEv17rocblas_diagonal_iiT6_lPT7_lllS5_lllPT8_llli,comdat
	.globl	_ZL30rocblas_trmm_outofplace_kernelIfLi32ELi2ELb1ELb1ELb1ELb1EPKfS0_fEv17rocblas_diagonal_iiT6_lPT7_lllS5_lllPT8_llli ; -- Begin function _ZL30rocblas_trmm_outofplace_kernelIfLi32ELi2ELb1ELb1ELb1ELb1EPKfS0_fEv17rocblas_diagonal_iiT6_lPT7_lllS5_lllPT8_llli
	.p2align	8
	.type	_ZL30rocblas_trmm_outofplace_kernelIfLi32ELi2ELb1ELb1ELb1ELb1EPKfS0_fEv17rocblas_diagonal_iiT6_lPT7_lllS5_lllPT8_llli,@function
_ZL30rocblas_trmm_outofplace_kernelIfLi32ELi2ELb1ELb1ELb1ELb1EPKfS0_fEv17rocblas_diagonal_iiT6_lPT7_lllS5_lllPT8_llli: ; @_ZL30rocblas_trmm_outofplace_kernelIfLi32ELi2ELb1ELb1ELb1ELb1EPKfS0_fEv17rocblas_diagonal_iiT6_lPT7_lllS5_lllPT8_llli
; %bb.0:
	s_load_dwordx16 s[12:27], s[4:5], 0x10
	s_waitcnt lgkmcnt(0)
	s_mul_i32 s0, s8, s15
	s_mul_hi_u32 s1, s8, s14
	s_add_i32 s1, s1, s0
	s_mul_i32 s0, s8, s14
	s_lshl_b64 s[0:1], s[0:1], 2
	s_add_u32 s0, s12, s0
	s_addc_u32 s1, s13, s1
	s_load_dword s33, s[0:1], 0x0
	s_waitcnt lgkmcnt(0)
	v_cmp_eq_f32_e64 s[0:1], s33, 0
	s_and_b64 vcc, exec, s[0:1]
	s_cbranch_vccnz .LBB10_63
; %bb.1:
	s_load_dwordx4 s[28:31], s[4:5], 0x0
	s_waitcnt lgkmcnt(0)
	s_add_i32 s0, s30, -1
	s_ashr_i32 s1, s0, 31
	s_lshr_b32 s1, s1, 27
	s_add_i32 s0, s0, s1
	s_ashr_i32 s31, s0, 5
	s_cmp_gt_i32 s7, s31
	s_cbranch_scc1 .LBB10_63
; %bb.2:
	s_mul_i32 s0, s8, s23
	s_mul_hi_u32 s1, s8, s22
	s_add_i32 s1, s1, s0
	s_mul_i32 s0, s8, s22
	s_load_dwordx4 s[44:47], s[4:5], 0x70
	s_load_dword s48, s[4:5], 0x8c
	s_lshl_b64 s[10:11], s[0:1], 2
	s_add_u32 s0, s16, s10
	s_load_dwordx8 s[36:43], s[4:5], 0x50
	s_addc_u32 s1, s17, s11
	s_lshl_b64 s[12:13], s[18:19], 2
	s_add_u32 s2, s0, s12
	s_addc_u32 s3, s1, s13
	s_waitcnt lgkmcnt(0)
	s_mul_i32 s0, s8, s47
	s_mul_hi_u32 s1, s8, s46
	s_add_i32 s1, s1, s0
	s_mul_i32 s0, s8, s46
	s_lshl_b64 s[0:1], s[0:1], 2
	s_add_u32 s4, s40, s0
	s_addc_u32 s5, s41, s1
	s_lshl_b64 s[0:1], s[42:43], 2
	s_add_u32 s46, s4, s0
	s_addc_u32 s47, s5, s1
	s_lshl_b32 s49, s6, 5
	v_and_b32_e32 v14, 0x3ff, v0
	v_add_u32_e32 v16, s49, v14
	v_ashrrev_i32_e32 v17, 31, v16
	v_bfe_u32 v12, v0, 10, 10
	v_mul_lo_u32 v2, v17, s20
	v_mul_lo_u32 v3, v16, s21
	v_mad_u64_u32 v[0:1], s[0:1], v16, s20, 0
	v_add3_u32 v1, v1, v3, v2
	v_lshlrev_b64 v[0:1], 2, v[0:1]
	v_mov_b32_e32 v2, s3
	v_add_co_u32_e32 v0, vcc, s2, v0
	v_addc_co_u32_e32 v1, vcc, v2, v1, vcc
	v_lshlrev_b32_e32 v2, 2, v12
	v_add_co_u32_e32 v15, vcc, v0, v2
	s_cmp_gt_i32 s6, -1
	v_addc_co_u32_e32 v38, vcc, 0, v1, vcc
	s_cselect_b64 s[18:19], -1, 0
	s_cmpk_eq_i32 s28, 0x84
	s_cselect_b64 s[22:23], -1, 0
	s_ashr_i32 s35, s29, 31
	s_ashr_i32 s6, s30, 31
	v_add_co_u32_e32 v18, vcc, 16, v16
	v_addc_co_u32_e32 v19, vcc, 0, v17, vcc
	s_add_u32 s40, s29, -16
	s_mul_i32 s9, s39, s8
	s_mul_hi_u32 s28, s38, s8
	s_addc_u32 s41, s35, -1
	v_sub_co_u32_e32 v22, vcc, v16, v12
	s_add_i32 s9, s28, s9
	s_mul_i32 s8, s38, s8
	v_subbrev_co_u32_e32 v23, vcc, 0, v17, vcc
	s_lshl_b64 s[8:9], s[8:9], 2
	s_lshl_b64 s[26:27], s[26:27], 2
	v_add_co_u32_e32 v24, vcc, 16, v22
	s_add_u32 s8, s8, s26
	v_addc_co_u32_e32 v25, vcc, 0, v23, vcc
	s_addc_u32 s9, s9, s27
	v_add_co_u32_e32 v26, vcc, -16, v22
	s_add_u32 s8, s24, s8
	v_lshlrev_b32_e32 v0, 7, v12
	v_lshlrev_b32_e32 v39, 2, v14
	v_addc_co_u32_e32 v27, vcc, -1, v23, vcc
	s_addc_u32 s9, s25, s9
	v_add_u32_e32 v40, v39, v0
	v_add_u32_e32 v41, 0x1000, v0
	v_mov_b32_e32 v0, s9
	v_add_co_u32_e32 v1, vcc, s8, v39
	v_addc_co_u32_e32 v0, vcc, 0, v0, vcc
	v_add_co_u32_e32 v28, vcc, 64, v1
	v_addc_co_u32_e32 v29, vcc, 0, v0, vcc
	s_lshl_b64 s[24:25], s[36:37], 2
	s_lshl_b32 s50, s48, 5
	v_lshlrev_b64 v[32:33], 2, v[16:17]
	v_add_co_u32_e32 v3, vcc, 64, v32
	s_add_u32 s8, s12, s10
	v_addc_co_u32_e32 v0, vcc, 0, v33, vcc
	s_addc_u32 s9, s13, s11
	v_mul_lo_u32 v4, s20, v0
	v_pk_mov_b32 v[0:1], s[8:9], s[8:9] op_sel:[0,1]
	v_mul_lo_u32 v5, s21, v3
	v_mad_u64_u32 v[0:1], s[8:9], s20, v3, v[0:1]
	v_add3_u32 v1, v5, v1, v4
	v_add_co_u32_e32 v0, vcc, v0, v2
	v_addc_co_u32_e32 v1, vcc, 0, v1, vcc
	s_mov_b32 s34, s29
	v_add_u32_e32 v20, 16, v16
	v_mov_b32_e32 v2, s17
	v_add_co_u32_e32 v43, vcc, s16, v0
	v_mov_b32_e32 v13, 0
	v_cmp_le_i32_e64 s[0:1], s29, v16
	v_cmp_le_i64_e64 s[2:3], s[34:35], v[18:19]
	v_add_u32_e32 v42, v41, v39
	v_cmp_gt_i32_e64 s[4:5], s29, v16
	v_cmp_gt_i32_e64 s[14:15], s29, v20
	v_ashrrev_i32_e32 v21, 31, v20
	v_lshl_add_u32 v30, s7, 5, v12
	v_addc_co_u32_e32 v44, vcc, v2, v1, vcc
	v_mov_b32_e32 v45, 1.0
	s_branch .LBB10_4
.LBB10_3:                               ;   in Loop: Header=BB10_4 Depth=1
	s_or_b64 exec, exec, s[8:9]
	s_add_i32 s7, s48, s7
	s_cmp_le_i32 s7, s31
	v_add_u32_e32 v30, s50, v30
	s_cbranch_scc0 .LBB10_63
.LBB10_4:                               ; =>This Loop Header: Depth=1
                                        ;     Child Loop BB10_7 Depth 2
	v_lshl_add_u32 v46, s7, 5, v12
	v_ashrrev_i32_e32 v49, 31, v46
	s_andn2_b64 vcc, exec, s[18:19]
	v_mov_b32_e32 v50, 0
	v_mov_b32_e32 v48, 0
	;; [unrolled: 1-line block ×4, first 2 shown]
	s_cbranch_vccnz .LBB10_55
; %bb.5:                                ;   in Loop: Header=BB10_4 Depth=1
	v_ashrrev_i32_e32 v31, 31, v30
	v_mad_u64_u32 v[34:35], s[8:9], s24, v30, v[28:29]
	v_mul_lo_u32 v0, s25, v30
	v_mul_lo_u32 v1, s24, v31
	v_add3_u32 v35, v0, v35, v1
	v_lshlrev_b64 v[0:1], 2, v[30:31]
	v_add_co_u32_e32 v0, vcc, 64, v0
	v_addc_co_u32_e32 v1, vcc, 0, v1, vcc
	v_mul_lo_u32 v1, s36, v1
	v_mul_lo_u32 v2, s37, v0
	v_mad_u64_u32 v[36:37], s[8:9], s36, v0, v[28:29]
	v_add3_u32 v37, v2, v37, v1
	v_mov_b32_e32 v1, s6
	v_sub_co_u32_e32 v0, vcc, s30, v46
	v_subb_co_u32_e32 v1, vcc, v1, v49, vcc
	s_mov_b64 s[20:21], 0
	v_cmp_lt_i64_e32 vcc, 0, v[0:1]
	v_cmp_lt_i64_e64 s[8:9], 16, v[0:1]
	v_mov_b32_e32 v31, 0
	s_mov_b64 s[26:27], 0
	v_mov_b32_e32 v47, 0
	v_mov_b32_e32 v48, 0
	;; [unrolled: 1-line block ×3, first 2 shown]
	s_branch .LBB10_7
.LBB10_6:                               ;   in Loop: Header=BB10_7 Depth=2
	s_or_b64 exec, exec, s[12:13]
	s_waitcnt lgkmcnt(0)
	s_barrier
	ds_read_b128 v[52:55], v41
	ds_read_b128 v[8:11], v41 offset:16
	ds_read_b128 v[4:7], v41 offset:32
	;; [unrolled: 1-line block ×3, first 2 shown]
	ds_read2_b32 v[60:61], v39 offset1:16
	ds_read_b128 v[56:59], v41 offset:2048
	v_add_u32_e32 v51, 0x400, v39
	s_add_u32 s26, s26, 32
	s_addc_u32 s27, s27, 0
	s_waitcnt lgkmcnt(1)
	v_fmac_f32_e32 v50, v60, v52
	v_fmac_f32_e32 v48, v61, v52
	s_waitcnt lgkmcnt(0)
	v_fmac_f32_e32 v47, v60, v56
	v_fmac_f32_e32 v31, v61, v56
	ds_read2_b32 v[60:61], v39 offset0:32 offset1:48
	s_sub_i32 s10, s26, 32
	s_add_u32 s20, s20, 0x80
	s_addc_u32 s21, s21, 0
	s_cmp_ge_i32 s10, s49
	s_waitcnt lgkmcnt(0)
	v_fmac_f32_e32 v50, v60, v53
	v_fmac_f32_e32 v48, v61, v53
	ds_read2_b32 v[52:53], v39 offset0:64 offset1:80
	v_fmac_f32_e32 v47, v60, v57
	v_fmac_f32_e32 v31, v61, v57
	ds_read2_b32 v[56:57], v39 offset0:128 offset1:144
	s_waitcnt lgkmcnt(1)
	v_fmac_f32_e32 v50, v52, v54
	v_fmac_f32_e32 v48, v53, v54
	;; [unrolled: 1-line block ×4, first 2 shown]
	ds_read2_b32 v[52:53], v39 offset0:96 offset1:112
	s_waitcnt lgkmcnt(0)
	v_fmac_f32_e32 v50, v52, v55
	v_fmac_f32_e32 v48, v53, v55
	;; [unrolled: 1-line block ×4, first 2 shown]
	ds_read_b128 v[52:55], v41 offset:2064
	v_fmac_f32_e32 v50, v56, v8
	v_fmac_f32_e32 v48, v57, v8
	s_waitcnt lgkmcnt(0)
	v_fmac_f32_e32 v47, v56, v52
	v_fmac_f32_e32 v31, v57, v52
	ds_read2_b32 v[56:57], v39 offset0:160 offset1:176
	s_waitcnt lgkmcnt(0)
	v_fmac_f32_e32 v50, v56, v9
	v_fmac_f32_e32 v48, v57, v9
	ds_read2_b32 v[8:9], v39 offset0:192 offset1:208
	v_fmac_f32_e32 v47, v56, v53
	v_fmac_f32_e32 v31, v57, v53
	ds_read2_b32 v[52:53], v51 offset1:16
	s_waitcnt lgkmcnt(1)
	v_fmac_f32_e32 v50, v8, v10
	v_fmac_f32_e32 v48, v9, v10
	;; [unrolled: 1-line block ×4, first 2 shown]
	ds_read2_b32 v[8:9], v39 offset0:224 offset1:240
	s_waitcnt lgkmcnt(0)
	v_fmac_f32_e32 v50, v8, v11
	v_fmac_f32_e32 v48, v9, v11
	;; [unrolled: 1-line block ×4, first 2 shown]
	ds_read_b128 v[8:11], v41 offset:2080
	v_fmac_f32_e32 v50, v52, v4
	v_fmac_f32_e32 v48, v53, v4
	s_waitcnt lgkmcnt(0)
	v_fmac_f32_e32 v47, v52, v8
	v_fmac_f32_e32 v31, v53, v8
	ds_read2_b32 v[52:53], v51 offset0:32 offset1:48
	s_waitcnt lgkmcnt(0)
	v_fmac_f32_e32 v50, v52, v5
	v_fmac_f32_e32 v48, v53, v5
	ds_read2_b32 v[4:5], v51 offset0:64 offset1:80
	v_fmac_f32_e32 v47, v52, v9
	v_fmac_f32_e32 v31, v53, v9
	ds_read2_b32 v[8:9], v51 offset0:128 offset1:144
	s_waitcnt lgkmcnt(1)
	v_fmac_f32_e32 v50, v4, v6
	v_fmac_f32_e32 v48, v5, v6
	;; [unrolled: 1-line block ×4, first 2 shown]
	ds_read2_b32 v[4:5], v51 offset0:96 offset1:112
	v_add_u32_e32 v10, 0x800, v39
	s_waitcnt lgkmcnt(0)
	v_fmac_f32_e32 v50, v4, v7
	v_fmac_f32_e32 v48, v5, v7
	;; [unrolled: 1-line block ×4, first 2 shown]
	ds_read_b128 v[4:7], v41 offset:2096
	v_fmac_f32_e32 v50, v8, v0
	v_fmac_f32_e32 v48, v9, v0
	s_waitcnt lgkmcnt(0)
	v_fmac_f32_e32 v47, v8, v4
	v_fmac_f32_e32 v31, v9, v4
	ds_read2_b32 v[8:9], v51 offset0:160 offset1:176
	s_waitcnt lgkmcnt(0)
	v_fmac_f32_e32 v50, v8, v1
	v_fmac_f32_e32 v48, v9, v1
	ds_read2_b32 v[0:1], v51 offset0:192 offset1:208
	v_fmac_f32_e32 v47, v8, v5
	v_fmac_f32_e32 v31, v9, v5
	ds_read2_b32 v[8:9], v10 offset1:16
	s_waitcnt lgkmcnt(1)
	v_fmac_f32_e32 v50, v0, v2
	v_fmac_f32_e32 v48, v1, v2
	;; [unrolled: 1-line block ×4, first 2 shown]
	ds_read2_b32 v[0:1], v51 offset0:224 offset1:240
	s_waitcnt lgkmcnt(0)
	v_fmac_f32_e32 v50, v0, v3
	v_fmac_f32_e32 v48, v1, v3
	;; [unrolled: 1-line block ×4, first 2 shown]
	ds_read_b128 v[0:3], v41 offset:64
	ds_read_b128 v[4:7], v41 offset:2112
	s_waitcnt lgkmcnt(1)
	v_fmac_f32_e32 v50, v8, v0
	v_fmac_f32_e32 v48, v9, v0
	s_waitcnt lgkmcnt(0)
	v_fmac_f32_e32 v47, v8, v4
	v_fmac_f32_e32 v31, v9, v4
	ds_read2_b32 v[8:9], v10 offset0:32 offset1:48
	s_waitcnt lgkmcnt(0)
	v_fmac_f32_e32 v50, v8, v1
	v_fmac_f32_e32 v48, v9, v1
	ds_read2_b32 v[0:1], v10 offset0:64 offset1:80
	v_fmac_f32_e32 v47, v8, v5
	v_fmac_f32_e32 v31, v9, v5
	s_waitcnt lgkmcnt(0)
	v_fmac_f32_e32 v50, v0, v2
	v_fmac_f32_e32 v48, v1, v2
	;; [unrolled: 1-line block ×4, first 2 shown]
	ds_read2_b32 v[0:1], v10 offset0:96 offset1:112
	s_waitcnt lgkmcnt(0)
	v_fmac_f32_e32 v50, v0, v3
	v_fmac_f32_e32 v48, v1, v3
	;; [unrolled: 1-line block ×4, first 2 shown]
	ds_read_b128 v[0:3], v41 offset:80
	ds_read2_b32 v[8:9], v10 offset0:128 offset1:144
	ds_read_b128 v[4:7], v41 offset:2128
	s_waitcnt lgkmcnt(1)
	v_fmac_f32_e32 v50, v8, v0
	v_fmac_f32_e32 v48, v9, v0
	s_waitcnt lgkmcnt(0)
	v_fmac_f32_e32 v47, v8, v4
	v_fmac_f32_e32 v31, v9, v4
	ds_read2_b32 v[8:9], v10 offset0:160 offset1:176
	s_waitcnt lgkmcnt(0)
	v_fmac_f32_e32 v50, v8, v1
	v_fmac_f32_e32 v48, v9, v1
	ds_read2_b32 v[0:1], v10 offset0:192 offset1:208
	v_fmac_f32_e32 v47, v8, v5
	v_fmac_f32_e32 v31, v9, v5
	s_waitcnt lgkmcnt(0)
	v_fmac_f32_e32 v50, v0, v2
	v_fmac_f32_e32 v48, v1, v2
	;; [unrolled: 1-line block ×4, first 2 shown]
	ds_read2_b32 v[0:1], v10 offset0:224 offset1:240
	v_add_u32_e32 v10, 0xc00, v39
	ds_read2_b32 v[8:9], v10 offset1:16
	s_waitcnt lgkmcnt(1)
	v_fmac_f32_e32 v50, v0, v3
	v_fmac_f32_e32 v48, v1, v3
	;; [unrolled: 1-line block ×4, first 2 shown]
	ds_read_b128 v[0:3], v41 offset:96
	ds_read_b128 v[4:7], v41 offset:2144
	s_waitcnt lgkmcnt(1)
	v_fmac_f32_e32 v50, v8, v0
	v_fmac_f32_e32 v48, v9, v0
	s_waitcnt lgkmcnt(0)
	v_fmac_f32_e32 v47, v8, v4
	v_fmac_f32_e32 v31, v9, v4
	ds_read2_b32 v[8:9], v10 offset0:32 offset1:48
	s_waitcnt lgkmcnt(0)
	v_fmac_f32_e32 v50, v8, v1
	v_fmac_f32_e32 v48, v9, v1
	ds_read2_b32 v[0:1], v10 offset0:64 offset1:80
	v_fmac_f32_e32 v47, v8, v5
	v_fmac_f32_e32 v31, v9, v5
	s_waitcnt lgkmcnt(0)
	v_fmac_f32_e32 v50, v0, v2
	v_fmac_f32_e32 v48, v1, v2
	;; [unrolled: 1-line block ×4, first 2 shown]
	ds_read2_b32 v[0:1], v10 offset0:96 offset1:112
	s_waitcnt lgkmcnt(0)
	v_fmac_f32_e32 v50, v0, v3
	v_fmac_f32_e32 v48, v1, v3
	;; [unrolled: 1-line block ×4, first 2 shown]
	ds_read_b128 v[0:3], v41 offset:112
	ds_read2_b32 v[8:9], v10 offset0:128 offset1:144
	ds_read_b128 v[4:7], v41 offset:2160
	s_waitcnt lgkmcnt(1)
	v_fmac_f32_e32 v50, v8, v0
	v_fmac_f32_e32 v48, v9, v0
	s_waitcnt lgkmcnt(0)
	v_fmac_f32_e32 v47, v8, v4
	v_fmac_f32_e32 v31, v9, v4
	ds_read2_b32 v[8:9], v10 offset0:160 offset1:176
	s_waitcnt lgkmcnt(0)
	v_fmac_f32_e32 v50, v8, v1
	v_fmac_f32_e32 v48, v9, v1
	ds_read2_b32 v[0:1], v10 offset0:192 offset1:208
	v_fmac_f32_e32 v47, v8, v5
	v_fmac_f32_e32 v31, v9, v5
	s_waitcnt lgkmcnt(0)
	v_fmac_f32_e32 v50, v0, v2
	v_fmac_f32_e32 v48, v1, v2
	;; [unrolled: 1-line block ×4, first 2 shown]
	ds_read2_b32 v[0:1], v10 offset0:224 offset1:240
	s_waitcnt lgkmcnt(0)
	s_barrier
	v_fmac_f32_e32 v50, v0, v3
	v_fmac_f32_e32 v48, v1, v3
	;; [unrolled: 1-line block ×4, first 2 shown]
	s_cbranch_scc1 .LBB10_55
.LBB10_7:                               ;   Parent Loop BB10_4 Depth=1
                                        ; =>  This Inner Loop Header: Depth=2
	v_mov_b32_e32 v0, s27
	v_add_co_u32_e64 v2, s[10:11], s26, v12
	v_addc_co_u32_e64 v3, s[10:11], 0, v0, s[10:11]
	v_mov_b32_e32 v1, s21
	v_add_co_u32_e64 v0, s[10:11], s20, v15
	v_addc_co_u32_e64 v1, s[10:11], v38, v1, s[10:11]
	v_cmp_eq_u64_e64 s[10:11], s[26:27], v[22:23]
	v_cmp_le_i64_e64 s[12:13], s[34:35], v[2:3]
	s_and_b64 s[38:39], s[22:23], s[10:11]
	v_cmp_gt_i64_e64 s[10:11], v[2:3], v[16:17]
	s_or_b64 s[16:17], s[12:13], s[10:11]
	s_or_b64 s[16:17], s[16:17], s[38:39]
	s_or_b64 s[16:17], s[0:1], s[16:17]
	s_xor_b64 s[16:17], s[16:17], -1
	s_and_saveexec_b64 s[28:29], s[16:17]
	s_xor_b64 s[16:17], exec, s[28:29]
	s_cbranch_execz .LBB10_9
; %bb.8:                                ;   in Loop: Header=BB10_7 Depth=2
	global_load_dword v4, v[0:1], off
	s_waitcnt vmcnt(0)
	ds_write_b32 v40, v4
.LBB10_9:                               ;   in Loop: Header=BB10_7 Depth=2
	s_or_saveexec_b64 s[16:17], s[16:17]
	s_xor_b64 s[28:29], s[38:39], -1
	s_xor_b64 exec, exec, s[16:17]
	s_cbranch_execz .LBB10_15
; %bb.10:                               ;   in Loop: Header=BB10_7 Depth=2
	s_and_saveexec_b64 s[42:43], s[28:29]
	s_xor_b64 s[42:43], exec, s[42:43]
	s_cbranch_execz .LBB10_12
; %bb.11:                               ;   in Loop: Header=BB10_7 Depth=2
	ds_write_b32 v40, v13
.LBB10_12:                              ;   in Loop: Header=BB10_7 Depth=2
	s_andn2_saveexec_b64 s[42:43], s[42:43]
	s_cbranch_execz .LBB10_14
; %bb.13:                               ;   in Loop: Header=BB10_7 Depth=2
	ds_write_b32 v40, v45
.LBB10_14:                              ;   in Loop: Header=BB10_7 Depth=2
	s_or_b64 exec, exec, s[42:43]
.LBB10_15:                              ;   in Loop: Header=BB10_7 Depth=2
	s_or_b64 exec, exec, s[16:17]
	v_cmp_eq_u64_e64 s[16:17], s[26:27], v[24:25]
	s_and_b64 s[42:43], s[22:23], s[16:17]
	v_cmp_lt_i64_e64 s[16:17], v[18:19], v[2:3]
	s_or_b64 s[12:13], s[12:13], s[16:17]
	s_or_b64 s[12:13], s[12:13], s[42:43]
	;; [unrolled: 1-line block ×3, first 2 shown]
	s_xor_b64 s[12:13], s[12:13], -1
	s_and_saveexec_b64 s[16:17], s[12:13]
	s_xor_b64 s[16:17], exec, s[16:17]
	s_cbranch_execz .LBB10_17
; %bb.16:                               ;   in Loop: Header=BB10_7 Depth=2
	v_mov_b32_e32 v5, s21
	v_add_co_u32_e64 v4, s[12:13], s20, v43
	v_addc_co_u32_e64 v5, s[12:13], v44, v5, s[12:13]
	global_load_dword v4, v[4:5], off
	s_waitcnt vmcnt(0)
	ds_write_b32 v40, v4 offset:64
.LBB10_17:                              ;   in Loop: Header=BB10_7 Depth=2
	s_andn2_saveexec_b64 s[12:13], s[16:17]
	s_cbranch_execz .LBB10_23
; %bb.18:                               ;   in Loop: Header=BB10_7 Depth=2
	s_xor_b64 s[16:17], s[42:43], -1
	s_and_saveexec_b64 s[42:43], s[16:17]
	s_xor_b64 s[16:17], exec, s[42:43]
	s_cbranch_execz .LBB10_20
; %bb.19:                               ;   in Loop: Header=BB10_7 Depth=2
	ds_write_b32 v40, v13 offset:64
.LBB10_20:                              ;   in Loop: Header=BB10_7 Depth=2
	s_andn2_saveexec_b64 s[16:17], s[16:17]
	s_cbranch_execz .LBB10_22
; %bb.21:                               ;   in Loop: Header=BB10_7 Depth=2
	ds_write_b32 v40, v45 offset:64
.LBB10_22:                              ;   in Loop: Header=BB10_7 Depth=2
	s_or_b64 exec, exec, s[16:17]
.LBB10_23:                              ;   in Loop: Header=BB10_7 Depth=2
	s_or_b64 exec, exec, s[12:13]
	v_add_co_u32_e64 v2, s[12:13], 16, v2
	v_addc_co_u32_e64 v3, s[12:13], 0, v3, s[12:13]
	v_cmp_eq_u64_e64 s[16:17], s[26:27], v[26:27]
	v_cmp_le_i64_e64 s[12:13], s[34:35], v[2:3]
	s_and_b64 s[42:43], s[22:23], s[16:17]
	v_cmp_gt_i64_e64 s[16:17], v[2:3], v[16:17]
	s_or_b64 s[16:17], s[12:13], s[16:17]
	s_or_b64 s[16:17], s[16:17], s[42:43]
	;; [unrolled: 1-line block ×3, first 2 shown]
	s_xor_b64 s[16:17], s[16:17], -1
	s_and_saveexec_b64 s[52:53], s[16:17]
	s_xor_b64 s[16:17], exec, s[52:53]
	s_cbranch_execz .LBB10_25
; %bb.24:                               ;   in Loop: Header=BB10_7 Depth=2
	global_load_dword v0, v[0:1], off offset:64
	s_waitcnt vmcnt(0)
	ds_write_b32 v40, v0 offset:2048
.LBB10_25:                              ;   in Loop: Header=BB10_7 Depth=2
	s_andn2_saveexec_b64 s[16:17], s[16:17]
	s_cbranch_execz .LBB10_31
; %bb.26:                               ;   in Loop: Header=BB10_7 Depth=2
	s_xor_b64 s[42:43], s[42:43], -1
	s_and_saveexec_b64 s[52:53], s[42:43]
	s_xor_b64 s[42:43], exec, s[52:53]
	s_cbranch_execz .LBB10_28
; %bb.27:                               ;   in Loop: Header=BB10_7 Depth=2
	ds_write_b32 v40, v13 offset:2048
.LBB10_28:                              ;   in Loop: Header=BB10_7 Depth=2
	s_andn2_saveexec_b64 s[42:43], s[42:43]
	s_cbranch_execz .LBB10_30
; %bb.29:                               ;   in Loop: Header=BB10_7 Depth=2
	ds_write_b32 v40, v45 offset:2048
.LBB10_30:                              ;   in Loop: Header=BB10_7 Depth=2
	s_or_b64 exec, exec, s[42:43]
.LBB10_31:                              ;   in Loop: Header=BB10_7 Depth=2
	s_or_b64 exec, exec, s[16:17]
	s_or_b64 s[10:11], s[12:13], s[10:11]
	s_or_b64 s[10:11], s[10:11], s[38:39]
	;; [unrolled: 1-line block ×3, first 2 shown]
	s_xor_b64 s[10:11], s[10:11], -1
	s_and_saveexec_b64 s[12:13], s[10:11]
	s_xor_b64 s[12:13], exec, s[12:13]
	s_cbranch_execz .LBB10_33
; %bb.32:                               ;   in Loop: Header=BB10_7 Depth=2
	v_mov_b32_e32 v1, s21
	v_add_co_u32_e64 v0, s[10:11], s20, v43
	v_addc_co_u32_e64 v1, s[10:11], v44, v1, s[10:11]
	global_load_dword v0, v[0:1], off offset:64
	s_waitcnt vmcnt(0)
	ds_write_b32 v40, v0 offset:2112
.LBB10_33:                              ;   in Loop: Header=BB10_7 Depth=2
	s_andn2_saveexec_b64 s[10:11], s[12:13]
	s_cbranch_execz .LBB10_39
; %bb.34:                               ;   in Loop: Header=BB10_7 Depth=2
	s_and_saveexec_b64 s[12:13], s[28:29]
	s_xor_b64 s[12:13], exec, s[12:13]
	s_cbranch_execz .LBB10_36
; %bb.35:                               ;   in Loop: Header=BB10_7 Depth=2
	ds_write_b32 v40, v13 offset:2112
.LBB10_36:                              ;   in Loop: Header=BB10_7 Depth=2
	s_andn2_saveexec_b64 s[12:13], s[12:13]
	s_cbranch_execz .LBB10_38
; %bb.37:                               ;   in Loop: Header=BB10_7 Depth=2
	ds_write_b32 v40, v45 offset:2112
.LBB10_38:                              ;   in Loop: Header=BB10_7 Depth=2
	s_or_b64 exec, exec, s[12:13]
.LBB10_39:                              ;   in Loop: Header=BB10_7 Depth=2
	s_or_b64 exec, exec, s[10:11]
	v_mov_b32_e32 v1, s27
	v_add_co_u32_e64 v0, s[10:11], s26, v14
	v_addc_co_u32_e64 v1, s[10:11], 0, v1, s[10:11]
	v_cmp_gt_i64_e64 s[10:11], s[34:35], v[0:1]
	s_and_b64 s[12:13], vcc, s[10:11]
	s_xor_b64 s[12:13], s[12:13], -1
	s_and_saveexec_b64 s[16:17], s[12:13]
	s_xor_b64 s[12:13], exec, s[16:17]
	s_cbranch_execz .LBB10_41
; %bb.40:                               ;   in Loop: Header=BB10_7 Depth=2
	ds_write_b32 v42, v13
.LBB10_41:                              ;   in Loop: Header=BB10_7 Depth=2
	s_or_saveexec_b64 s[16:17], s[12:13]
	v_mov_b32_e32 v3, s21
	v_add_co_u32_e64 v2, s[12:13], s20, v34
	v_addc_co_u32_e64 v3, s[12:13], v35, v3, s[12:13]
	s_xor_b64 exec, exec, s[16:17]
	s_cbranch_execz .LBB10_43
; %bb.42:                               ;   in Loop: Header=BB10_7 Depth=2
	global_load_dword v4, v[2:3], off offset:-64
	s_waitcnt vmcnt(0)
	ds_write_b32 v42, v4
.LBB10_43:                              ;   in Loop: Header=BB10_7 Depth=2
	s_or_b64 exec, exec, s[16:17]
	v_cmp_gt_i64_e64 s[12:13], s[40:41], v[0:1]
	s_and_b64 s[16:17], vcc, s[12:13]
	s_xor_b64 s[16:17], s[16:17], -1
	s_and_saveexec_b64 s[28:29], s[16:17]
	s_xor_b64 s[16:17], exec, s[28:29]
	s_cbranch_execz .LBB10_45
; %bb.44:                               ;   in Loop: Header=BB10_7 Depth=2
	ds_write_b32 v42, v13 offset:64
                                        ; implicit-def: $vgpr2_vgpr3
.LBB10_45:                              ;   in Loop: Header=BB10_7 Depth=2
	s_andn2_saveexec_b64 s[16:17], s[16:17]
	s_cbranch_execz .LBB10_47
; %bb.46:                               ;   in Loop: Header=BB10_7 Depth=2
	global_load_dword v0, v[2:3], off
	s_waitcnt vmcnt(0)
	ds_write_b32 v42, v0 offset:64
.LBB10_47:                              ;   in Loop: Header=BB10_7 Depth=2
	s_or_b64 exec, exec, s[16:17]
	s_and_b64 s[10:11], s[8:9], s[10:11]
	s_xor_b64 s[10:11], s[10:11], -1
	s_and_saveexec_b64 s[16:17], s[10:11]
	s_xor_b64 s[10:11], exec, s[16:17]
	s_cbranch_execz .LBB10_49
; %bb.48:                               ;   in Loop: Header=BB10_7 Depth=2
	ds_write_b32 v42, v13 offset:2048
.LBB10_49:                              ;   in Loop: Header=BB10_7 Depth=2
	s_andn2_saveexec_b64 s[16:17], s[10:11]
	s_cbranch_execz .LBB10_51
; %bb.50:                               ;   in Loop: Header=BB10_7 Depth=2
	v_mov_b32_e32 v1, s21
	v_add_co_u32_e64 v0, s[10:11], s20, v36
	v_addc_co_u32_e64 v1, s[10:11], v37, v1, s[10:11]
	global_load_dword v0, v[0:1], off offset:-64
	s_waitcnt vmcnt(0)
	ds_write_b32 v42, v0 offset:2048
.LBB10_51:                              ;   in Loop: Header=BB10_7 Depth=2
	s_or_b64 exec, exec, s[16:17]
	s_and_b64 s[10:11], s[8:9], s[12:13]
	s_xor_b64 s[10:11], s[10:11], -1
	s_and_saveexec_b64 s[12:13], s[10:11]
	s_xor_b64 s[10:11], exec, s[12:13]
	s_cbranch_execz .LBB10_53
; %bb.52:                               ;   in Loop: Header=BB10_7 Depth=2
	ds_write_b32 v42, v13 offset:2112
.LBB10_53:                              ;   in Loop: Header=BB10_7 Depth=2
	s_andn2_saveexec_b64 s[12:13], s[10:11]
	s_cbranch_execz .LBB10_6
; %bb.54:                               ;   in Loop: Header=BB10_7 Depth=2
	v_mov_b32_e32 v1, s21
	v_add_co_u32_e64 v0, s[10:11], s20, v36
	v_addc_co_u32_e64 v1, s[10:11], v37, v1, s[10:11]
	global_load_dword v0, v[0:1], off
	s_waitcnt vmcnt(0)
	ds_write_b32 v42, v0 offset:2112
	s_branch .LBB10_6
.LBB10_55:                              ;   in Loop: Header=BB10_4 Depth=1
	v_mul_lo_u32 v2, v49, s44
	v_mul_lo_u32 v3, v46, s45
	v_mad_u64_u32 v[0:1], s[8:9], v46, s44, 0
	v_add3_u32 v1, v1, v3, v2
	v_lshlrev_b64 v[0:1], 2, v[0:1]
	v_mov_b32_e32 v2, s47
	v_add_co_u32_e64 v0, s[8:9], s46, v0
	v_cmp_gt_i32_e32 vcc, s30, v46
	v_addc_co_u32_e64 v1, s[8:9], v2, v1, s[8:9]
	s_and_b64 s[8:9], s[4:5], vcc
	s_and_saveexec_b64 s[10:11], s[8:9]
	s_cbranch_execz .LBB10_57
; %bb.56:                               ;   in Loop: Header=BB10_4 Depth=1
	v_add_co_u32_e64 v2, s[8:9], v0, v32
	v_addc_co_u32_e64 v3, s[8:9], v1, v33, s[8:9]
	global_load_dword v4, v[2:3], off
	s_waitcnt vmcnt(0)
	v_fmac_f32_e32 v4, s33, v50
	global_store_dword v[2:3], v4, off
.LBB10_57:                              ;   in Loop: Header=BB10_4 Depth=1
	s_or_b64 exec, exec, s[10:11]
	s_and_b64 s[10:11], s[14:15], vcc
	s_and_saveexec_b64 s[8:9], s[10:11]
	s_cbranch_execz .LBB10_59
; %bb.58:                               ;   in Loop: Header=BB10_4 Depth=1
	v_lshlrev_b64 v[2:3], 2, v[20:21]
	v_add_co_u32_e32 v0, vcc, v0, v2
	v_addc_co_u32_e32 v1, vcc, v1, v3, vcc
	global_load_dword v2, v[0:1], off
	s_waitcnt vmcnt(0)
	v_fmac_f32_e32 v2, s33, v48
	global_store_dword v[0:1], v2, off
.LBB10_59:                              ;   in Loop: Header=BB10_4 Depth=1
	s_or_b64 exec, exec, s[8:9]
	v_add_u32_e32 v0, 16, v46
	v_ashrrev_i32_e32 v1, 31, v0
	v_cmp_gt_i32_e32 vcc, s30, v0
	v_mul_lo_u32 v2, v1, s44
	v_mul_lo_u32 v3, v0, s45
	v_mad_u64_u32 v[0:1], s[8:9], v0, s44, 0
	v_add3_u32 v1, v1, v3, v2
	v_lshlrev_b64 v[0:1], 2, v[0:1]
	v_mov_b32_e32 v2, s47
	v_add_co_u32_e64 v0, s[8:9], s46, v0
	v_addc_co_u32_e64 v1, s[8:9], v2, v1, s[8:9]
	s_and_b64 s[8:9], s[4:5], vcc
	s_and_saveexec_b64 s[10:11], s[8:9]
	s_cbranch_execz .LBB10_61
; %bb.60:                               ;   in Loop: Header=BB10_4 Depth=1
	v_add_co_u32_e64 v2, s[8:9], v0, v32
	v_addc_co_u32_e64 v3, s[8:9], v1, v33, s[8:9]
	global_load_dword v4, v[2:3], off
	s_waitcnt vmcnt(0)
	v_fmac_f32_e32 v4, s33, v47
	global_store_dword v[2:3], v4, off
.LBB10_61:                              ;   in Loop: Header=BB10_4 Depth=1
	s_or_b64 exec, exec, s[10:11]
	s_and_b64 s[10:11], s[14:15], vcc
	s_and_saveexec_b64 s[8:9], s[10:11]
	s_cbranch_execz .LBB10_3
; %bb.62:                               ;   in Loop: Header=BB10_4 Depth=1
	v_lshlrev_b64 v[2:3], 2, v[20:21]
	v_add_co_u32_e32 v0, vcc, v0, v2
	v_addc_co_u32_e32 v1, vcc, v1, v3, vcc
	global_load_dword v2, v[0:1], off
	s_waitcnt vmcnt(0)
	v_fmac_f32_e32 v2, s33, v31
	global_store_dword v[0:1], v2, off
	s_branch .LBB10_3
.LBB10_63:
	s_endpgm
	.section	.rodata,"a",@progbits
	.p2align	6, 0x0
	.amdhsa_kernel _ZL30rocblas_trmm_outofplace_kernelIfLi32ELi2ELb1ELb1ELb1ELb1EPKfS0_fEv17rocblas_diagonal_iiT6_lPT7_lllS5_lllPT8_llli
		.amdhsa_group_segment_fixed_size 8192
		.amdhsa_private_segment_fixed_size 0
		.amdhsa_kernarg_size 392
		.amdhsa_user_sgpr_count 6
		.amdhsa_user_sgpr_private_segment_buffer 1
		.amdhsa_user_sgpr_dispatch_ptr 0
		.amdhsa_user_sgpr_queue_ptr 0
		.amdhsa_user_sgpr_kernarg_segment_ptr 1
		.amdhsa_user_sgpr_dispatch_id 0
		.amdhsa_user_sgpr_flat_scratch_init 0
		.amdhsa_user_sgpr_kernarg_preload_length 0
		.amdhsa_user_sgpr_kernarg_preload_offset 0
		.amdhsa_user_sgpr_private_segment_size 0
		.amdhsa_uses_dynamic_stack 0
		.amdhsa_system_sgpr_private_segment_wavefront_offset 0
		.amdhsa_system_sgpr_workgroup_id_x 1
		.amdhsa_system_sgpr_workgroup_id_y 1
		.amdhsa_system_sgpr_workgroup_id_z 1
		.amdhsa_system_sgpr_workgroup_info 0
		.amdhsa_system_vgpr_workitem_id 1
		.amdhsa_next_free_vgpr 62
		.amdhsa_next_free_sgpr 54
		.amdhsa_accum_offset 64
		.amdhsa_reserve_vcc 1
		.amdhsa_reserve_flat_scratch 0
		.amdhsa_float_round_mode_32 0
		.amdhsa_float_round_mode_16_64 0
		.amdhsa_float_denorm_mode_32 3
		.amdhsa_float_denorm_mode_16_64 3
		.amdhsa_dx10_clamp 1
		.amdhsa_ieee_mode 1
		.amdhsa_fp16_overflow 0
		.amdhsa_tg_split 0
		.amdhsa_exception_fp_ieee_invalid_op 0
		.amdhsa_exception_fp_denorm_src 0
		.amdhsa_exception_fp_ieee_div_zero 0
		.amdhsa_exception_fp_ieee_overflow 0
		.amdhsa_exception_fp_ieee_underflow 0
		.amdhsa_exception_fp_ieee_inexact 0
		.amdhsa_exception_int_div_zero 0
	.end_amdhsa_kernel
	.section	.text._ZL30rocblas_trmm_outofplace_kernelIfLi32ELi2ELb1ELb1ELb1ELb1EPKfS0_fEv17rocblas_diagonal_iiT6_lPT7_lllS5_lllPT8_llli,"axG",@progbits,_ZL30rocblas_trmm_outofplace_kernelIfLi32ELi2ELb1ELb1ELb1ELb1EPKfS0_fEv17rocblas_diagonal_iiT6_lPT7_lllS5_lllPT8_llli,comdat
.Lfunc_end10:
	.size	_ZL30rocblas_trmm_outofplace_kernelIfLi32ELi2ELb1ELb1ELb1ELb1EPKfS0_fEv17rocblas_diagonal_iiT6_lPT7_lllS5_lllPT8_llli, .Lfunc_end10-_ZL30rocblas_trmm_outofplace_kernelIfLi32ELi2ELb1ELb1ELb1ELb1EPKfS0_fEv17rocblas_diagonal_iiT6_lPT7_lllS5_lllPT8_llli
                                        ; -- End function
	.section	.AMDGPU.csdata,"",@progbits
; Kernel info:
; codeLenInByte = 3212
; NumSgprs: 58
; NumVgprs: 62
; NumAgprs: 0
; TotalNumVgprs: 62
; ScratchSize: 0
; MemoryBound: 0
; FloatMode: 240
; IeeeMode: 1
; LDSByteSize: 8192 bytes/workgroup (compile time only)
; SGPRBlocks: 7
; VGPRBlocks: 7
; NumSGPRsForWavesPerEU: 58
; NumVGPRsForWavesPerEU: 62
; AccumOffset: 64
; Occupancy: 8
; WaveLimiterHint : 0
; COMPUTE_PGM_RSRC2:SCRATCH_EN: 0
; COMPUTE_PGM_RSRC2:USER_SGPR: 6
; COMPUTE_PGM_RSRC2:TRAP_HANDLER: 0
; COMPUTE_PGM_RSRC2:TGID_X_EN: 1
; COMPUTE_PGM_RSRC2:TGID_Y_EN: 1
; COMPUTE_PGM_RSRC2:TGID_Z_EN: 1
; COMPUTE_PGM_RSRC2:TIDIG_COMP_CNT: 1
; COMPUTE_PGM_RSRC3_GFX90A:ACCUM_OFFSET: 15
; COMPUTE_PGM_RSRC3_GFX90A:TG_SPLIT: 0
	.section	.text._ZL30rocblas_trmm_outofplace_kernelIfLi32ELi2ELb1ELb1ELb1ELb1EfKffEv17rocblas_diagonal_iiT6_lPT7_lllS4_lllPT8_llli,"axG",@progbits,_ZL30rocblas_trmm_outofplace_kernelIfLi32ELi2ELb1ELb1ELb1ELb1EfKffEv17rocblas_diagonal_iiT6_lPT7_lllS4_lllPT8_llli,comdat
	.globl	_ZL30rocblas_trmm_outofplace_kernelIfLi32ELi2ELb1ELb1ELb1ELb1EfKffEv17rocblas_diagonal_iiT6_lPT7_lllS4_lllPT8_llli ; -- Begin function _ZL30rocblas_trmm_outofplace_kernelIfLi32ELi2ELb1ELb1ELb1ELb1EfKffEv17rocblas_diagonal_iiT6_lPT7_lllS4_lllPT8_llli
	.p2align	8
	.type	_ZL30rocblas_trmm_outofplace_kernelIfLi32ELi2ELb1ELb1ELb1ELb1EfKffEv17rocblas_diagonal_iiT6_lPT7_lllS4_lllPT8_llli,@function
_ZL30rocblas_trmm_outofplace_kernelIfLi32ELi2ELb1ELb1ELb1ELb1EfKffEv17rocblas_diagonal_iiT6_lPT7_lllS4_lllPT8_llli: ; @_ZL30rocblas_trmm_outofplace_kernelIfLi32ELi2ELb1ELb1ELb1ELb1EfKffEv17rocblas_diagonal_iiT6_lPT7_lllS4_lllPT8_llli
; %bb.0:
	s_load_dwordx4 s[28:31], s[4:5], 0x0
	s_waitcnt lgkmcnt(0)
	v_cmp_eq_f32_e64 s[0:1], s31, 0
	s_and_b64 vcc, exec, s[0:1]
	s_cbranch_vccnz .LBB11_63
; %bb.1:
	s_add_i32 s0, s30, -1
	s_ashr_i32 s1, s0, 31
	s_lshr_b32 s1, s1, 27
	s_add_i32 s0, s0, s1
	s_ashr_i32 s33, s0, 5
	s_cmp_gt_i32 s7, s33
	s_cbranch_scc1 .LBB11_63
; %bb.2:
	s_load_dwordx16 s[12:27], s[4:5], 0x18
	s_load_dwordx8 s[36:43], s[4:5], 0x58
	v_and_b32_e32 v14, 0x3ff, v0
	v_bfe_u32 v12, v0, 10, 10
	s_load_dword s50, s[4:5], 0x84
	s_waitcnt lgkmcnt(0)
	s_mul_i32 s1, s8, s19
	s_mul_hi_u32 s2, s8, s18
	s_mul_i32 s0, s8, s18
	s_add_i32 s1, s2, s1
	s_lshl_b64 s[10:11], s[0:1], 2
	s_add_u32 s0, s12, s10
	s_addc_u32 s1, s13, s11
	s_lshl_b64 s[44:45], s[14:15], 2
	s_add_u32 s2, s0, s44
	s_addc_u32 s3, s1, s45
	s_mul_i32 s0, s8, s43
	s_mul_hi_u32 s1, s8, s42
	s_add_i32 s1, s1, s0
	s_mul_i32 s0, s8, s42
	s_lshl_b64 s[0:1], s[0:1], 2
	s_add_u32 s9, s36, s0
	s_addc_u32 s14, s37, s1
	s_lshl_b64 s[0:1], s[38:39], 2
	s_add_u32 s46, s9, s0
	s_addc_u32 s47, s14, s1
	s_lshl_b32 s48, s6, 5
	v_add_u32_e32 v16, s48, v14
	v_ashrrev_i32_e32 v17, 31, v16
	v_mul_lo_u32 v2, v17, s16
	v_mul_lo_u32 v3, v16, s17
	v_mad_u64_u32 v[0:1], s[0:1], v16, s16, 0
	v_add3_u32 v1, v1, v3, v2
	v_lshlrev_b64 v[0:1], 2, v[0:1]
	v_mov_b32_e32 v2, s3
	v_add_co_u32_e32 v0, vcc, s2, v0
	v_addc_co_u32_e32 v1, vcc, v2, v1, vcc
	v_lshlrev_b32_e32 v2, 2, v12
	v_add_co_u32_e32 v15, vcc, v0, v2
	s_cmp_gt_i32 s6, -1
	v_addc_co_u32_e32 v38, vcc, 0, v1, vcc
	s_cselect_b64 s[18:19], -1, 0
	s_cmpk_eq_i32 s28, 0x84
	s_cselect_b64 s[34:35], -1, 0
	s_ashr_i32 s37, s29, 31
	s_ashr_i32 s6, s30, 31
	v_add_co_u32_e32 v18, vcc, 16, v16
	v_addc_co_u32_e32 v19, vcc, 0, v17, vcc
	s_add_u32 s38, s29, -16
	s_mul_i32 s9, s27, s8
	s_mul_hi_u32 s27, s26, s8
	s_addc_u32 s39, s37, -1
	v_sub_co_u32_e32 v22, vcc, v16, v12
	s_add_i32 s9, s27, s9
	s_mul_i32 s8, s26, s8
	v_subbrev_co_u32_e32 v23, vcc, 0, v17, vcc
	s_lshl_b64 s[8:9], s[8:9], 2
	s_lshl_b64 s[22:23], s[22:23], 2
	v_add_co_u32_e32 v24, vcc, 16, v22
	s_add_u32 s8, s8, s22
	v_addc_co_u32_e32 v25, vcc, 0, v23, vcc
	s_addc_u32 s9, s9, s23
	v_add_co_u32_e32 v26, vcc, -16, v22
	s_add_u32 s8, s20, s8
	v_lshlrev_b32_e32 v0, 7, v12
	v_lshlrev_b32_e32 v39, 2, v14
	v_addc_co_u32_e32 v27, vcc, -1, v23, vcc
	s_addc_u32 s9, s21, s9
	v_add_u32_e32 v40, v39, v0
	v_add_u32_e32 v41, 0x1000, v0
	v_mov_b32_e32 v0, s9
	v_add_co_u32_e32 v1, vcc, s8, v39
	v_addc_co_u32_e32 v0, vcc, 0, v0, vcc
	v_add_co_u32_e32 v28, vcc, 64, v1
	v_addc_co_u32_e32 v29, vcc, 0, v0, vcc
	s_lshl_b64 s[20:21], s[24:25], 2
	s_lshl_b32 s51, s50, 5
	v_lshlrev_b64 v[32:33], 2, v[16:17]
	v_add_co_u32_e32 v3, vcc, 64, v32
	s_add_u32 s8, s44, s10
	v_addc_co_u32_e32 v0, vcc, 0, v33, vcc
	s_addc_u32 s9, s45, s11
	v_mul_lo_u32 v4, s16, v0
	v_pk_mov_b32 v[0:1], s[8:9], s[8:9] op_sel:[0,1]
	v_mul_lo_u32 v5, s17, v3
	v_mad_u64_u32 v[0:1], s[8:9], s16, v3, v[0:1]
	v_add3_u32 v1, v5, v1, v4
	v_add_co_u32_e32 v0, vcc, v0, v2
	v_addc_co_u32_e32 v1, vcc, 0, v1, vcc
	s_mov_b32 s36, s29
	v_add_u32_e32 v20, 16, v16
	v_mov_b32_e32 v2, s13
	v_add_co_u32_e32 v43, vcc, s12, v0
	v_mov_b32_e32 v13, 0
	s_mov_b32 s49, s30
	v_cmp_le_i32_e64 s[0:1], s29, v16
	v_cmp_le_i64_e64 s[2:3], s[36:37], v[18:19]
	v_add_u32_e32 v42, v41, v39
	v_cmp_gt_i32_e64 s[4:5], s29, v16
	v_cmp_gt_i32_e64 s[14:15], s29, v20
	v_ashrrev_i32_e32 v21, 31, v20
	v_lshl_add_u32 v30, s7, 5, v12
	v_addc_co_u32_e32 v44, vcc, v2, v1, vcc
	v_mov_b32_e32 v45, 1.0
	s_branch .LBB11_4
.LBB11_3:                               ;   in Loop: Header=BB11_4 Depth=1
	s_or_b64 exec, exec, s[8:9]
	s_add_i32 s7, s50, s7
	s_cmp_le_i32 s7, s33
	v_add_u32_e32 v30, s51, v30
	s_cbranch_scc0 .LBB11_63
.LBB11_4:                               ; =>This Loop Header: Depth=1
                                        ;     Child Loop BB11_7 Depth 2
	v_lshl_add_u32 v46, s7, 5, v12
	v_ashrrev_i32_e32 v49, 31, v46
	s_andn2_b64 vcc, exec, s[18:19]
	v_mov_b32_e32 v50, 0
	v_mov_b32_e32 v48, 0
	;; [unrolled: 1-line block ×4, first 2 shown]
	s_cbranch_vccnz .LBB11_55
; %bb.5:                                ;   in Loop: Header=BB11_4 Depth=1
	v_ashrrev_i32_e32 v31, 31, v30
	v_mad_u64_u32 v[34:35], s[8:9], s20, v30, v[28:29]
	v_mul_lo_u32 v0, s21, v30
	v_mul_lo_u32 v1, s20, v31
	v_add3_u32 v35, v0, v35, v1
	v_lshlrev_b64 v[0:1], 2, v[30:31]
	v_add_co_u32_e32 v0, vcc, 64, v0
	v_addc_co_u32_e32 v1, vcc, 0, v1, vcc
	v_mul_lo_u32 v1, s24, v1
	v_mul_lo_u32 v2, s25, v0
	v_mad_u64_u32 v[36:37], s[8:9], s24, v0, v[28:29]
	v_add3_u32 v37, v2, v37, v1
	v_mov_b32_e32 v1, s6
	v_sub_co_u32_e32 v0, vcc, s49, v46
	v_subb_co_u32_e32 v1, vcc, v1, v49, vcc
	s_mov_b64 s[22:23], 0
	v_cmp_lt_i64_e32 vcc, 0, v[0:1]
	v_cmp_lt_i64_e64 s[8:9], 16, v[0:1]
	v_mov_b32_e32 v31, 0
	s_mov_b64 s[26:27], 0
	v_mov_b32_e32 v47, 0
	v_mov_b32_e32 v48, 0
	;; [unrolled: 1-line block ×3, first 2 shown]
	s_branch .LBB11_7
.LBB11_6:                               ;   in Loop: Header=BB11_7 Depth=2
	s_or_b64 exec, exec, s[12:13]
	s_waitcnt lgkmcnt(0)
	s_barrier
	ds_read_b128 v[52:55], v41
	ds_read_b128 v[8:11], v41 offset:16
	ds_read_b128 v[4:7], v41 offset:32
	;; [unrolled: 1-line block ×3, first 2 shown]
	ds_read2_b32 v[60:61], v39 offset1:16
	ds_read_b128 v[56:59], v41 offset:2048
	v_add_u32_e32 v51, 0x400, v39
	s_add_u32 s26, s26, 32
	s_addc_u32 s27, s27, 0
	s_waitcnt lgkmcnt(1)
	v_fmac_f32_e32 v50, v60, v52
	v_fmac_f32_e32 v48, v61, v52
	s_waitcnt lgkmcnt(0)
	v_fmac_f32_e32 v47, v60, v56
	v_fmac_f32_e32 v31, v61, v56
	ds_read2_b32 v[60:61], v39 offset0:32 offset1:48
	s_sub_i32 s10, s26, 32
	s_add_u32 s22, s22, 0x80
	s_addc_u32 s23, s23, 0
	s_cmp_ge_i32 s10, s48
	s_waitcnt lgkmcnt(0)
	v_fmac_f32_e32 v50, v60, v53
	v_fmac_f32_e32 v48, v61, v53
	ds_read2_b32 v[52:53], v39 offset0:64 offset1:80
	v_fmac_f32_e32 v47, v60, v57
	v_fmac_f32_e32 v31, v61, v57
	ds_read2_b32 v[56:57], v39 offset0:128 offset1:144
	s_waitcnt lgkmcnt(1)
	v_fmac_f32_e32 v50, v52, v54
	v_fmac_f32_e32 v48, v53, v54
	;; [unrolled: 1-line block ×4, first 2 shown]
	ds_read2_b32 v[52:53], v39 offset0:96 offset1:112
	s_waitcnt lgkmcnt(0)
	v_fmac_f32_e32 v50, v52, v55
	v_fmac_f32_e32 v48, v53, v55
	;; [unrolled: 1-line block ×4, first 2 shown]
	ds_read_b128 v[52:55], v41 offset:2064
	v_fmac_f32_e32 v50, v56, v8
	v_fmac_f32_e32 v48, v57, v8
	s_waitcnt lgkmcnt(0)
	v_fmac_f32_e32 v47, v56, v52
	v_fmac_f32_e32 v31, v57, v52
	ds_read2_b32 v[56:57], v39 offset0:160 offset1:176
	s_waitcnt lgkmcnt(0)
	v_fmac_f32_e32 v50, v56, v9
	v_fmac_f32_e32 v48, v57, v9
	ds_read2_b32 v[8:9], v39 offset0:192 offset1:208
	v_fmac_f32_e32 v47, v56, v53
	v_fmac_f32_e32 v31, v57, v53
	ds_read2_b32 v[52:53], v51 offset1:16
	s_waitcnt lgkmcnt(1)
	v_fmac_f32_e32 v50, v8, v10
	v_fmac_f32_e32 v48, v9, v10
	;; [unrolled: 1-line block ×4, first 2 shown]
	ds_read2_b32 v[8:9], v39 offset0:224 offset1:240
	s_waitcnt lgkmcnt(0)
	v_fmac_f32_e32 v50, v8, v11
	v_fmac_f32_e32 v48, v9, v11
	;; [unrolled: 1-line block ×4, first 2 shown]
	ds_read_b128 v[8:11], v41 offset:2080
	v_fmac_f32_e32 v50, v52, v4
	v_fmac_f32_e32 v48, v53, v4
	s_waitcnt lgkmcnt(0)
	v_fmac_f32_e32 v47, v52, v8
	v_fmac_f32_e32 v31, v53, v8
	ds_read2_b32 v[52:53], v51 offset0:32 offset1:48
	s_waitcnt lgkmcnt(0)
	v_fmac_f32_e32 v50, v52, v5
	v_fmac_f32_e32 v48, v53, v5
	ds_read2_b32 v[4:5], v51 offset0:64 offset1:80
	v_fmac_f32_e32 v47, v52, v9
	v_fmac_f32_e32 v31, v53, v9
	ds_read2_b32 v[8:9], v51 offset0:128 offset1:144
	s_waitcnt lgkmcnt(1)
	v_fmac_f32_e32 v50, v4, v6
	v_fmac_f32_e32 v48, v5, v6
	v_fmac_f32_e32 v47, v4, v10
	v_fmac_f32_e32 v31, v5, v10
	ds_read2_b32 v[4:5], v51 offset0:96 offset1:112
	v_add_u32_e32 v10, 0x800, v39
	s_waitcnt lgkmcnt(0)
	v_fmac_f32_e32 v50, v4, v7
	v_fmac_f32_e32 v48, v5, v7
	;; [unrolled: 1-line block ×4, first 2 shown]
	ds_read_b128 v[4:7], v41 offset:2096
	v_fmac_f32_e32 v50, v8, v0
	v_fmac_f32_e32 v48, v9, v0
	s_waitcnt lgkmcnt(0)
	v_fmac_f32_e32 v47, v8, v4
	v_fmac_f32_e32 v31, v9, v4
	ds_read2_b32 v[8:9], v51 offset0:160 offset1:176
	s_waitcnt lgkmcnt(0)
	v_fmac_f32_e32 v50, v8, v1
	v_fmac_f32_e32 v48, v9, v1
	ds_read2_b32 v[0:1], v51 offset0:192 offset1:208
	v_fmac_f32_e32 v47, v8, v5
	v_fmac_f32_e32 v31, v9, v5
	ds_read2_b32 v[8:9], v10 offset1:16
	s_waitcnt lgkmcnt(1)
	v_fmac_f32_e32 v50, v0, v2
	v_fmac_f32_e32 v48, v1, v2
	;; [unrolled: 1-line block ×4, first 2 shown]
	ds_read2_b32 v[0:1], v51 offset0:224 offset1:240
	s_waitcnt lgkmcnt(0)
	v_fmac_f32_e32 v50, v0, v3
	v_fmac_f32_e32 v48, v1, v3
	;; [unrolled: 1-line block ×4, first 2 shown]
	ds_read_b128 v[0:3], v41 offset:64
	ds_read_b128 v[4:7], v41 offset:2112
	s_waitcnt lgkmcnt(1)
	v_fmac_f32_e32 v50, v8, v0
	v_fmac_f32_e32 v48, v9, v0
	s_waitcnt lgkmcnt(0)
	v_fmac_f32_e32 v47, v8, v4
	v_fmac_f32_e32 v31, v9, v4
	ds_read2_b32 v[8:9], v10 offset0:32 offset1:48
	s_waitcnt lgkmcnt(0)
	v_fmac_f32_e32 v50, v8, v1
	v_fmac_f32_e32 v48, v9, v1
	ds_read2_b32 v[0:1], v10 offset0:64 offset1:80
	v_fmac_f32_e32 v47, v8, v5
	v_fmac_f32_e32 v31, v9, v5
	s_waitcnt lgkmcnt(0)
	v_fmac_f32_e32 v50, v0, v2
	v_fmac_f32_e32 v48, v1, v2
	;; [unrolled: 1-line block ×4, first 2 shown]
	ds_read2_b32 v[0:1], v10 offset0:96 offset1:112
	s_waitcnt lgkmcnt(0)
	v_fmac_f32_e32 v50, v0, v3
	v_fmac_f32_e32 v48, v1, v3
	;; [unrolled: 1-line block ×4, first 2 shown]
	ds_read_b128 v[0:3], v41 offset:80
	ds_read2_b32 v[8:9], v10 offset0:128 offset1:144
	ds_read_b128 v[4:7], v41 offset:2128
	s_waitcnt lgkmcnt(1)
	v_fmac_f32_e32 v50, v8, v0
	v_fmac_f32_e32 v48, v9, v0
	s_waitcnt lgkmcnt(0)
	v_fmac_f32_e32 v47, v8, v4
	v_fmac_f32_e32 v31, v9, v4
	ds_read2_b32 v[8:9], v10 offset0:160 offset1:176
	s_waitcnt lgkmcnt(0)
	v_fmac_f32_e32 v50, v8, v1
	v_fmac_f32_e32 v48, v9, v1
	ds_read2_b32 v[0:1], v10 offset0:192 offset1:208
	v_fmac_f32_e32 v47, v8, v5
	v_fmac_f32_e32 v31, v9, v5
	s_waitcnt lgkmcnt(0)
	v_fmac_f32_e32 v50, v0, v2
	v_fmac_f32_e32 v48, v1, v2
	;; [unrolled: 1-line block ×4, first 2 shown]
	ds_read2_b32 v[0:1], v10 offset0:224 offset1:240
	v_add_u32_e32 v10, 0xc00, v39
	ds_read2_b32 v[8:9], v10 offset1:16
	s_waitcnt lgkmcnt(1)
	v_fmac_f32_e32 v50, v0, v3
	v_fmac_f32_e32 v48, v1, v3
	;; [unrolled: 1-line block ×4, first 2 shown]
	ds_read_b128 v[0:3], v41 offset:96
	ds_read_b128 v[4:7], v41 offset:2144
	s_waitcnt lgkmcnt(1)
	v_fmac_f32_e32 v50, v8, v0
	v_fmac_f32_e32 v48, v9, v0
	s_waitcnt lgkmcnt(0)
	v_fmac_f32_e32 v47, v8, v4
	v_fmac_f32_e32 v31, v9, v4
	ds_read2_b32 v[8:9], v10 offset0:32 offset1:48
	s_waitcnt lgkmcnt(0)
	v_fmac_f32_e32 v50, v8, v1
	v_fmac_f32_e32 v48, v9, v1
	ds_read2_b32 v[0:1], v10 offset0:64 offset1:80
	v_fmac_f32_e32 v47, v8, v5
	v_fmac_f32_e32 v31, v9, v5
	s_waitcnt lgkmcnt(0)
	v_fmac_f32_e32 v50, v0, v2
	v_fmac_f32_e32 v48, v1, v2
	;; [unrolled: 1-line block ×4, first 2 shown]
	ds_read2_b32 v[0:1], v10 offset0:96 offset1:112
	s_waitcnt lgkmcnt(0)
	v_fmac_f32_e32 v50, v0, v3
	v_fmac_f32_e32 v48, v1, v3
	;; [unrolled: 1-line block ×4, first 2 shown]
	ds_read_b128 v[0:3], v41 offset:112
	ds_read2_b32 v[8:9], v10 offset0:128 offset1:144
	ds_read_b128 v[4:7], v41 offset:2160
	s_waitcnt lgkmcnt(1)
	v_fmac_f32_e32 v50, v8, v0
	v_fmac_f32_e32 v48, v9, v0
	s_waitcnt lgkmcnt(0)
	v_fmac_f32_e32 v47, v8, v4
	v_fmac_f32_e32 v31, v9, v4
	ds_read2_b32 v[8:9], v10 offset0:160 offset1:176
	s_waitcnt lgkmcnt(0)
	v_fmac_f32_e32 v50, v8, v1
	v_fmac_f32_e32 v48, v9, v1
	ds_read2_b32 v[0:1], v10 offset0:192 offset1:208
	v_fmac_f32_e32 v47, v8, v5
	v_fmac_f32_e32 v31, v9, v5
	s_waitcnt lgkmcnt(0)
	v_fmac_f32_e32 v50, v0, v2
	v_fmac_f32_e32 v48, v1, v2
	;; [unrolled: 1-line block ×4, first 2 shown]
	ds_read2_b32 v[0:1], v10 offset0:224 offset1:240
	s_waitcnt lgkmcnt(0)
	s_barrier
	v_fmac_f32_e32 v50, v0, v3
	v_fmac_f32_e32 v48, v1, v3
	;; [unrolled: 1-line block ×4, first 2 shown]
	s_cbranch_scc1 .LBB11_55
.LBB11_7:                               ;   Parent Loop BB11_4 Depth=1
                                        ; =>  This Inner Loop Header: Depth=2
	v_mov_b32_e32 v0, s27
	v_add_co_u32_e64 v2, s[10:11], s26, v12
	v_addc_co_u32_e64 v3, s[10:11], 0, v0, s[10:11]
	v_mov_b32_e32 v1, s23
	v_add_co_u32_e64 v0, s[10:11], s22, v15
	v_addc_co_u32_e64 v1, s[10:11], v38, v1, s[10:11]
	v_cmp_eq_u64_e64 s[10:11], s[26:27], v[22:23]
	v_cmp_le_i64_e64 s[12:13], s[36:37], v[2:3]
	s_and_b64 s[42:43], s[34:35], s[10:11]
	v_cmp_gt_i64_e64 s[10:11], v[2:3], v[16:17]
	s_or_b64 s[16:17], s[12:13], s[10:11]
	s_or_b64 s[16:17], s[16:17], s[42:43]
	;; [unrolled: 1-line block ×3, first 2 shown]
	s_xor_b64 s[16:17], s[16:17], -1
	s_and_saveexec_b64 s[28:29], s[16:17]
	s_xor_b64 s[16:17], exec, s[28:29]
	s_cbranch_execz .LBB11_9
; %bb.8:                                ;   in Loop: Header=BB11_7 Depth=2
	global_load_dword v4, v[0:1], off
	s_waitcnt vmcnt(0)
	ds_write_b32 v40, v4
.LBB11_9:                               ;   in Loop: Header=BB11_7 Depth=2
	s_or_saveexec_b64 s[16:17], s[16:17]
	s_xor_b64 s[28:29], s[42:43], -1
	s_xor_b64 exec, exec, s[16:17]
	s_cbranch_execz .LBB11_15
; %bb.10:                               ;   in Loop: Header=BB11_7 Depth=2
	s_and_saveexec_b64 s[44:45], s[28:29]
	s_xor_b64 s[44:45], exec, s[44:45]
	s_cbranch_execz .LBB11_12
; %bb.11:                               ;   in Loop: Header=BB11_7 Depth=2
	ds_write_b32 v40, v13
.LBB11_12:                              ;   in Loop: Header=BB11_7 Depth=2
	s_andn2_saveexec_b64 s[44:45], s[44:45]
	s_cbranch_execz .LBB11_14
; %bb.13:                               ;   in Loop: Header=BB11_7 Depth=2
	ds_write_b32 v40, v45
.LBB11_14:                              ;   in Loop: Header=BB11_7 Depth=2
	s_or_b64 exec, exec, s[44:45]
.LBB11_15:                              ;   in Loop: Header=BB11_7 Depth=2
	s_or_b64 exec, exec, s[16:17]
	v_cmp_eq_u64_e64 s[16:17], s[26:27], v[24:25]
	s_and_b64 s[44:45], s[34:35], s[16:17]
	v_cmp_lt_i64_e64 s[16:17], v[18:19], v[2:3]
	s_or_b64 s[12:13], s[12:13], s[16:17]
	s_or_b64 s[12:13], s[12:13], s[44:45]
	;; [unrolled: 1-line block ×3, first 2 shown]
	s_xor_b64 s[12:13], s[12:13], -1
	s_and_saveexec_b64 s[16:17], s[12:13]
	s_xor_b64 s[16:17], exec, s[16:17]
	s_cbranch_execz .LBB11_17
; %bb.16:                               ;   in Loop: Header=BB11_7 Depth=2
	v_mov_b32_e32 v5, s23
	v_add_co_u32_e64 v4, s[12:13], s22, v43
	v_addc_co_u32_e64 v5, s[12:13], v44, v5, s[12:13]
	global_load_dword v4, v[4:5], off
	s_waitcnt vmcnt(0)
	ds_write_b32 v40, v4 offset:64
.LBB11_17:                              ;   in Loop: Header=BB11_7 Depth=2
	s_andn2_saveexec_b64 s[12:13], s[16:17]
	s_cbranch_execz .LBB11_23
; %bb.18:                               ;   in Loop: Header=BB11_7 Depth=2
	s_xor_b64 s[16:17], s[44:45], -1
	s_and_saveexec_b64 s[44:45], s[16:17]
	s_xor_b64 s[16:17], exec, s[44:45]
	s_cbranch_execz .LBB11_20
; %bb.19:                               ;   in Loop: Header=BB11_7 Depth=2
	ds_write_b32 v40, v13 offset:64
.LBB11_20:                              ;   in Loop: Header=BB11_7 Depth=2
	s_andn2_saveexec_b64 s[16:17], s[16:17]
	s_cbranch_execz .LBB11_22
; %bb.21:                               ;   in Loop: Header=BB11_7 Depth=2
	ds_write_b32 v40, v45 offset:64
.LBB11_22:                              ;   in Loop: Header=BB11_7 Depth=2
	s_or_b64 exec, exec, s[16:17]
.LBB11_23:                              ;   in Loop: Header=BB11_7 Depth=2
	s_or_b64 exec, exec, s[12:13]
	v_add_co_u32_e64 v2, s[12:13], 16, v2
	v_addc_co_u32_e64 v3, s[12:13], 0, v3, s[12:13]
	v_cmp_eq_u64_e64 s[16:17], s[26:27], v[26:27]
	v_cmp_le_i64_e64 s[12:13], s[36:37], v[2:3]
	s_and_b64 s[44:45], s[34:35], s[16:17]
	v_cmp_gt_i64_e64 s[16:17], v[2:3], v[16:17]
	s_or_b64 s[16:17], s[12:13], s[16:17]
	s_or_b64 s[16:17], s[16:17], s[44:45]
	;; [unrolled: 1-line block ×3, first 2 shown]
	s_xor_b64 s[16:17], s[16:17], -1
	s_and_saveexec_b64 s[52:53], s[16:17]
	s_xor_b64 s[16:17], exec, s[52:53]
	s_cbranch_execz .LBB11_25
; %bb.24:                               ;   in Loop: Header=BB11_7 Depth=2
	global_load_dword v0, v[0:1], off offset:64
	s_waitcnt vmcnt(0)
	ds_write_b32 v40, v0 offset:2048
.LBB11_25:                              ;   in Loop: Header=BB11_7 Depth=2
	s_andn2_saveexec_b64 s[16:17], s[16:17]
	s_cbranch_execz .LBB11_31
; %bb.26:                               ;   in Loop: Header=BB11_7 Depth=2
	s_xor_b64 s[44:45], s[44:45], -1
	s_and_saveexec_b64 s[52:53], s[44:45]
	s_xor_b64 s[44:45], exec, s[52:53]
	s_cbranch_execz .LBB11_28
; %bb.27:                               ;   in Loop: Header=BB11_7 Depth=2
	ds_write_b32 v40, v13 offset:2048
.LBB11_28:                              ;   in Loop: Header=BB11_7 Depth=2
	s_andn2_saveexec_b64 s[44:45], s[44:45]
	s_cbranch_execz .LBB11_30
; %bb.29:                               ;   in Loop: Header=BB11_7 Depth=2
	ds_write_b32 v40, v45 offset:2048
.LBB11_30:                              ;   in Loop: Header=BB11_7 Depth=2
	s_or_b64 exec, exec, s[44:45]
.LBB11_31:                              ;   in Loop: Header=BB11_7 Depth=2
	s_or_b64 exec, exec, s[16:17]
	s_or_b64 s[10:11], s[12:13], s[10:11]
	s_or_b64 s[10:11], s[10:11], s[42:43]
	;; [unrolled: 1-line block ×3, first 2 shown]
	s_xor_b64 s[10:11], s[10:11], -1
	s_and_saveexec_b64 s[12:13], s[10:11]
	s_xor_b64 s[12:13], exec, s[12:13]
	s_cbranch_execz .LBB11_33
; %bb.32:                               ;   in Loop: Header=BB11_7 Depth=2
	v_mov_b32_e32 v1, s23
	v_add_co_u32_e64 v0, s[10:11], s22, v43
	v_addc_co_u32_e64 v1, s[10:11], v44, v1, s[10:11]
	global_load_dword v0, v[0:1], off offset:64
	s_waitcnt vmcnt(0)
	ds_write_b32 v40, v0 offset:2112
.LBB11_33:                              ;   in Loop: Header=BB11_7 Depth=2
	s_andn2_saveexec_b64 s[10:11], s[12:13]
	s_cbranch_execz .LBB11_39
; %bb.34:                               ;   in Loop: Header=BB11_7 Depth=2
	s_and_saveexec_b64 s[12:13], s[28:29]
	s_xor_b64 s[12:13], exec, s[12:13]
	s_cbranch_execz .LBB11_36
; %bb.35:                               ;   in Loop: Header=BB11_7 Depth=2
	ds_write_b32 v40, v13 offset:2112
.LBB11_36:                              ;   in Loop: Header=BB11_7 Depth=2
	s_andn2_saveexec_b64 s[12:13], s[12:13]
	s_cbranch_execz .LBB11_38
; %bb.37:                               ;   in Loop: Header=BB11_7 Depth=2
	ds_write_b32 v40, v45 offset:2112
.LBB11_38:                              ;   in Loop: Header=BB11_7 Depth=2
	s_or_b64 exec, exec, s[12:13]
.LBB11_39:                              ;   in Loop: Header=BB11_7 Depth=2
	s_or_b64 exec, exec, s[10:11]
	v_mov_b32_e32 v1, s27
	v_add_co_u32_e64 v0, s[10:11], s26, v14
	v_addc_co_u32_e64 v1, s[10:11], 0, v1, s[10:11]
	v_cmp_gt_i64_e64 s[10:11], s[36:37], v[0:1]
	s_and_b64 s[12:13], vcc, s[10:11]
	s_xor_b64 s[12:13], s[12:13], -1
	s_and_saveexec_b64 s[16:17], s[12:13]
	s_xor_b64 s[12:13], exec, s[16:17]
	s_cbranch_execz .LBB11_41
; %bb.40:                               ;   in Loop: Header=BB11_7 Depth=2
	ds_write_b32 v42, v13
.LBB11_41:                              ;   in Loop: Header=BB11_7 Depth=2
	s_or_saveexec_b64 s[16:17], s[12:13]
	v_mov_b32_e32 v3, s23
	v_add_co_u32_e64 v2, s[12:13], s22, v34
	v_addc_co_u32_e64 v3, s[12:13], v35, v3, s[12:13]
	s_xor_b64 exec, exec, s[16:17]
	s_cbranch_execz .LBB11_43
; %bb.42:                               ;   in Loop: Header=BB11_7 Depth=2
	global_load_dword v4, v[2:3], off offset:-64
	s_waitcnt vmcnt(0)
	ds_write_b32 v42, v4
.LBB11_43:                              ;   in Loop: Header=BB11_7 Depth=2
	s_or_b64 exec, exec, s[16:17]
	v_cmp_gt_i64_e64 s[12:13], s[38:39], v[0:1]
	s_and_b64 s[16:17], vcc, s[12:13]
	s_xor_b64 s[16:17], s[16:17], -1
	s_and_saveexec_b64 s[28:29], s[16:17]
	s_xor_b64 s[16:17], exec, s[28:29]
	s_cbranch_execz .LBB11_45
; %bb.44:                               ;   in Loop: Header=BB11_7 Depth=2
	ds_write_b32 v42, v13 offset:64
                                        ; implicit-def: $vgpr2_vgpr3
.LBB11_45:                              ;   in Loop: Header=BB11_7 Depth=2
	s_andn2_saveexec_b64 s[16:17], s[16:17]
	s_cbranch_execz .LBB11_47
; %bb.46:                               ;   in Loop: Header=BB11_7 Depth=2
	global_load_dword v0, v[2:3], off
	s_waitcnt vmcnt(0)
	ds_write_b32 v42, v0 offset:64
.LBB11_47:                              ;   in Loop: Header=BB11_7 Depth=2
	s_or_b64 exec, exec, s[16:17]
	s_and_b64 s[10:11], s[8:9], s[10:11]
	s_xor_b64 s[10:11], s[10:11], -1
	s_and_saveexec_b64 s[16:17], s[10:11]
	s_xor_b64 s[10:11], exec, s[16:17]
	s_cbranch_execz .LBB11_49
; %bb.48:                               ;   in Loop: Header=BB11_7 Depth=2
	ds_write_b32 v42, v13 offset:2048
.LBB11_49:                              ;   in Loop: Header=BB11_7 Depth=2
	s_andn2_saveexec_b64 s[16:17], s[10:11]
	s_cbranch_execz .LBB11_51
; %bb.50:                               ;   in Loop: Header=BB11_7 Depth=2
	v_mov_b32_e32 v1, s23
	v_add_co_u32_e64 v0, s[10:11], s22, v36
	v_addc_co_u32_e64 v1, s[10:11], v37, v1, s[10:11]
	global_load_dword v0, v[0:1], off offset:-64
	s_waitcnt vmcnt(0)
	ds_write_b32 v42, v0 offset:2048
.LBB11_51:                              ;   in Loop: Header=BB11_7 Depth=2
	s_or_b64 exec, exec, s[16:17]
	s_and_b64 s[10:11], s[8:9], s[12:13]
	s_xor_b64 s[10:11], s[10:11], -1
	s_and_saveexec_b64 s[12:13], s[10:11]
	s_xor_b64 s[10:11], exec, s[12:13]
	s_cbranch_execz .LBB11_53
; %bb.52:                               ;   in Loop: Header=BB11_7 Depth=2
	ds_write_b32 v42, v13 offset:2112
.LBB11_53:                              ;   in Loop: Header=BB11_7 Depth=2
	s_andn2_saveexec_b64 s[12:13], s[10:11]
	s_cbranch_execz .LBB11_6
; %bb.54:                               ;   in Loop: Header=BB11_7 Depth=2
	v_mov_b32_e32 v1, s23
	v_add_co_u32_e64 v0, s[10:11], s22, v36
	v_addc_co_u32_e64 v1, s[10:11], v37, v1, s[10:11]
	global_load_dword v0, v[0:1], off
	s_waitcnt vmcnt(0)
	ds_write_b32 v42, v0 offset:2112
	s_branch .LBB11_6
.LBB11_55:                              ;   in Loop: Header=BB11_4 Depth=1
	v_mul_lo_u32 v2, v49, s40
	v_mul_lo_u32 v3, v46, s41
	v_mad_u64_u32 v[0:1], s[8:9], v46, s40, 0
	v_add3_u32 v1, v1, v3, v2
	v_lshlrev_b64 v[0:1], 2, v[0:1]
	v_mov_b32_e32 v2, s47
	v_add_co_u32_e64 v0, s[8:9], s46, v0
	v_cmp_gt_i32_e32 vcc, s30, v46
	v_addc_co_u32_e64 v1, s[8:9], v2, v1, s[8:9]
	s_and_b64 s[8:9], s[4:5], vcc
	s_and_saveexec_b64 s[10:11], s[8:9]
	s_cbranch_execz .LBB11_57
; %bb.56:                               ;   in Loop: Header=BB11_4 Depth=1
	v_add_co_u32_e64 v2, s[8:9], v0, v32
	v_addc_co_u32_e64 v3, s[8:9], v1, v33, s[8:9]
	global_load_dword v4, v[2:3], off
	s_waitcnt vmcnt(0)
	v_fmac_f32_e32 v4, s31, v50
	global_store_dword v[2:3], v4, off
.LBB11_57:                              ;   in Loop: Header=BB11_4 Depth=1
	s_or_b64 exec, exec, s[10:11]
	s_and_b64 s[10:11], s[14:15], vcc
	s_and_saveexec_b64 s[8:9], s[10:11]
	s_cbranch_execz .LBB11_59
; %bb.58:                               ;   in Loop: Header=BB11_4 Depth=1
	v_lshlrev_b64 v[2:3], 2, v[20:21]
	v_add_co_u32_e32 v0, vcc, v0, v2
	v_addc_co_u32_e32 v1, vcc, v1, v3, vcc
	global_load_dword v2, v[0:1], off
	s_waitcnt vmcnt(0)
	v_fmac_f32_e32 v2, s31, v48
	global_store_dword v[0:1], v2, off
.LBB11_59:                              ;   in Loop: Header=BB11_4 Depth=1
	s_or_b64 exec, exec, s[8:9]
	v_add_u32_e32 v0, 16, v46
	v_ashrrev_i32_e32 v1, 31, v0
	v_cmp_gt_i32_e32 vcc, s30, v0
	v_mul_lo_u32 v2, v1, s40
	v_mul_lo_u32 v3, v0, s41
	v_mad_u64_u32 v[0:1], s[8:9], v0, s40, 0
	v_add3_u32 v1, v1, v3, v2
	v_lshlrev_b64 v[0:1], 2, v[0:1]
	v_mov_b32_e32 v2, s47
	v_add_co_u32_e64 v0, s[8:9], s46, v0
	v_addc_co_u32_e64 v1, s[8:9], v2, v1, s[8:9]
	s_and_b64 s[8:9], s[4:5], vcc
	s_and_saveexec_b64 s[10:11], s[8:9]
	s_cbranch_execz .LBB11_61
; %bb.60:                               ;   in Loop: Header=BB11_4 Depth=1
	v_add_co_u32_e64 v2, s[8:9], v0, v32
	v_addc_co_u32_e64 v3, s[8:9], v1, v33, s[8:9]
	global_load_dword v4, v[2:3], off
	s_waitcnt vmcnt(0)
	v_fmac_f32_e32 v4, s31, v47
	global_store_dword v[2:3], v4, off
.LBB11_61:                              ;   in Loop: Header=BB11_4 Depth=1
	s_or_b64 exec, exec, s[10:11]
	s_and_b64 s[10:11], s[14:15], vcc
	s_and_saveexec_b64 s[8:9], s[10:11]
	s_cbranch_execz .LBB11_3
; %bb.62:                               ;   in Loop: Header=BB11_4 Depth=1
	v_lshlrev_b64 v[2:3], 2, v[20:21]
	v_add_co_u32_e32 v0, vcc, v0, v2
	v_addc_co_u32_e32 v1, vcc, v1, v3, vcc
	global_load_dword v2, v[0:1], off
	s_waitcnt vmcnt(0)
	v_fmac_f32_e32 v2, s31, v31
	global_store_dword v[0:1], v2, off
	s_branch .LBB11_3
.LBB11_63:
	s_endpgm
	.section	.rodata,"a",@progbits
	.p2align	6, 0x0
	.amdhsa_kernel _ZL30rocblas_trmm_outofplace_kernelIfLi32ELi2ELb1ELb1ELb1ELb1EfKffEv17rocblas_diagonal_iiT6_lPT7_lllS4_lllPT8_llli
		.amdhsa_group_segment_fixed_size 8192
		.amdhsa_private_segment_fixed_size 0
		.amdhsa_kernarg_size 384
		.amdhsa_user_sgpr_count 6
		.amdhsa_user_sgpr_private_segment_buffer 1
		.amdhsa_user_sgpr_dispatch_ptr 0
		.amdhsa_user_sgpr_queue_ptr 0
		.amdhsa_user_sgpr_kernarg_segment_ptr 1
		.amdhsa_user_sgpr_dispatch_id 0
		.amdhsa_user_sgpr_flat_scratch_init 0
		.amdhsa_user_sgpr_kernarg_preload_length 0
		.amdhsa_user_sgpr_kernarg_preload_offset 0
		.amdhsa_user_sgpr_private_segment_size 0
		.amdhsa_uses_dynamic_stack 0
		.amdhsa_system_sgpr_private_segment_wavefront_offset 0
		.amdhsa_system_sgpr_workgroup_id_x 1
		.amdhsa_system_sgpr_workgroup_id_y 1
		.amdhsa_system_sgpr_workgroup_id_z 1
		.amdhsa_system_sgpr_workgroup_info 0
		.amdhsa_system_vgpr_workitem_id 1
		.amdhsa_next_free_vgpr 62
		.amdhsa_next_free_sgpr 54
		.amdhsa_accum_offset 64
		.amdhsa_reserve_vcc 1
		.amdhsa_reserve_flat_scratch 0
		.amdhsa_float_round_mode_32 0
		.amdhsa_float_round_mode_16_64 0
		.amdhsa_float_denorm_mode_32 3
		.amdhsa_float_denorm_mode_16_64 3
		.amdhsa_dx10_clamp 1
		.amdhsa_ieee_mode 1
		.amdhsa_fp16_overflow 0
		.amdhsa_tg_split 0
		.amdhsa_exception_fp_ieee_invalid_op 0
		.amdhsa_exception_fp_denorm_src 0
		.amdhsa_exception_fp_ieee_div_zero 0
		.amdhsa_exception_fp_ieee_overflow 0
		.amdhsa_exception_fp_ieee_underflow 0
		.amdhsa_exception_fp_ieee_inexact 0
		.amdhsa_exception_int_div_zero 0
	.end_amdhsa_kernel
	.section	.text._ZL30rocblas_trmm_outofplace_kernelIfLi32ELi2ELb1ELb1ELb1ELb1EfKffEv17rocblas_diagonal_iiT6_lPT7_lllS4_lllPT8_llli,"axG",@progbits,_ZL30rocblas_trmm_outofplace_kernelIfLi32ELi2ELb1ELb1ELb1ELb1EfKffEv17rocblas_diagonal_iiT6_lPT7_lllS4_lllPT8_llli,comdat
.Lfunc_end11:
	.size	_ZL30rocblas_trmm_outofplace_kernelIfLi32ELi2ELb1ELb1ELb1ELb1EfKffEv17rocblas_diagonal_iiT6_lPT7_lllS4_lllPT8_llli, .Lfunc_end11-_ZL30rocblas_trmm_outofplace_kernelIfLi32ELi2ELb1ELb1ELb1ELb1EfKffEv17rocblas_diagonal_iiT6_lPT7_lllS4_lllPT8_llli
                                        ; -- End function
	.section	.AMDGPU.csdata,"",@progbits
; Kernel info:
; codeLenInByte = 3164
; NumSgprs: 58
; NumVgprs: 62
; NumAgprs: 0
; TotalNumVgprs: 62
; ScratchSize: 0
; MemoryBound: 0
; FloatMode: 240
; IeeeMode: 1
; LDSByteSize: 8192 bytes/workgroup (compile time only)
; SGPRBlocks: 7
; VGPRBlocks: 7
; NumSGPRsForWavesPerEU: 58
; NumVGPRsForWavesPerEU: 62
; AccumOffset: 64
; Occupancy: 8
; WaveLimiterHint : 0
; COMPUTE_PGM_RSRC2:SCRATCH_EN: 0
; COMPUTE_PGM_RSRC2:USER_SGPR: 6
; COMPUTE_PGM_RSRC2:TRAP_HANDLER: 0
; COMPUTE_PGM_RSRC2:TGID_X_EN: 1
; COMPUTE_PGM_RSRC2:TGID_Y_EN: 1
; COMPUTE_PGM_RSRC2:TGID_Z_EN: 1
; COMPUTE_PGM_RSRC2:TIDIG_COMP_CNT: 1
; COMPUTE_PGM_RSRC3_GFX90A:ACCUM_OFFSET: 15
; COMPUTE_PGM_RSRC3_GFX90A:TG_SPLIT: 0
	.section	.text._ZL30rocblas_trmm_outofplace_kernelIfLi32ELi2ELb0ELb0ELb0ELb0EPKfS0_fEv17rocblas_diagonal_iiT6_lPT7_lllS5_lllPT8_llli,"axG",@progbits,_ZL30rocblas_trmm_outofplace_kernelIfLi32ELi2ELb0ELb0ELb0ELb0EPKfS0_fEv17rocblas_diagonal_iiT6_lPT7_lllS5_lllPT8_llli,comdat
	.globl	_ZL30rocblas_trmm_outofplace_kernelIfLi32ELi2ELb0ELb0ELb0ELb0EPKfS0_fEv17rocblas_diagonal_iiT6_lPT7_lllS5_lllPT8_llli ; -- Begin function _ZL30rocblas_trmm_outofplace_kernelIfLi32ELi2ELb0ELb0ELb0ELb0EPKfS0_fEv17rocblas_diagonal_iiT6_lPT7_lllS5_lllPT8_llli
	.p2align	8
	.type	_ZL30rocblas_trmm_outofplace_kernelIfLi32ELi2ELb0ELb0ELb0ELb0EPKfS0_fEv17rocblas_diagonal_iiT6_lPT7_lllS5_lllPT8_llli,@function
_ZL30rocblas_trmm_outofplace_kernelIfLi32ELi2ELb0ELb0ELb0ELb0EPKfS0_fEv17rocblas_diagonal_iiT6_lPT7_lllS5_lllPT8_llli: ; @_ZL30rocblas_trmm_outofplace_kernelIfLi32ELi2ELb0ELb0ELb0ELb0EPKfS0_fEv17rocblas_diagonal_iiT6_lPT7_lllS5_lllPT8_llli
; %bb.0:
	s_load_dwordx16 s[16:31], s[4:5], 0x10
	s_waitcnt lgkmcnt(0)
	s_mul_i32 s0, s8, s19
	s_mul_hi_u32 s1, s8, s18
	s_add_i32 s1, s1, s0
	s_mul_i32 s0, s8, s18
	s_lshl_b64 s[0:1], s[0:1], 2
	s_add_u32 s0, s16, s0
	s_addc_u32 s1, s17, s1
	s_load_dword s33, s[0:1], 0x0
	s_waitcnt lgkmcnt(0)
	v_cmp_eq_f32_e64 s[0:1], s33, 0
	s_and_b64 vcc, exec, s[0:1]
	s_cbranch_vccnz .LBB12_63
; %bb.1:
	s_load_dwordx4 s[44:47], s[4:5], 0x0
	s_waitcnt lgkmcnt(0)
	s_add_i32 s0, s46, -1
	s_ashr_i32 s1, s0, 31
	s_lshr_b32 s1, s1, 27
	s_add_i32 s0, s0, s1
	s_ashr_i32 s52, s0, 5
	s_cmp_gt_i32 s7, s52
	s_cbranch_scc1 .LBB12_63
; %bb.2:
	s_load_dwordx8 s[36:43], s[4:5], 0x50
	s_load_dwordx4 s[48:51], s[4:5], 0x70
	s_load_dword s53, s[4:5], 0x8c
	v_and_b32_e32 v4, 0x3ff, v0
	v_bfe_u32 v44, v0, 10, 10
	s_waitcnt lgkmcnt(0)
	s_mul_i32 s1, s8, s39
	s_mul_hi_u32 s2, s8, s38
	s_mul_i32 s0, s8, s38
	s_add_i32 s1, s2, s1
	s_lshl_b64 s[0:1], s[0:1], 2
	s_add_u32 s2, s28, s0
	s_addc_u32 s3, s29, s1
	s_lshl_b64 s[0:1], s[30:31], 2
	s_add_u32 s2, s2, s0
	s_addc_u32 s3, s3, s1
	s_mul_i32 s0, s8, s51
	s_mul_hi_u32 s1, s8, s50
	s_add_i32 s1, s1, s0
	s_mul_i32 s0, s8, s50
	s_lshl_b64 s[0:1], s[0:1], 2
	s_add_u32 s4, s40, s0
	s_addc_u32 s5, s41, s1
	s_lshl_b64 s[0:1], s[42:43], 2
	s_add_u32 s50, s4, s0
	s_addc_u32 s51, s5, s1
	s_cmpk_eq_i32 s44, 0x84
	s_cselect_b64 s[28:29], -1, 0
	s_ashr_i32 s47, s46, 31
	s_ashr_i32 s0, s45, 31
	s_lshl_b64 s[30:31], s[36:37], 7
	v_lshl_add_u32 v0, s6, 5, v4
	s_add_u32 s34, s46, -16
	v_ashrrev_i32_e32 v1, 31, v0
	s_addc_u32 s35, s47, -1
	s_lshl_b32 s9, s7, 5
	v_lshlrev_b64 v[12:13], 2, v[0:1]
	v_add_u32_e32 v18, s9, v4
	v_add_u32_e32 v20, s9, v44
	s_mul_i32 s9, s27, s8
	s_mul_hi_u32 s10, s26, s8
	v_mov_b32_e32 v2, s3
	v_add_co_u32_e32 v14, vcc, s2, v12
	s_add_i32 s9, s10, s9
	s_mul_i32 s8, s26, s8
	v_addc_co_u32_e32 v15, vcc, v2, v13, vcc
	s_lshl_b32 s6, s53, 5
	s_lshl_b64 s[38:39], s[36:37], 2
	s_lshl_b64 s[8:9], s[8:9], 2
	s_lshl_b64 s[10:11], s[22:23], 2
	v_mov_b32_e32 v3, s0
	v_sub_co_u32_e32 v2, vcc, s45, v0
	s_add_u32 s8, s8, s10
	v_subb_co_u32_e32 v3, vcc, v3, v1, vcc
	v_lshlrev_b32_e32 v1, 2, v4
	s_addc_u32 s9, s9, s11
	v_lshlrev_b32_e32 v45, 7, v44
	v_or_b32_e32 v47, 0x1000, v1
	v_add_u32_e32 v16, 16, v0
	s_add_u32 s20, s20, s8
	v_add_u32_e32 v46, v45, v1
	v_cmp_gt_i64_e64 s[0:1], 1, v[2:3]
	v_add_u32_e32 v48, v47, v45
	v_cmp_gt_i64_e64 s[2:3], 17, v[2:3]
	v_cmp_gt_i32_e64 s[4:5], s45, v0
	v_cmp_gt_i32_e64 s[16:17], s45, v16
	v_ashrrev_i32_e32 v17, 31, v16
	s_addc_u32 s21, s21, s9
	s_lshl_b64 s[22:23], s[24:25], 2
	v_mov_b32_e32 v49, 0
	v_mov_b32_e32 v50, 1.0
	s_branch .LBB12_4
.LBB12_3:                               ;   in Loop: Header=BB12_4 Depth=1
	s_or_b64 exec, exec, s[8:9]
	s_add_i32 s7, s53, s7
	v_add_u32_e32 v18, s6, v18
	s_cmp_le_i32 s7, s52
	v_add_u32_e32 v20, s6, v20
	s_cbranch_scc0 .LBB12_63
.LBB12_4:                               ; =>This Loop Header: Depth=1
                                        ;     Child Loop BB12_7 Depth 2
	s_lshl_b32 s8, s7, 5
	v_add_u32_e32 v22, s8, v44
	s_sub_i32 s54, s46, s8
	v_ashrrev_i32_e32 v19, 31, v18
	v_ashrrev_i32_e32 v21, 31, v20
	;; [unrolled: 1-line block ×3, first 2 shown]
	s_cmp_lt_i32 s54, 1
	v_mov_b32_e32 v54, 0
	v_mov_b32_e32 v53, 0
	;; [unrolled: 1-line block ×4, first 2 shown]
	s_cbranch_scc1 .LBB12_55
; %bb.5:                                ;   in Loop: Header=BB12_4 Depth=1
	v_mad_u64_u32 v[26:27], s[8:9], s38, v20, 64
	v_mul_lo_u32 v0, s38, v21
	v_mul_lo_u32 v1, s39, v20
	v_add3_u32 v27, v1, v27, v0
	v_pk_mov_b32 v[0:1], s[20:21], s[20:21] op_sel:[0,1]
	v_sub_co_u32_e32 v24, vcc, v20, v18
	v_mad_u64_u32 v[30:31], s[8:9], s22, v20, v[0:1]
	v_mul_lo_u32 v2, s22, v21
	v_mul_lo_u32 v3, s23, v20
	v_subb_co_u32_e32 v25, vcc, v21, v19, vcc
	v_add3_u32 v31, v3, v31, v2
	v_lshlrev_b64 v[2:3], 2, v[20:21]
	v_add_co_u32_e32 v2, vcc, 64, v2
	v_addc_co_u32_e32 v3, vcc, 0, v3, vcc
	v_add_co_u32_e32 v36, vcc, 16, v22
	v_addc_co_u32_e32 v37, vcc, 0, v23, vcc
	v_add_co_u32_e32 v38, vcc, 16, v24
	v_addc_co_u32_e32 v39, vcc, 0, v25, vcc
	v_mul_lo_u32 v4, s24, v3
	v_mul_lo_u32 v5, s25, v2
	v_mad_u64_u32 v[32:33], s[8:9], s24, v2, v[0:1]
	v_mul_lo_u32 v0, s36, v3
	v_mul_lo_u32 v1, s37, v2
	v_mad_u64_u32 v[34:35], s[8:9], s36, v2, 64
	v_add_co_u32_e32 v40, vcc, -16, v24
	v_lshlrev_b64 v[28:29], 2, v[18:19]
	v_add3_u32 v33, v5, v33, v4
	v_add3_u32 v35, v1, v35, v0
	v_cmp_le_i32_e64 s[8:9], s46, v22
	v_cmp_le_i64_e64 s[10:11], s[46:47], v[36:37]
	v_addc_co_u32_e32 v41, vcc, -1, v25, vcc
	s_mov_b64 s[26:27], 0
	v_mov_b32_e32 v51, 0
	v_pk_mov_b32 v[42:43], v[14:15], v[14:15] op_sel:[0,1]
	v_mov_b32_e32 v52, 0
	v_mov_b32_e32 v53, 0
	;; [unrolled: 1-line block ×3, first 2 shown]
	s_branch .LBB12_7
.LBB12_6:                               ;   in Loop: Header=BB12_7 Depth=2
	s_or_b64 exec, exec, s[12:13]
	s_waitcnt lgkmcnt(0)
	s_barrier
	ds_read_b128 v[56:59], v45
	ds_read_b128 v[8:11], v45 offset:16
	ds_read_b128 v[4:7], v45 offset:32
	;; [unrolled: 1-line block ×3, first 2 shown]
	ds_read2_b32 v[64:65], v47 offset1:16
	ds_read_b128 v[60:63], v45 offset:2048
	v_add_u32_e32 v55, 0x400, v47
	v_add_co_u32_e32 v42, vcc, s30, v42
	s_waitcnt lgkmcnt(1)
	v_fmac_f32_e32 v54, v64, v56
	v_fmac_f32_e32 v53, v65, v56
	s_waitcnt lgkmcnt(0)
	v_fmac_f32_e32 v52, v64, v60
	v_fmac_f32_e32 v51, v65, v60
	ds_read2_b32 v[64:65], v47 offset0:32 offset1:48
	s_add_u32 s26, s26, 32
	s_addc_u32 s27, s27, 0
	s_cmp_ge_i32 s26, s54
	s_waitcnt lgkmcnt(0)
	v_fmac_f32_e32 v54, v64, v57
	v_fmac_f32_e32 v53, v65, v57
	ds_read2_b32 v[56:57], v47 offset0:64 offset1:80
	v_fmac_f32_e32 v52, v64, v61
	v_fmac_f32_e32 v51, v65, v61
	ds_read2_b32 v[60:61], v47 offset0:128 offset1:144
	s_waitcnt lgkmcnt(1)
	v_fmac_f32_e32 v54, v56, v58
	v_fmac_f32_e32 v53, v57, v58
	;; [unrolled: 1-line block ×4, first 2 shown]
	ds_read2_b32 v[56:57], v47 offset0:96 offset1:112
	s_waitcnt lgkmcnt(0)
	v_fmac_f32_e32 v54, v56, v59
	v_fmac_f32_e32 v53, v57, v59
	;; [unrolled: 1-line block ×4, first 2 shown]
	ds_read_b128 v[56:59], v45 offset:2064
	v_fmac_f32_e32 v54, v60, v8
	v_fmac_f32_e32 v53, v61, v8
	s_waitcnt lgkmcnt(0)
	v_fmac_f32_e32 v52, v60, v56
	v_fmac_f32_e32 v51, v61, v56
	ds_read2_b32 v[60:61], v47 offset0:160 offset1:176
	s_waitcnt lgkmcnt(0)
	v_fmac_f32_e32 v54, v60, v9
	v_fmac_f32_e32 v53, v61, v9
	ds_read2_b32 v[8:9], v47 offset0:192 offset1:208
	v_fmac_f32_e32 v52, v60, v57
	v_fmac_f32_e32 v51, v61, v57
	ds_read2_b32 v[56:57], v55 offset1:16
	s_waitcnt lgkmcnt(1)
	v_fmac_f32_e32 v54, v8, v10
	v_fmac_f32_e32 v53, v9, v10
	v_fmac_f32_e32 v52, v8, v58
	v_fmac_f32_e32 v51, v9, v58
	ds_read2_b32 v[8:9], v47 offset0:224 offset1:240
	s_waitcnt lgkmcnt(0)
	v_fmac_f32_e32 v54, v8, v11
	v_fmac_f32_e32 v53, v9, v11
	;; [unrolled: 1-line block ×4, first 2 shown]
	ds_read_b128 v[8:11], v45 offset:2080
	v_fmac_f32_e32 v54, v56, v4
	v_fmac_f32_e32 v53, v57, v4
	s_waitcnt lgkmcnt(0)
	v_fmac_f32_e32 v52, v56, v8
	v_fmac_f32_e32 v51, v57, v8
	ds_read2_b32 v[56:57], v55 offset0:32 offset1:48
	s_waitcnt lgkmcnt(0)
	v_fmac_f32_e32 v54, v56, v5
	v_fmac_f32_e32 v53, v57, v5
	ds_read2_b32 v[4:5], v55 offset0:64 offset1:80
	v_fmac_f32_e32 v52, v56, v9
	v_fmac_f32_e32 v51, v57, v9
	ds_read2_b32 v[8:9], v55 offset0:128 offset1:144
	s_waitcnt lgkmcnt(1)
	v_fmac_f32_e32 v54, v4, v6
	v_fmac_f32_e32 v53, v5, v6
	;; [unrolled: 1-line block ×4, first 2 shown]
	ds_read2_b32 v[4:5], v55 offset0:96 offset1:112
	v_add_u32_e32 v10, 0x800, v47
	s_waitcnt lgkmcnt(0)
	v_fmac_f32_e32 v54, v4, v7
	v_fmac_f32_e32 v53, v5, v7
	;; [unrolled: 1-line block ×4, first 2 shown]
	ds_read_b128 v[4:7], v45 offset:2096
	v_fmac_f32_e32 v54, v8, v0
	v_fmac_f32_e32 v53, v9, v0
	s_waitcnt lgkmcnt(0)
	v_fmac_f32_e32 v52, v8, v4
	v_fmac_f32_e32 v51, v9, v4
	ds_read2_b32 v[8:9], v55 offset0:160 offset1:176
	s_waitcnt lgkmcnt(0)
	v_fmac_f32_e32 v54, v8, v1
	v_fmac_f32_e32 v53, v9, v1
	ds_read2_b32 v[0:1], v55 offset0:192 offset1:208
	v_fmac_f32_e32 v52, v8, v5
	v_fmac_f32_e32 v51, v9, v5
	ds_read2_b32 v[8:9], v10 offset1:16
	s_waitcnt lgkmcnt(1)
	v_fmac_f32_e32 v54, v0, v2
	v_fmac_f32_e32 v53, v1, v2
	;; [unrolled: 1-line block ×4, first 2 shown]
	ds_read2_b32 v[0:1], v55 offset0:224 offset1:240
	s_waitcnt lgkmcnt(0)
	v_fmac_f32_e32 v54, v0, v3
	v_fmac_f32_e32 v53, v1, v3
	;; [unrolled: 1-line block ×4, first 2 shown]
	ds_read_b128 v[0:3], v45 offset:64
	ds_read_b128 v[4:7], v45 offset:2112
	s_waitcnt lgkmcnt(1)
	v_fmac_f32_e32 v54, v8, v0
	v_fmac_f32_e32 v53, v9, v0
	s_waitcnt lgkmcnt(0)
	v_fmac_f32_e32 v52, v8, v4
	v_fmac_f32_e32 v51, v9, v4
	ds_read2_b32 v[8:9], v10 offset0:32 offset1:48
	s_waitcnt lgkmcnt(0)
	v_fmac_f32_e32 v54, v8, v1
	v_fmac_f32_e32 v53, v9, v1
	ds_read2_b32 v[0:1], v10 offset0:64 offset1:80
	v_fmac_f32_e32 v52, v8, v5
	v_fmac_f32_e32 v51, v9, v5
	s_waitcnt lgkmcnt(0)
	v_fmac_f32_e32 v54, v0, v2
	v_fmac_f32_e32 v53, v1, v2
	;; [unrolled: 1-line block ×4, first 2 shown]
	ds_read2_b32 v[0:1], v10 offset0:96 offset1:112
	s_waitcnt lgkmcnt(0)
	v_fmac_f32_e32 v54, v0, v3
	v_fmac_f32_e32 v53, v1, v3
	;; [unrolled: 1-line block ×4, first 2 shown]
	ds_read_b128 v[0:3], v45 offset:80
	ds_read2_b32 v[8:9], v10 offset0:128 offset1:144
	ds_read_b128 v[4:7], v45 offset:2128
	s_waitcnt lgkmcnt(1)
	v_fmac_f32_e32 v54, v8, v0
	v_fmac_f32_e32 v53, v9, v0
	s_waitcnt lgkmcnt(0)
	v_fmac_f32_e32 v52, v8, v4
	v_fmac_f32_e32 v51, v9, v4
	ds_read2_b32 v[8:9], v10 offset0:160 offset1:176
	s_waitcnt lgkmcnt(0)
	v_fmac_f32_e32 v54, v8, v1
	v_fmac_f32_e32 v53, v9, v1
	ds_read2_b32 v[0:1], v10 offset0:192 offset1:208
	v_fmac_f32_e32 v52, v8, v5
	v_fmac_f32_e32 v51, v9, v5
	s_waitcnt lgkmcnt(0)
	v_fmac_f32_e32 v54, v0, v2
	v_fmac_f32_e32 v53, v1, v2
	;; [unrolled: 1-line block ×4, first 2 shown]
	ds_read2_b32 v[0:1], v10 offset0:224 offset1:240
	v_add_u32_e32 v10, 0xc00, v47
	ds_read2_b32 v[8:9], v10 offset1:16
	s_waitcnt lgkmcnt(1)
	v_fmac_f32_e32 v54, v0, v3
	v_fmac_f32_e32 v53, v1, v3
	;; [unrolled: 1-line block ×4, first 2 shown]
	ds_read_b128 v[0:3], v45 offset:96
	ds_read_b128 v[4:7], v45 offset:2144
	s_waitcnt lgkmcnt(1)
	v_fmac_f32_e32 v54, v8, v0
	v_fmac_f32_e32 v53, v9, v0
	s_waitcnt lgkmcnt(0)
	v_fmac_f32_e32 v52, v8, v4
	v_fmac_f32_e32 v51, v9, v4
	ds_read2_b32 v[8:9], v10 offset0:32 offset1:48
	s_waitcnt lgkmcnt(0)
	v_fmac_f32_e32 v54, v8, v1
	v_fmac_f32_e32 v53, v9, v1
	ds_read2_b32 v[0:1], v10 offset0:64 offset1:80
	v_fmac_f32_e32 v52, v8, v5
	v_fmac_f32_e32 v51, v9, v5
	s_waitcnt lgkmcnt(0)
	v_fmac_f32_e32 v54, v0, v2
	v_fmac_f32_e32 v53, v1, v2
	;; [unrolled: 1-line block ×4, first 2 shown]
	ds_read2_b32 v[0:1], v10 offset0:96 offset1:112
	s_waitcnt lgkmcnt(0)
	v_fmac_f32_e32 v54, v0, v3
	v_fmac_f32_e32 v53, v1, v3
	;; [unrolled: 1-line block ×4, first 2 shown]
	ds_read_b128 v[0:3], v45 offset:112
	ds_read2_b32 v[8:9], v10 offset0:128 offset1:144
	ds_read_b128 v[4:7], v45 offset:2160
	s_waitcnt lgkmcnt(1)
	v_fmac_f32_e32 v54, v8, v0
	v_fmac_f32_e32 v53, v9, v0
	s_waitcnt lgkmcnt(0)
	v_fmac_f32_e32 v52, v8, v4
	v_fmac_f32_e32 v51, v9, v4
	ds_read2_b32 v[8:9], v10 offset0:160 offset1:176
	s_waitcnt lgkmcnt(0)
	v_fmac_f32_e32 v54, v8, v1
	v_fmac_f32_e32 v53, v9, v1
	ds_read2_b32 v[0:1], v10 offset0:192 offset1:208
	v_fmac_f32_e32 v52, v8, v5
	v_fmac_f32_e32 v51, v9, v5
	s_waitcnt lgkmcnt(0)
	v_fmac_f32_e32 v54, v0, v2
	v_fmac_f32_e32 v53, v1, v2
	;; [unrolled: 1-line block ×4, first 2 shown]
	ds_read2_b32 v[0:1], v10 offset0:224 offset1:240
	s_waitcnt lgkmcnt(0)
	s_barrier
	v_fmac_f32_e32 v54, v0, v3
	v_fmac_f32_e32 v52, v0, v7
	v_mov_b32_e32 v0, s31
	v_addc_co_u32_e32 v43, vcc, v43, v0, vcc
	v_add_co_u32_e32 v30, vcc, 0x80, v30
	v_addc_co_u32_e32 v31, vcc, 0, v31, vcc
	v_add_co_u32_e32 v32, vcc, 0x80, v32
	v_fmac_f32_e32 v53, v1, v3
	v_fmac_f32_e32 v51, v1, v7
	v_addc_co_u32_e32 v33, vcc, 0, v33, vcc
	s_cbranch_scc1 .LBB12_55
.LBB12_7:                               ;   Parent Loop BB12_4 Depth=1
                                        ; =>  This Inner Loop Header: Depth=2
	v_mov_b32_e32 v1, s27
	v_add_co_u32_e32 v0, vcc, s26, v18
	v_addc_co_u32_e32 v1, vcc, v19, v1, vcc
	v_add_co_u32_e32 v2, vcc, v30, v28
	v_addc_co_u32_e32 v3, vcc, v31, v29, vcc
	v_cmp_eq_u64_e32 vcc, s[26:27], v[24:25]
	s_and_b64 s[42:43], s[28:29], vcc
	v_cmp_lt_i64_e32 vcc, v[0:1], v[22:23]
	v_cmp_le_i64_e64 s[12:13], s[46:47], v[0:1]
	s_or_b64 s[14:15], s[8:9], vcc
	s_or_b64 s[14:15], s[12:13], s[14:15]
	s_or_b64 s[14:15], s[14:15], s[42:43]
	s_xor_b64 s[14:15], s[14:15], -1
	s_and_saveexec_b64 s[18:19], s[14:15]
	s_xor_b64 s[14:15], exec, s[18:19]
	s_cbranch_execz .LBB12_9
; %bb.8:                                ;   in Loop: Header=BB12_7 Depth=2
	global_load_dword v4, v[2:3], off
	s_waitcnt vmcnt(0)
	ds_write_b32 v46, v4
.LBB12_9:                               ;   in Loop: Header=BB12_7 Depth=2
	s_or_saveexec_b64 s[14:15], s[14:15]
	s_xor_b64 s[40:41], s[42:43], -1
	s_xor_b64 exec, exec, s[14:15]
	s_cbranch_execz .LBB12_15
; %bb.10:                               ;   in Loop: Header=BB12_7 Depth=2
	s_and_saveexec_b64 s[18:19], s[40:41]
	s_xor_b64 s[18:19], exec, s[18:19]
	s_cbranch_execz .LBB12_12
; %bb.11:                               ;   in Loop: Header=BB12_7 Depth=2
	ds_write_b32 v46, v49
.LBB12_12:                              ;   in Loop: Header=BB12_7 Depth=2
	s_andn2_saveexec_b64 s[18:19], s[18:19]
	s_cbranch_execz .LBB12_14
; %bb.13:                               ;   in Loop: Header=BB12_7 Depth=2
	ds_write_b32 v46, v50
.LBB12_14:                              ;   in Loop: Header=BB12_7 Depth=2
	s_or_b64 exec, exec, s[18:19]
.LBB12_15:                              ;   in Loop: Header=BB12_7 Depth=2
	s_or_b64 exec, exec, s[14:15]
	v_add_co_u32_e64 v4, s[14:15], 16, v0
	v_addc_co_u32_e64 v5, s[14:15], 0, v1, s[14:15]
	v_cmp_eq_u64_e64 s[14:15], s[26:27], v[40:41]
	v_cmp_lt_i64_e64 s[18:19], v[4:5], v[22:23]
	s_and_b64 s[44:45], s[28:29], s[14:15]
	v_cmp_le_i64_e64 s[14:15], s[46:47], v[4:5]
	s_or_b64 s[18:19], s[8:9], s[18:19]
	s_or_b64 s[18:19], s[14:15], s[18:19]
	;; [unrolled: 1-line block ×3, first 2 shown]
	s_xor_b64 s[18:19], s[18:19], -1
	s_and_saveexec_b64 s[56:57], s[18:19]
	s_xor_b64 s[18:19], exec, s[56:57]
	s_cbranch_execz .LBB12_17
; %bb.16:                               ;   in Loop: Header=BB12_7 Depth=2
	global_load_dword v2, v[2:3], off offset:64
	s_waitcnt vmcnt(0)
	ds_write_b32 v46, v2 offset:64
.LBB12_17:                              ;   in Loop: Header=BB12_7 Depth=2
	s_andn2_saveexec_b64 s[18:19], s[18:19]
	s_cbranch_execz .LBB12_23
; %bb.18:                               ;   in Loop: Header=BB12_7 Depth=2
	s_xor_b64 s[44:45], s[44:45], -1
	s_and_saveexec_b64 s[56:57], s[44:45]
	s_xor_b64 s[44:45], exec, s[56:57]
	s_cbranch_execz .LBB12_20
; %bb.19:                               ;   in Loop: Header=BB12_7 Depth=2
	ds_write_b32 v46, v49 offset:64
.LBB12_20:                              ;   in Loop: Header=BB12_7 Depth=2
	s_andn2_saveexec_b64 s[44:45], s[44:45]
	s_cbranch_execz .LBB12_22
; %bb.21:                               ;   in Loop: Header=BB12_7 Depth=2
	ds_write_b32 v46, v50 offset:64
.LBB12_22:                              ;   in Loop: Header=BB12_7 Depth=2
	s_or_b64 exec, exec, s[44:45]
.LBB12_23:                              ;   in Loop: Header=BB12_7 Depth=2
	s_or_b64 exec, exec, s[18:19]
	v_cmp_eq_u64_e64 s[18:19], s[26:27], v[38:39]
	s_and_b64 s[44:45], s[28:29], s[18:19]
	v_cmp_lt_i64_e64 s[18:19], v[0:1], v[36:37]
	s_or_b64 s[18:19], s[10:11], s[18:19]
	s_or_b64 s[18:19], s[18:19], s[44:45]
	;; [unrolled: 1-line block ×3, first 2 shown]
	s_xor_b64 s[12:13], s[12:13], -1
	s_and_saveexec_b64 s[18:19], s[12:13]
	s_xor_b64 s[18:19], exec, s[18:19]
	s_cbranch_execz .LBB12_25
; %bb.24:                               ;   in Loop: Header=BB12_7 Depth=2
	v_add_co_u32_e64 v0, s[12:13], v32, v28
	v_addc_co_u32_e64 v1, s[12:13], v33, v29, s[12:13]
	global_load_dword v0, v[0:1], off
	s_waitcnt vmcnt(0)
	ds_write_b32 v46, v0 offset:2048
.LBB12_25:                              ;   in Loop: Header=BB12_7 Depth=2
	s_andn2_saveexec_b64 s[12:13], s[18:19]
	s_cbranch_execz .LBB12_31
; %bb.26:                               ;   in Loop: Header=BB12_7 Depth=2
	s_xor_b64 s[18:19], s[44:45], -1
	s_and_saveexec_b64 s[44:45], s[18:19]
	s_xor_b64 s[18:19], exec, s[44:45]
	s_cbranch_execz .LBB12_28
; %bb.27:                               ;   in Loop: Header=BB12_7 Depth=2
	ds_write_b32 v46, v49 offset:2048
.LBB12_28:                              ;   in Loop: Header=BB12_7 Depth=2
	s_andn2_saveexec_b64 s[18:19], s[18:19]
	s_cbranch_execz .LBB12_30
; %bb.29:                               ;   in Loop: Header=BB12_7 Depth=2
	ds_write_b32 v46, v50 offset:2048
.LBB12_30:                              ;   in Loop: Header=BB12_7 Depth=2
	s_or_b64 exec, exec, s[18:19]
.LBB12_31:                              ;   in Loop: Header=BB12_7 Depth=2
	s_or_b64 exec, exec, s[12:13]
	s_or_b64 s[12:13], s[10:11], vcc
	s_or_b64 s[12:13], s[14:15], s[12:13]
	s_or_b64 s[12:13], s[12:13], s[42:43]
	s_xor_b64 s[12:13], s[12:13], -1
	s_and_saveexec_b64 s[14:15], s[12:13]
	s_xor_b64 s[12:13], exec, s[14:15]
	s_cbranch_execz .LBB12_33
; %bb.32:                               ;   in Loop: Header=BB12_7 Depth=2
	v_add_co_u32_e32 v0, vcc, v32, v28
	v_addc_co_u32_e32 v1, vcc, v33, v29, vcc
	global_load_dword v0, v[0:1], off offset:64
	s_waitcnt vmcnt(0)
	ds_write_b32 v46, v0 offset:2112
.LBB12_33:                              ;   in Loop: Header=BB12_7 Depth=2
	s_andn2_saveexec_b64 s[12:13], s[12:13]
	s_cbranch_execz .LBB12_39
; %bb.34:                               ;   in Loop: Header=BB12_7 Depth=2
	s_and_saveexec_b64 s[14:15], s[40:41]
	s_xor_b64 s[14:15], exec, s[14:15]
	s_cbranch_execz .LBB12_36
; %bb.35:                               ;   in Loop: Header=BB12_7 Depth=2
	ds_write_b32 v46, v49 offset:2112
.LBB12_36:                              ;   in Loop: Header=BB12_7 Depth=2
	s_andn2_saveexec_b64 s[14:15], s[14:15]
	s_cbranch_execz .LBB12_38
; %bb.37:                               ;   in Loop: Header=BB12_7 Depth=2
	ds_write_b32 v46, v50 offset:2112
.LBB12_38:                              ;   in Loop: Header=BB12_7 Depth=2
	s_or_b64 exec, exec, s[14:15]
.LBB12_39:                              ;   in Loop: Header=BB12_7 Depth=2
	s_or_b64 exec, exec, s[12:13]
	v_mov_b32_e32 v1, s27
	v_add_co_u32_e32 v0, vcc, s26, v20
	v_addc_co_u32_e32 v1, vcc, v21, v1, vcc
	v_add_co_u32_e32 v2, vcc, v42, v26
	v_addc_co_u32_e32 v3, vcc, v43, v27, vcc
	v_cmp_le_i64_e32 vcc, s[46:47], v[0:1]
	s_or_b64 s[12:13], vcc, s[0:1]
	s_xor_b64 s[12:13], s[12:13], -1
	s_and_saveexec_b64 s[14:15], s[12:13]
	s_xor_b64 s[12:13], exec, s[14:15]
	s_cbranch_execz .LBB12_41
; %bb.40:                               ;   in Loop: Header=BB12_7 Depth=2
	global_load_dword v4, v[2:3], off offset:-64
	s_waitcnt vmcnt(0)
	ds_write_b32 v48, v4
.LBB12_41:                              ;   in Loop: Header=BB12_7 Depth=2
	s_andn2_saveexec_b64 s[12:13], s[12:13]
	s_cbranch_execz .LBB12_43
; %bb.42:                               ;   in Loop: Header=BB12_7 Depth=2
	ds_write_b32 v48, v49
.LBB12_43:                              ;   in Loop: Header=BB12_7 Depth=2
	s_or_b64 exec, exec, s[12:13]
	s_or_b64 s[12:13], vcc, s[2:3]
	s_xor_b64 s[12:13], s[12:13], -1
	s_and_saveexec_b64 s[14:15], s[12:13]
	s_xor_b64 s[12:13], exec, s[14:15]
	s_cbranch_execz .LBB12_45
; %bb.44:                               ;   in Loop: Header=BB12_7 Depth=2
	global_load_dword v2, v[2:3], off
	s_waitcnt vmcnt(0)
	ds_write_b32 v48, v2 offset:64
.LBB12_45:                              ;   in Loop: Header=BB12_7 Depth=2
	s_andn2_saveexec_b64 s[12:13], s[12:13]
	s_cbranch_execz .LBB12_47
; %bb.46:                               ;   in Loop: Header=BB12_7 Depth=2
	ds_write_b32 v48, v49 offset:64
.LBB12_47:                              ;   in Loop: Header=BB12_7 Depth=2
	s_or_b64 exec, exec, s[12:13]
	v_cmp_le_i64_e32 vcc, s[34:35], v[0:1]
	s_or_b64 s[12:13], vcc, s[0:1]
	s_xor_b64 s[12:13], s[12:13], -1
	s_and_saveexec_b64 s[14:15], s[12:13]
	s_xor_b64 s[14:15], exec, s[14:15]
	s_cbranch_execz .LBB12_49
; %bb.48:                               ;   in Loop: Header=BB12_7 Depth=2
	v_add_co_u32_e64 v0, s[12:13], v42, v34
	v_addc_co_u32_e64 v1, s[12:13], v43, v35, s[12:13]
	global_load_dword v0, v[0:1], off offset:-64
	s_waitcnt vmcnt(0)
	ds_write_b32 v48, v0 offset:2048
.LBB12_49:                              ;   in Loop: Header=BB12_7 Depth=2
	s_andn2_saveexec_b64 s[12:13], s[14:15]
	s_cbranch_execz .LBB12_51
; %bb.50:                               ;   in Loop: Header=BB12_7 Depth=2
	ds_write_b32 v48, v49 offset:2048
.LBB12_51:                              ;   in Loop: Header=BB12_7 Depth=2
	s_or_b64 exec, exec, s[12:13]
	s_or_b64 s[12:13], vcc, s[2:3]
	s_xor_b64 s[12:13], s[12:13], -1
	s_and_saveexec_b64 s[14:15], s[12:13]
	s_xor_b64 s[12:13], exec, s[14:15]
	s_cbranch_execz .LBB12_53
; %bb.52:                               ;   in Loop: Header=BB12_7 Depth=2
	v_add_co_u32_e32 v0, vcc, v42, v34
	v_addc_co_u32_e32 v1, vcc, v43, v35, vcc
	global_load_dword v0, v[0:1], off
	s_waitcnt vmcnt(0)
	ds_write_b32 v48, v0 offset:2112
.LBB12_53:                              ;   in Loop: Header=BB12_7 Depth=2
	s_andn2_saveexec_b64 s[12:13], s[12:13]
	s_cbranch_execz .LBB12_6
; %bb.54:                               ;   in Loop: Header=BB12_7 Depth=2
	ds_write_b32 v48, v49 offset:2112
	s_branch .LBB12_6
.LBB12_55:                              ;   in Loop: Header=BB12_4 Depth=1
	v_mul_lo_u32 v2, v23, s48
	v_mul_lo_u32 v3, v22, s49
	v_mad_u64_u32 v[0:1], s[8:9], v22, s48, 0
	v_add3_u32 v1, v1, v3, v2
	v_lshlrev_b64 v[0:1], 2, v[0:1]
	v_mov_b32_e32 v2, s51
	v_add_co_u32_e64 v0, s[8:9], s50, v0
	v_cmp_gt_i32_e32 vcc, s46, v22
	v_addc_co_u32_e64 v1, s[8:9], v2, v1, s[8:9]
	s_and_b64 s[8:9], s[4:5], vcc
	s_and_saveexec_b64 s[10:11], s[8:9]
	s_cbranch_execz .LBB12_57
; %bb.56:                               ;   in Loop: Header=BB12_4 Depth=1
	v_add_co_u32_e64 v2, s[8:9], v0, v12
	v_addc_co_u32_e64 v3, s[8:9], v1, v13, s[8:9]
	global_load_dword v4, v[2:3], off
	s_waitcnt vmcnt(0)
	v_fmac_f32_e32 v4, s33, v54
	global_store_dword v[2:3], v4, off
.LBB12_57:                              ;   in Loop: Header=BB12_4 Depth=1
	s_or_b64 exec, exec, s[10:11]
	s_and_b64 s[10:11], s[16:17], vcc
	s_and_saveexec_b64 s[8:9], s[10:11]
	s_cbranch_execz .LBB12_59
; %bb.58:                               ;   in Loop: Header=BB12_4 Depth=1
	v_lshlrev_b64 v[2:3], 2, v[16:17]
	v_add_co_u32_e32 v0, vcc, v0, v2
	v_addc_co_u32_e32 v1, vcc, v1, v3, vcc
	global_load_dword v2, v[0:1], off
	s_waitcnt vmcnt(0)
	v_fmac_f32_e32 v2, s33, v53
	global_store_dword v[0:1], v2, off
.LBB12_59:                              ;   in Loop: Header=BB12_4 Depth=1
	s_or_b64 exec, exec, s[8:9]
	v_add_u32_e32 v0, 16, v22
	v_ashrrev_i32_e32 v1, 31, v0
	v_cmp_gt_i32_e32 vcc, s46, v0
	v_mul_lo_u32 v2, v1, s48
	v_mul_lo_u32 v3, v0, s49
	v_mad_u64_u32 v[0:1], s[8:9], v0, s48, 0
	v_add3_u32 v1, v1, v3, v2
	v_lshlrev_b64 v[0:1], 2, v[0:1]
	v_mov_b32_e32 v2, s51
	v_add_co_u32_e64 v0, s[8:9], s50, v0
	v_addc_co_u32_e64 v1, s[8:9], v2, v1, s[8:9]
	s_and_b64 s[8:9], s[4:5], vcc
	s_and_saveexec_b64 s[10:11], s[8:9]
	s_cbranch_execz .LBB12_61
; %bb.60:                               ;   in Loop: Header=BB12_4 Depth=1
	v_add_co_u32_e64 v2, s[8:9], v0, v12
	v_addc_co_u32_e64 v3, s[8:9], v1, v13, s[8:9]
	global_load_dword v4, v[2:3], off
	s_waitcnt vmcnt(0)
	v_fmac_f32_e32 v4, s33, v52
	global_store_dword v[2:3], v4, off
.LBB12_61:                              ;   in Loop: Header=BB12_4 Depth=1
	s_or_b64 exec, exec, s[10:11]
	s_and_b64 s[10:11], s[16:17], vcc
	s_and_saveexec_b64 s[8:9], s[10:11]
	s_cbranch_execz .LBB12_3
; %bb.62:                               ;   in Loop: Header=BB12_4 Depth=1
	v_lshlrev_b64 v[2:3], 2, v[16:17]
	v_add_co_u32_e32 v0, vcc, v0, v2
	v_addc_co_u32_e32 v1, vcc, v1, v3, vcc
	global_load_dword v2, v[0:1], off
	s_waitcnt vmcnt(0)
	v_fmac_f32_e32 v2, s33, v51
	global_store_dword v[0:1], v2, off
	s_branch .LBB12_3
.LBB12_63:
	s_endpgm
	.section	.rodata,"a",@progbits
	.p2align	6, 0x0
	.amdhsa_kernel _ZL30rocblas_trmm_outofplace_kernelIfLi32ELi2ELb0ELb0ELb0ELb0EPKfS0_fEv17rocblas_diagonal_iiT6_lPT7_lllS5_lllPT8_llli
		.amdhsa_group_segment_fixed_size 8192
		.amdhsa_private_segment_fixed_size 0
		.amdhsa_kernarg_size 392
		.amdhsa_user_sgpr_count 6
		.amdhsa_user_sgpr_private_segment_buffer 1
		.amdhsa_user_sgpr_dispatch_ptr 0
		.amdhsa_user_sgpr_queue_ptr 0
		.amdhsa_user_sgpr_kernarg_segment_ptr 1
		.amdhsa_user_sgpr_dispatch_id 0
		.amdhsa_user_sgpr_flat_scratch_init 0
		.amdhsa_user_sgpr_kernarg_preload_length 0
		.amdhsa_user_sgpr_kernarg_preload_offset 0
		.amdhsa_user_sgpr_private_segment_size 0
		.amdhsa_uses_dynamic_stack 0
		.amdhsa_system_sgpr_private_segment_wavefront_offset 0
		.amdhsa_system_sgpr_workgroup_id_x 1
		.amdhsa_system_sgpr_workgroup_id_y 1
		.amdhsa_system_sgpr_workgroup_id_z 1
		.amdhsa_system_sgpr_workgroup_info 0
		.amdhsa_system_vgpr_workitem_id 1
		.amdhsa_next_free_vgpr 66
		.amdhsa_next_free_sgpr 58
		.amdhsa_accum_offset 68
		.amdhsa_reserve_vcc 1
		.amdhsa_reserve_flat_scratch 0
		.amdhsa_float_round_mode_32 0
		.amdhsa_float_round_mode_16_64 0
		.amdhsa_float_denorm_mode_32 3
		.amdhsa_float_denorm_mode_16_64 3
		.amdhsa_dx10_clamp 1
		.amdhsa_ieee_mode 1
		.amdhsa_fp16_overflow 0
		.amdhsa_tg_split 0
		.amdhsa_exception_fp_ieee_invalid_op 0
		.amdhsa_exception_fp_denorm_src 0
		.amdhsa_exception_fp_ieee_div_zero 0
		.amdhsa_exception_fp_ieee_overflow 0
		.amdhsa_exception_fp_ieee_underflow 0
		.amdhsa_exception_fp_ieee_inexact 0
		.amdhsa_exception_int_div_zero 0
	.end_amdhsa_kernel
	.section	.text._ZL30rocblas_trmm_outofplace_kernelIfLi32ELi2ELb0ELb0ELb0ELb0EPKfS0_fEv17rocblas_diagonal_iiT6_lPT7_lllS5_lllPT8_llli,"axG",@progbits,_ZL30rocblas_trmm_outofplace_kernelIfLi32ELi2ELb0ELb0ELb0ELb0EPKfS0_fEv17rocblas_diagonal_iiT6_lPT7_lllS5_lllPT8_llli,comdat
.Lfunc_end12:
	.size	_ZL30rocblas_trmm_outofplace_kernelIfLi32ELi2ELb0ELb0ELb0ELb0EPKfS0_fEv17rocblas_diagonal_iiT6_lPT7_lllS5_lllPT8_llli, .Lfunc_end12-_ZL30rocblas_trmm_outofplace_kernelIfLi32ELi2ELb0ELb0ELb0ELb0EPKfS0_fEv17rocblas_diagonal_iiT6_lPT7_lllS5_lllPT8_llli
                                        ; -- End function
	.section	.AMDGPU.csdata,"",@progbits
; Kernel info:
; codeLenInByte = 3092
; NumSgprs: 62
; NumVgprs: 66
; NumAgprs: 0
; TotalNumVgprs: 66
; ScratchSize: 0
; MemoryBound: 0
; FloatMode: 240
; IeeeMode: 1
; LDSByteSize: 8192 bytes/workgroup (compile time only)
; SGPRBlocks: 7
; VGPRBlocks: 8
; NumSGPRsForWavesPerEU: 62
; NumVGPRsForWavesPerEU: 66
; AccumOffset: 68
; Occupancy: 7
; WaveLimiterHint : 0
; COMPUTE_PGM_RSRC2:SCRATCH_EN: 0
; COMPUTE_PGM_RSRC2:USER_SGPR: 6
; COMPUTE_PGM_RSRC2:TRAP_HANDLER: 0
; COMPUTE_PGM_RSRC2:TGID_X_EN: 1
; COMPUTE_PGM_RSRC2:TGID_Y_EN: 1
; COMPUTE_PGM_RSRC2:TGID_Z_EN: 1
; COMPUTE_PGM_RSRC2:TIDIG_COMP_CNT: 1
; COMPUTE_PGM_RSRC3_GFX90A:ACCUM_OFFSET: 16
; COMPUTE_PGM_RSRC3_GFX90A:TG_SPLIT: 0
	.section	.text._ZL30rocblas_trmm_outofplace_kernelIfLi32ELi2ELb0ELb0ELb0ELb0EfKffEv17rocblas_diagonal_iiT6_lPT7_lllS4_lllPT8_llli,"axG",@progbits,_ZL30rocblas_trmm_outofplace_kernelIfLi32ELi2ELb0ELb0ELb0ELb0EfKffEv17rocblas_diagonal_iiT6_lPT7_lllS4_lllPT8_llli,comdat
	.globl	_ZL30rocblas_trmm_outofplace_kernelIfLi32ELi2ELb0ELb0ELb0ELb0EfKffEv17rocblas_diagonal_iiT6_lPT7_lllS4_lllPT8_llli ; -- Begin function _ZL30rocblas_trmm_outofplace_kernelIfLi32ELi2ELb0ELb0ELb0ELb0EfKffEv17rocblas_diagonal_iiT6_lPT7_lllS4_lllPT8_llli
	.p2align	8
	.type	_ZL30rocblas_trmm_outofplace_kernelIfLi32ELi2ELb0ELb0ELb0ELb0EfKffEv17rocblas_diagonal_iiT6_lPT7_lllS4_lllPT8_llli,@function
_ZL30rocblas_trmm_outofplace_kernelIfLi32ELi2ELb0ELb0ELb0ELb0EfKffEv17rocblas_diagonal_iiT6_lPT7_lllS4_lllPT8_llli: ; @_ZL30rocblas_trmm_outofplace_kernelIfLi32ELi2ELb0ELb0ELb0ELb0EfKffEv17rocblas_diagonal_iiT6_lPT7_lllS4_lllPT8_llli
; %bb.0:
	s_load_dwordx4 s[24:27], s[4:5], 0x0
	s_waitcnt lgkmcnt(0)
	v_cmp_eq_f32_e64 s[0:1], s27, 0
	s_and_b64 vcc, exec, s[0:1]
	s_cbranch_vccnz .LBB13_63
; %bb.1:
	s_add_i32 s0, s26, -1
	s_ashr_i32 s1, s0, 31
	s_lshr_b32 s1, s1, 27
	s_add_i32 s0, s0, s1
	s_ashr_i32 s33, s0, 5
	s_cmp_gt_i32 s7, s33
	s_cbranch_scc1 .LBB13_63
; %bb.2:
	s_load_dwordx16 s[36:51], s[4:5], 0x18
	s_load_dwordx8 s[16:23], s[4:5], 0x58
	v_and_b32_e32 v4, 0x3ff, v0
	v_bfe_u32 v44, v0, 10, 10
	v_lshl_add_u32 v0, s6, 5, v4
	s_waitcnt lgkmcnt(0)
	s_mul_i32 s1, s8, s51
	s_mul_hi_u32 s2, s8, s50
	s_mul_i32 s0, s8, s50
	s_add_i32 s1, s2, s1
	s_lshl_b64 s[0:1], s[0:1], 2
	s_add_u32 s2, s44, s0
	s_addc_u32 s3, s45, s1
	s_lshl_b64 s[0:1], s[46:47], 2
	s_add_u32 s2, s2, s0
	s_addc_u32 s3, s3, s1
	s_mul_i32 s0, s8, s23
	s_mul_hi_u32 s1, s8, s22
	s_add_i32 s1, s1, s0
	s_mul_i32 s0, s8, s22
	s_lshl_b64 s[0:1], s[0:1], 2
	s_add_u32 s9, s16, s0
	s_addc_u32 s10, s17, s1
	s_lshl_b64 s[0:1], s[18:19], 2
	s_add_u32 s52, s9, s0
	s_addc_u32 s53, s10, s1
	s_cmpk_eq_i32 s24, 0x84
	s_cselect_b64 s[22:23], -1, 0
	s_ashr_i32 s29, s26, 31
	s_ashr_i32 s0, s25, 31
	s_lshl_b64 s[30:31], s[48:49], 7
	s_load_dword s6, s[4:5], 0x84
	v_ashrrev_i32_e32 v1, 31, v0
	s_add_u32 s34, s26, -16
	v_lshlrev_b64 v[12:13], 2, v[0:1]
	s_addc_u32 s35, s29, -1
	s_lshl_b32 s9, s7, 5
	v_mov_b32_e32 v2, s3
	v_add_co_u32_e32 v14, vcc, s2, v12
	v_add_u32_e32 v18, s9, v4
	v_add_u32_e32 v20, s9, v44
	s_mul_i32 s9, s43, s8
	s_mul_hi_u32 s10, s42, s8
	v_addc_co_u32_e32 v15, vcc, v2, v13, vcc
	v_add_u32_e32 v16, 16, v0
	s_add_i32 s9, s10, s9
	s_mul_i32 s8, s42, s8
	v_sub_co_u32_e32 v2, vcc, s25, v0
	v_cmp_gt_i32_e64 s[4:5], s25, v0
	v_cmp_gt_i32_e64 s[16:17], s25, v16
	s_waitcnt lgkmcnt(0)
	s_lshl_b32 s54, s6, 5
	s_lshl_b64 s[24:25], s[48:49], 2
	s_lshl_b64 s[8:9], s[8:9], 2
	;; [unrolled: 1-line block ×3, first 2 shown]
	v_mov_b32_e32 v3, s0
	s_add_u32 s8, s8, s10
	v_subb_co_u32_e32 v3, vcc, v3, v1, vcc
	v_lshlrev_b32_e32 v1, 2, v4
	s_addc_u32 s9, s9, s11
	v_lshlrev_b32_e32 v45, 7, v44
	v_or_b32_e32 v47, 0x1000, v1
	s_add_u32 s36, s36, s8
	s_mov_b32 s28, s26
	v_add_u32_e32 v46, v45, v1
	v_cmp_gt_i64_e64 s[0:1], 1, v[2:3]
	v_add_u32_e32 v48, v47, v45
	v_cmp_gt_i64_e64 s[2:3], 17, v[2:3]
	v_ashrrev_i32_e32 v17, 31, v16
	s_addc_u32 s37, s37, s9
	s_lshl_b64 s[38:39], s[40:41], 2
	v_mov_b32_e32 v49, 0
	v_mov_b32_e32 v50, 1.0
	s_branch .LBB13_4
.LBB13_3:                               ;   in Loop: Header=BB13_4 Depth=1
	s_or_b64 exec, exec, s[8:9]
	s_add_i32 s7, s6, s7
	v_add_u32_e32 v18, s54, v18
	s_cmp_le_i32 s7, s33
	v_add_u32_e32 v20, s54, v20
	s_cbranch_scc0 .LBB13_63
.LBB13_4:                               ; =>This Loop Header: Depth=1
                                        ;     Child Loop BB13_7 Depth 2
	s_lshl_b32 s8, s7, 5
	v_add_u32_e32 v22, s8, v44
	s_sub_i32 s55, s26, s8
	v_ashrrev_i32_e32 v19, 31, v18
	v_ashrrev_i32_e32 v21, 31, v20
	;; [unrolled: 1-line block ×3, first 2 shown]
	s_cmp_lt_i32 s55, 1
	v_mov_b32_e32 v54, 0
	v_mov_b32_e32 v53, 0
	;; [unrolled: 1-line block ×4, first 2 shown]
	s_cbranch_scc1 .LBB13_55
; %bb.5:                                ;   in Loop: Header=BB13_4 Depth=1
	v_mad_u64_u32 v[26:27], s[8:9], s24, v20, 64
	v_mul_lo_u32 v0, s24, v21
	v_mul_lo_u32 v1, s25, v20
	v_add3_u32 v27, v1, v27, v0
	v_pk_mov_b32 v[0:1], s[36:37], s[36:37] op_sel:[0,1]
	v_sub_co_u32_e32 v24, vcc, v20, v18
	v_mad_u64_u32 v[30:31], s[8:9], s38, v20, v[0:1]
	v_mul_lo_u32 v2, s38, v21
	v_mul_lo_u32 v3, s39, v20
	v_subb_co_u32_e32 v25, vcc, v21, v19, vcc
	v_add3_u32 v31, v3, v31, v2
	v_lshlrev_b64 v[2:3], 2, v[20:21]
	v_add_co_u32_e32 v2, vcc, 64, v2
	v_addc_co_u32_e32 v3, vcc, 0, v3, vcc
	v_add_co_u32_e32 v36, vcc, 16, v22
	v_addc_co_u32_e32 v37, vcc, 0, v23, vcc
	v_add_co_u32_e32 v38, vcc, 16, v24
	v_addc_co_u32_e32 v39, vcc, 0, v25, vcc
	v_mul_lo_u32 v4, s40, v3
	v_mul_lo_u32 v5, s41, v2
	v_mad_u64_u32 v[32:33], s[8:9], s40, v2, v[0:1]
	v_mul_lo_u32 v0, s48, v3
	v_mul_lo_u32 v1, s49, v2
	v_mad_u64_u32 v[34:35], s[8:9], s48, v2, 64
	v_add_co_u32_e32 v40, vcc, -16, v24
	v_lshlrev_b64 v[28:29], 2, v[18:19]
	v_add3_u32 v33, v5, v33, v4
	v_add3_u32 v35, v1, v35, v0
	v_cmp_le_i32_e64 s[8:9], s26, v22
	v_cmp_le_i64_e64 s[10:11], s[28:29], v[36:37]
	v_addc_co_u32_e32 v41, vcc, -1, v25, vcc
	s_mov_b64 s[42:43], 0
	v_mov_b32_e32 v51, 0
	v_pk_mov_b32 v[42:43], v[14:15], v[14:15] op_sel:[0,1]
	v_mov_b32_e32 v52, 0
	v_mov_b32_e32 v53, 0
	;; [unrolled: 1-line block ×3, first 2 shown]
	s_branch .LBB13_7
.LBB13_6:                               ;   in Loop: Header=BB13_7 Depth=2
	s_or_b64 exec, exec, s[12:13]
	s_waitcnt lgkmcnt(0)
	s_barrier
	ds_read_b128 v[56:59], v45
	ds_read_b128 v[8:11], v45 offset:16
	ds_read_b128 v[4:7], v45 offset:32
	;; [unrolled: 1-line block ×3, first 2 shown]
	ds_read2_b32 v[64:65], v47 offset1:16
	ds_read_b128 v[60:63], v45 offset:2048
	v_add_u32_e32 v55, 0x400, v47
	v_add_co_u32_e32 v42, vcc, s30, v42
	s_waitcnt lgkmcnt(1)
	v_fmac_f32_e32 v54, v64, v56
	v_fmac_f32_e32 v53, v65, v56
	s_waitcnt lgkmcnt(0)
	v_fmac_f32_e32 v52, v64, v60
	v_fmac_f32_e32 v51, v65, v60
	ds_read2_b32 v[64:65], v47 offset0:32 offset1:48
	s_add_u32 s42, s42, 32
	s_addc_u32 s43, s43, 0
	s_cmp_ge_i32 s42, s55
	s_waitcnt lgkmcnt(0)
	v_fmac_f32_e32 v54, v64, v57
	v_fmac_f32_e32 v53, v65, v57
	ds_read2_b32 v[56:57], v47 offset0:64 offset1:80
	v_fmac_f32_e32 v52, v64, v61
	v_fmac_f32_e32 v51, v65, v61
	ds_read2_b32 v[60:61], v47 offset0:128 offset1:144
	s_waitcnt lgkmcnt(1)
	v_fmac_f32_e32 v54, v56, v58
	v_fmac_f32_e32 v53, v57, v58
	;; [unrolled: 1-line block ×4, first 2 shown]
	ds_read2_b32 v[56:57], v47 offset0:96 offset1:112
	s_waitcnt lgkmcnt(0)
	v_fmac_f32_e32 v54, v56, v59
	v_fmac_f32_e32 v53, v57, v59
	;; [unrolled: 1-line block ×4, first 2 shown]
	ds_read_b128 v[56:59], v45 offset:2064
	v_fmac_f32_e32 v54, v60, v8
	v_fmac_f32_e32 v53, v61, v8
	s_waitcnt lgkmcnt(0)
	v_fmac_f32_e32 v52, v60, v56
	v_fmac_f32_e32 v51, v61, v56
	ds_read2_b32 v[60:61], v47 offset0:160 offset1:176
	s_waitcnt lgkmcnt(0)
	v_fmac_f32_e32 v54, v60, v9
	v_fmac_f32_e32 v53, v61, v9
	ds_read2_b32 v[8:9], v47 offset0:192 offset1:208
	v_fmac_f32_e32 v52, v60, v57
	v_fmac_f32_e32 v51, v61, v57
	ds_read2_b32 v[56:57], v55 offset1:16
	s_waitcnt lgkmcnt(1)
	v_fmac_f32_e32 v54, v8, v10
	v_fmac_f32_e32 v53, v9, v10
	;; [unrolled: 1-line block ×4, first 2 shown]
	ds_read2_b32 v[8:9], v47 offset0:224 offset1:240
	s_waitcnt lgkmcnt(0)
	v_fmac_f32_e32 v54, v8, v11
	v_fmac_f32_e32 v53, v9, v11
	;; [unrolled: 1-line block ×4, first 2 shown]
	ds_read_b128 v[8:11], v45 offset:2080
	v_fmac_f32_e32 v54, v56, v4
	v_fmac_f32_e32 v53, v57, v4
	s_waitcnt lgkmcnt(0)
	v_fmac_f32_e32 v52, v56, v8
	v_fmac_f32_e32 v51, v57, v8
	ds_read2_b32 v[56:57], v55 offset0:32 offset1:48
	s_waitcnt lgkmcnt(0)
	v_fmac_f32_e32 v54, v56, v5
	v_fmac_f32_e32 v53, v57, v5
	ds_read2_b32 v[4:5], v55 offset0:64 offset1:80
	v_fmac_f32_e32 v52, v56, v9
	v_fmac_f32_e32 v51, v57, v9
	ds_read2_b32 v[8:9], v55 offset0:128 offset1:144
	s_waitcnt lgkmcnt(1)
	v_fmac_f32_e32 v54, v4, v6
	v_fmac_f32_e32 v53, v5, v6
	;; [unrolled: 1-line block ×4, first 2 shown]
	ds_read2_b32 v[4:5], v55 offset0:96 offset1:112
	v_add_u32_e32 v10, 0x800, v47
	s_waitcnt lgkmcnt(0)
	v_fmac_f32_e32 v54, v4, v7
	v_fmac_f32_e32 v53, v5, v7
	;; [unrolled: 1-line block ×4, first 2 shown]
	ds_read_b128 v[4:7], v45 offset:2096
	v_fmac_f32_e32 v54, v8, v0
	v_fmac_f32_e32 v53, v9, v0
	s_waitcnt lgkmcnt(0)
	v_fmac_f32_e32 v52, v8, v4
	v_fmac_f32_e32 v51, v9, v4
	ds_read2_b32 v[8:9], v55 offset0:160 offset1:176
	s_waitcnt lgkmcnt(0)
	v_fmac_f32_e32 v54, v8, v1
	v_fmac_f32_e32 v53, v9, v1
	ds_read2_b32 v[0:1], v55 offset0:192 offset1:208
	v_fmac_f32_e32 v52, v8, v5
	v_fmac_f32_e32 v51, v9, v5
	ds_read2_b32 v[8:9], v10 offset1:16
	s_waitcnt lgkmcnt(1)
	v_fmac_f32_e32 v54, v0, v2
	v_fmac_f32_e32 v53, v1, v2
	;; [unrolled: 1-line block ×4, first 2 shown]
	ds_read2_b32 v[0:1], v55 offset0:224 offset1:240
	s_waitcnt lgkmcnt(0)
	v_fmac_f32_e32 v54, v0, v3
	v_fmac_f32_e32 v53, v1, v3
	;; [unrolled: 1-line block ×4, first 2 shown]
	ds_read_b128 v[0:3], v45 offset:64
	ds_read_b128 v[4:7], v45 offset:2112
	s_waitcnt lgkmcnt(1)
	v_fmac_f32_e32 v54, v8, v0
	v_fmac_f32_e32 v53, v9, v0
	s_waitcnt lgkmcnt(0)
	v_fmac_f32_e32 v52, v8, v4
	v_fmac_f32_e32 v51, v9, v4
	ds_read2_b32 v[8:9], v10 offset0:32 offset1:48
	s_waitcnt lgkmcnt(0)
	v_fmac_f32_e32 v54, v8, v1
	v_fmac_f32_e32 v53, v9, v1
	ds_read2_b32 v[0:1], v10 offset0:64 offset1:80
	v_fmac_f32_e32 v52, v8, v5
	v_fmac_f32_e32 v51, v9, v5
	s_waitcnt lgkmcnt(0)
	v_fmac_f32_e32 v54, v0, v2
	v_fmac_f32_e32 v53, v1, v2
	;; [unrolled: 1-line block ×4, first 2 shown]
	ds_read2_b32 v[0:1], v10 offset0:96 offset1:112
	s_waitcnt lgkmcnt(0)
	v_fmac_f32_e32 v54, v0, v3
	v_fmac_f32_e32 v53, v1, v3
	;; [unrolled: 1-line block ×4, first 2 shown]
	ds_read_b128 v[0:3], v45 offset:80
	ds_read2_b32 v[8:9], v10 offset0:128 offset1:144
	ds_read_b128 v[4:7], v45 offset:2128
	s_waitcnt lgkmcnt(1)
	v_fmac_f32_e32 v54, v8, v0
	v_fmac_f32_e32 v53, v9, v0
	s_waitcnt lgkmcnt(0)
	v_fmac_f32_e32 v52, v8, v4
	v_fmac_f32_e32 v51, v9, v4
	ds_read2_b32 v[8:9], v10 offset0:160 offset1:176
	s_waitcnt lgkmcnt(0)
	v_fmac_f32_e32 v54, v8, v1
	v_fmac_f32_e32 v53, v9, v1
	ds_read2_b32 v[0:1], v10 offset0:192 offset1:208
	v_fmac_f32_e32 v52, v8, v5
	v_fmac_f32_e32 v51, v9, v5
	s_waitcnt lgkmcnt(0)
	v_fmac_f32_e32 v54, v0, v2
	v_fmac_f32_e32 v53, v1, v2
	;; [unrolled: 1-line block ×4, first 2 shown]
	ds_read2_b32 v[0:1], v10 offset0:224 offset1:240
	v_add_u32_e32 v10, 0xc00, v47
	ds_read2_b32 v[8:9], v10 offset1:16
	s_waitcnt lgkmcnt(1)
	v_fmac_f32_e32 v54, v0, v3
	v_fmac_f32_e32 v53, v1, v3
	v_fmac_f32_e32 v52, v0, v7
	v_fmac_f32_e32 v51, v1, v7
	ds_read_b128 v[0:3], v45 offset:96
	ds_read_b128 v[4:7], v45 offset:2144
	s_waitcnt lgkmcnt(1)
	v_fmac_f32_e32 v54, v8, v0
	v_fmac_f32_e32 v53, v9, v0
	s_waitcnt lgkmcnt(0)
	v_fmac_f32_e32 v52, v8, v4
	v_fmac_f32_e32 v51, v9, v4
	ds_read2_b32 v[8:9], v10 offset0:32 offset1:48
	s_waitcnt lgkmcnt(0)
	v_fmac_f32_e32 v54, v8, v1
	v_fmac_f32_e32 v53, v9, v1
	ds_read2_b32 v[0:1], v10 offset0:64 offset1:80
	v_fmac_f32_e32 v52, v8, v5
	v_fmac_f32_e32 v51, v9, v5
	s_waitcnt lgkmcnt(0)
	v_fmac_f32_e32 v54, v0, v2
	v_fmac_f32_e32 v53, v1, v2
	;; [unrolled: 1-line block ×4, first 2 shown]
	ds_read2_b32 v[0:1], v10 offset0:96 offset1:112
	s_waitcnt lgkmcnt(0)
	v_fmac_f32_e32 v54, v0, v3
	v_fmac_f32_e32 v53, v1, v3
	v_fmac_f32_e32 v52, v0, v7
	v_fmac_f32_e32 v51, v1, v7
	ds_read_b128 v[0:3], v45 offset:112
	ds_read2_b32 v[8:9], v10 offset0:128 offset1:144
	ds_read_b128 v[4:7], v45 offset:2160
	s_waitcnt lgkmcnt(1)
	v_fmac_f32_e32 v54, v8, v0
	v_fmac_f32_e32 v53, v9, v0
	s_waitcnt lgkmcnt(0)
	v_fmac_f32_e32 v52, v8, v4
	v_fmac_f32_e32 v51, v9, v4
	ds_read2_b32 v[8:9], v10 offset0:160 offset1:176
	s_waitcnt lgkmcnt(0)
	v_fmac_f32_e32 v54, v8, v1
	v_fmac_f32_e32 v53, v9, v1
	ds_read2_b32 v[0:1], v10 offset0:192 offset1:208
	v_fmac_f32_e32 v52, v8, v5
	v_fmac_f32_e32 v51, v9, v5
	s_waitcnt lgkmcnt(0)
	v_fmac_f32_e32 v54, v0, v2
	v_fmac_f32_e32 v53, v1, v2
	;; [unrolled: 1-line block ×4, first 2 shown]
	ds_read2_b32 v[0:1], v10 offset0:224 offset1:240
	s_waitcnt lgkmcnt(0)
	s_barrier
	v_fmac_f32_e32 v54, v0, v3
	v_fmac_f32_e32 v52, v0, v7
	v_mov_b32_e32 v0, s31
	v_addc_co_u32_e32 v43, vcc, v43, v0, vcc
	v_add_co_u32_e32 v30, vcc, 0x80, v30
	v_addc_co_u32_e32 v31, vcc, 0, v31, vcc
	v_add_co_u32_e32 v32, vcc, 0x80, v32
	v_fmac_f32_e32 v53, v1, v3
	v_fmac_f32_e32 v51, v1, v7
	v_addc_co_u32_e32 v33, vcc, 0, v33, vcc
	s_cbranch_scc1 .LBB13_55
.LBB13_7:                               ;   Parent Loop BB13_4 Depth=1
                                        ; =>  This Inner Loop Header: Depth=2
	v_mov_b32_e32 v1, s43
	v_add_co_u32_e32 v0, vcc, s42, v18
	v_addc_co_u32_e32 v1, vcc, v19, v1, vcc
	v_add_co_u32_e32 v2, vcc, v30, v28
	v_addc_co_u32_e32 v3, vcc, v31, v29, vcc
	v_cmp_eq_u64_e32 vcc, s[42:43], v[24:25]
	s_and_b64 s[46:47], s[22:23], vcc
	v_cmp_lt_i64_e32 vcc, v[0:1], v[22:23]
	v_cmp_le_i64_e64 s[12:13], s[28:29], v[0:1]
	s_or_b64 s[14:15], s[8:9], vcc
	s_or_b64 s[14:15], s[12:13], s[14:15]
	s_or_b64 s[14:15], s[14:15], s[46:47]
	s_xor_b64 s[14:15], s[14:15], -1
	s_and_saveexec_b64 s[18:19], s[14:15]
	s_xor_b64 s[14:15], exec, s[18:19]
	s_cbranch_execz .LBB13_9
; %bb.8:                                ;   in Loop: Header=BB13_7 Depth=2
	global_load_dword v4, v[2:3], off
	s_waitcnt vmcnt(0)
	ds_write_b32 v46, v4
.LBB13_9:                               ;   in Loop: Header=BB13_7 Depth=2
	s_or_saveexec_b64 s[14:15], s[14:15]
	s_xor_b64 s[44:45], s[46:47], -1
	s_xor_b64 exec, exec, s[14:15]
	s_cbranch_execz .LBB13_15
; %bb.10:                               ;   in Loop: Header=BB13_7 Depth=2
	s_and_saveexec_b64 s[18:19], s[44:45]
	s_xor_b64 s[18:19], exec, s[18:19]
	s_cbranch_execz .LBB13_12
; %bb.11:                               ;   in Loop: Header=BB13_7 Depth=2
	ds_write_b32 v46, v49
.LBB13_12:                              ;   in Loop: Header=BB13_7 Depth=2
	s_andn2_saveexec_b64 s[18:19], s[18:19]
	s_cbranch_execz .LBB13_14
; %bb.13:                               ;   in Loop: Header=BB13_7 Depth=2
	ds_write_b32 v46, v50
.LBB13_14:                              ;   in Loop: Header=BB13_7 Depth=2
	s_or_b64 exec, exec, s[18:19]
.LBB13_15:                              ;   in Loop: Header=BB13_7 Depth=2
	s_or_b64 exec, exec, s[14:15]
	v_add_co_u32_e64 v4, s[14:15], 16, v0
	v_addc_co_u32_e64 v5, s[14:15], 0, v1, s[14:15]
	v_cmp_eq_u64_e64 s[14:15], s[42:43], v[40:41]
	v_cmp_lt_i64_e64 s[18:19], v[4:5], v[22:23]
	s_and_b64 s[50:51], s[22:23], s[14:15]
	v_cmp_le_i64_e64 s[14:15], s[28:29], v[4:5]
	s_or_b64 s[18:19], s[8:9], s[18:19]
	s_or_b64 s[18:19], s[14:15], s[18:19]
	;; [unrolled: 1-line block ×3, first 2 shown]
	s_xor_b64 s[18:19], s[18:19], -1
	s_and_saveexec_b64 s[56:57], s[18:19]
	s_xor_b64 s[18:19], exec, s[56:57]
	s_cbranch_execz .LBB13_17
; %bb.16:                               ;   in Loop: Header=BB13_7 Depth=2
	global_load_dword v2, v[2:3], off offset:64
	s_waitcnt vmcnt(0)
	ds_write_b32 v46, v2 offset:64
.LBB13_17:                              ;   in Loop: Header=BB13_7 Depth=2
	s_andn2_saveexec_b64 s[18:19], s[18:19]
	s_cbranch_execz .LBB13_23
; %bb.18:                               ;   in Loop: Header=BB13_7 Depth=2
	s_xor_b64 s[50:51], s[50:51], -1
	s_and_saveexec_b64 s[56:57], s[50:51]
	s_xor_b64 s[50:51], exec, s[56:57]
	s_cbranch_execz .LBB13_20
; %bb.19:                               ;   in Loop: Header=BB13_7 Depth=2
	ds_write_b32 v46, v49 offset:64
.LBB13_20:                              ;   in Loop: Header=BB13_7 Depth=2
	s_andn2_saveexec_b64 s[50:51], s[50:51]
	s_cbranch_execz .LBB13_22
; %bb.21:                               ;   in Loop: Header=BB13_7 Depth=2
	ds_write_b32 v46, v50 offset:64
.LBB13_22:                              ;   in Loop: Header=BB13_7 Depth=2
	s_or_b64 exec, exec, s[50:51]
.LBB13_23:                              ;   in Loop: Header=BB13_7 Depth=2
	s_or_b64 exec, exec, s[18:19]
	v_cmp_eq_u64_e64 s[18:19], s[42:43], v[38:39]
	s_and_b64 s[50:51], s[22:23], s[18:19]
	v_cmp_lt_i64_e64 s[18:19], v[0:1], v[36:37]
	s_or_b64 s[18:19], s[10:11], s[18:19]
	s_or_b64 s[18:19], s[18:19], s[50:51]
	;; [unrolled: 1-line block ×3, first 2 shown]
	s_xor_b64 s[12:13], s[12:13], -1
	s_and_saveexec_b64 s[18:19], s[12:13]
	s_xor_b64 s[18:19], exec, s[18:19]
	s_cbranch_execz .LBB13_25
; %bb.24:                               ;   in Loop: Header=BB13_7 Depth=2
	v_add_co_u32_e64 v0, s[12:13], v32, v28
	v_addc_co_u32_e64 v1, s[12:13], v33, v29, s[12:13]
	global_load_dword v0, v[0:1], off
	s_waitcnt vmcnt(0)
	ds_write_b32 v46, v0 offset:2048
.LBB13_25:                              ;   in Loop: Header=BB13_7 Depth=2
	s_andn2_saveexec_b64 s[12:13], s[18:19]
	s_cbranch_execz .LBB13_31
; %bb.26:                               ;   in Loop: Header=BB13_7 Depth=2
	s_xor_b64 s[18:19], s[50:51], -1
	s_and_saveexec_b64 s[50:51], s[18:19]
	s_xor_b64 s[18:19], exec, s[50:51]
	s_cbranch_execz .LBB13_28
; %bb.27:                               ;   in Loop: Header=BB13_7 Depth=2
	ds_write_b32 v46, v49 offset:2048
.LBB13_28:                              ;   in Loop: Header=BB13_7 Depth=2
	s_andn2_saveexec_b64 s[18:19], s[18:19]
	s_cbranch_execz .LBB13_30
; %bb.29:                               ;   in Loop: Header=BB13_7 Depth=2
	ds_write_b32 v46, v50 offset:2048
.LBB13_30:                              ;   in Loop: Header=BB13_7 Depth=2
	s_or_b64 exec, exec, s[18:19]
.LBB13_31:                              ;   in Loop: Header=BB13_7 Depth=2
	s_or_b64 exec, exec, s[12:13]
	s_or_b64 s[12:13], s[10:11], vcc
	s_or_b64 s[12:13], s[14:15], s[12:13]
	s_or_b64 s[12:13], s[12:13], s[46:47]
	s_xor_b64 s[12:13], s[12:13], -1
	s_and_saveexec_b64 s[14:15], s[12:13]
	s_xor_b64 s[12:13], exec, s[14:15]
	s_cbranch_execz .LBB13_33
; %bb.32:                               ;   in Loop: Header=BB13_7 Depth=2
	v_add_co_u32_e32 v0, vcc, v32, v28
	v_addc_co_u32_e32 v1, vcc, v33, v29, vcc
	global_load_dword v0, v[0:1], off offset:64
	s_waitcnt vmcnt(0)
	ds_write_b32 v46, v0 offset:2112
.LBB13_33:                              ;   in Loop: Header=BB13_7 Depth=2
	s_andn2_saveexec_b64 s[12:13], s[12:13]
	s_cbranch_execz .LBB13_39
; %bb.34:                               ;   in Loop: Header=BB13_7 Depth=2
	s_and_saveexec_b64 s[14:15], s[44:45]
	s_xor_b64 s[14:15], exec, s[14:15]
	s_cbranch_execz .LBB13_36
; %bb.35:                               ;   in Loop: Header=BB13_7 Depth=2
	ds_write_b32 v46, v49 offset:2112
.LBB13_36:                              ;   in Loop: Header=BB13_7 Depth=2
	s_andn2_saveexec_b64 s[14:15], s[14:15]
	s_cbranch_execz .LBB13_38
; %bb.37:                               ;   in Loop: Header=BB13_7 Depth=2
	ds_write_b32 v46, v50 offset:2112
.LBB13_38:                              ;   in Loop: Header=BB13_7 Depth=2
	s_or_b64 exec, exec, s[14:15]
.LBB13_39:                              ;   in Loop: Header=BB13_7 Depth=2
	s_or_b64 exec, exec, s[12:13]
	v_mov_b32_e32 v1, s43
	v_add_co_u32_e32 v0, vcc, s42, v20
	v_addc_co_u32_e32 v1, vcc, v21, v1, vcc
	v_add_co_u32_e32 v2, vcc, v42, v26
	v_addc_co_u32_e32 v3, vcc, v43, v27, vcc
	v_cmp_le_i64_e32 vcc, s[28:29], v[0:1]
	s_or_b64 s[12:13], vcc, s[0:1]
	s_xor_b64 s[12:13], s[12:13], -1
	s_and_saveexec_b64 s[14:15], s[12:13]
	s_xor_b64 s[12:13], exec, s[14:15]
	s_cbranch_execz .LBB13_41
; %bb.40:                               ;   in Loop: Header=BB13_7 Depth=2
	global_load_dword v4, v[2:3], off offset:-64
	s_waitcnt vmcnt(0)
	ds_write_b32 v48, v4
.LBB13_41:                              ;   in Loop: Header=BB13_7 Depth=2
	s_andn2_saveexec_b64 s[12:13], s[12:13]
	s_cbranch_execz .LBB13_43
; %bb.42:                               ;   in Loop: Header=BB13_7 Depth=2
	ds_write_b32 v48, v49
.LBB13_43:                              ;   in Loop: Header=BB13_7 Depth=2
	s_or_b64 exec, exec, s[12:13]
	s_or_b64 s[12:13], vcc, s[2:3]
	s_xor_b64 s[12:13], s[12:13], -1
	s_and_saveexec_b64 s[14:15], s[12:13]
	s_xor_b64 s[12:13], exec, s[14:15]
	s_cbranch_execz .LBB13_45
; %bb.44:                               ;   in Loop: Header=BB13_7 Depth=2
	global_load_dword v2, v[2:3], off
	s_waitcnt vmcnt(0)
	ds_write_b32 v48, v2 offset:64
.LBB13_45:                              ;   in Loop: Header=BB13_7 Depth=2
	s_andn2_saveexec_b64 s[12:13], s[12:13]
	s_cbranch_execz .LBB13_47
; %bb.46:                               ;   in Loop: Header=BB13_7 Depth=2
	ds_write_b32 v48, v49 offset:64
.LBB13_47:                              ;   in Loop: Header=BB13_7 Depth=2
	s_or_b64 exec, exec, s[12:13]
	v_cmp_le_i64_e32 vcc, s[34:35], v[0:1]
	s_or_b64 s[12:13], vcc, s[0:1]
	s_xor_b64 s[12:13], s[12:13], -1
	s_and_saveexec_b64 s[14:15], s[12:13]
	s_xor_b64 s[14:15], exec, s[14:15]
	s_cbranch_execz .LBB13_49
; %bb.48:                               ;   in Loop: Header=BB13_7 Depth=2
	v_add_co_u32_e64 v0, s[12:13], v42, v34
	v_addc_co_u32_e64 v1, s[12:13], v43, v35, s[12:13]
	global_load_dword v0, v[0:1], off offset:-64
	s_waitcnt vmcnt(0)
	ds_write_b32 v48, v0 offset:2048
.LBB13_49:                              ;   in Loop: Header=BB13_7 Depth=2
	s_andn2_saveexec_b64 s[12:13], s[14:15]
	s_cbranch_execz .LBB13_51
; %bb.50:                               ;   in Loop: Header=BB13_7 Depth=2
	ds_write_b32 v48, v49 offset:2048
.LBB13_51:                              ;   in Loop: Header=BB13_7 Depth=2
	s_or_b64 exec, exec, s[12:13]
	s_or_b64 s[12:13], vcc, s[2:3]
	s_xor_b64 s[12:13], s[12:13], -1
	s_and_saveexec_b64 s[14:15], s[12:13]
	s_xor_b64 s[12:13], exec, s[14:15]
	s_cbranch_execz .LBB13_53
; %bb.52:                               ;   in Loop: Header=BB13_7 Depth=2
	v_add_co_u32_e32 v0, vcc, v42, v34
	v_addc_co_u32_e32 v1, vcc, v43, v35, vcc
	global_load_dword v0, v[0:1], off
	s_waitcnt vmcnt(0)
	ds_write_b32 v48, v0 offset:2112
.LBB13_53:                              ;   in Loop: Header=BB13_7 Depth=2
	s_andn2_saveexec_b64 s[12:13], s[12:13]
	s_cbranch_execz .LBB13_6
; %bb.54:                               ;   in Loop: Header=BB13_7 Depth=2
	ds_write_b32 v48, v49 offset:2112
	s_branch .LBB13_6
.LBB13_55:                              ;   in Loop: Header=BB13_4 Depth=1
	v_mul_lo_u32 v2, v23, s20
	v_mul_lo_u32 v3, v22, s21
	v_mad_u64_u32 v[0:1], s[8:9], v22, s20, 0
	v_add3_u32 v1, v1, v3, v2
	v_lshlrev_b64 v[0:1], 2, v[0:1]
	v_mov_b32_e32 v2, s53
	v_add_co_u32_e64 v0, s[8:9], s52, v0
	v_cmp_gt_i32_e32 vcc, s26, v22
	v_addc_co_u32_e64 v1, s[8:9], v2, v1, s[8:9]
	s_and_b64 s[8:9], s[4:5], vcc
	s_and_saveexec_b64 s[10:11], s[8:9]
	s_cbranch_execz .LBB13_57
; %bb.56:                               ;   in Loop: Header=BB13_4 Depth=1
	v_add_co_u32_e64 v2, s[8:9], v0, v12
	v_addc_co_u32_e64 v3, s[8:9], v1, v13, s[8:9]
	global_load_dword v4, v[2:3], off
	s_waitcnt vmcnt(0)
	v_fmac_f32_e32 v4, s27, v54
	global_store_dword v[2:3], v4, off
.LBB13_57:                              ;   in Loop: Header=BB13_4 Depth=1
	s_or_b64 exec, exec, s[10:11]
	s_and_b64 s[10:11], s[16:17], vcc
	s_and_saveexec_b64 s[8:9], s[10:11]
	s_cbranch_execz .LBB13_59
; %bb.58:                               ;   in Loop: Header=BB13_4 Depth=1
	v_lshlrev_b64 v[2:3], 2, v[16:17]
	v_add_co_u32_e32 v0, vcc, v0, v2
	v_addc_co_u32_e32 v1, vcc, v1, v3, vcc
	global_load_dword v2, v[0:1], off
	s_waitcnt vmcnt(0)
	v_fmac_f32_e32 v2, s27, v53
	global_store_dword v[0:1], v2, off
.LBB13_59:                              ;   in Loop: Header=BB13_4 Depth=1
	s_or_b64 exec, exec, s[8:9]
	v_add_u32_e32 v0, 16, v22
	v_ashrrev_i32_e32 v1, 31, v0
	v_cmp_gt_i32_e32 vcc, s26, v0
	v_mul_lo_u32 v2, v1, s20
	v_mul_lo_u32 v3, v0, s21
	v_mad_u64_u32 v[0:1], s[8:9], v0, s20, 0
	v_add3_u32 v1, v1, v3, v2
	v_lshlrev_b64 v[0:1], 2, v[0:1]
	v_mov_b32_e32 v2, s53
	v_add_co_u32_e64 v0, s[8:9], s52, v0
	v_addc_co_u32_e64 v1, s[8:9], v2, v1, s[8:9]
	s_and_b64 s[8:9], s[4:5], vcc
	s_and_saveexec_b64 s[10:11], s[8:9]
	s_cbranch_execz .LBB13_61
; %bb.60:                               ;   in Loop: Header=BB13_4 Depth=1
	v_add_co_u32_e64 v2, s[8:9], v0, v12
	v_addc_co_u32_e64 v3, s[8:9], v1, v13, s[8:9]
	global_load_dword v4, v[2:3], off
	s_waitcnt vmcnt(0)
	v_fmac_f32_e32 v4, s27, v52
	global_store_dword v[2:3], v4, off
.LBB13_61:                              ;   in Loop: Header=BB13_4 Depth=1
	s_or_b64 exec, exec, s[10:11]
	s_and_b64 s[10:11], s[16:17], vcc
	s_and_saveexec_b64 s[8:9], s[10:11]
	s_cbranch_execz .LBB13_3
; %bb.62:                               ;   in Loop: Header=BB13_4 Depth=1
	v_lshlrev_b64 v[2:3], 2, v[16:17]
	v_add_co_u32_e32 v0, vcc, v0, v2
	v_addc_co_u32_e32 v1, vcc, v1, v3, vcc
	global_load_dword v2, v[0:1], off
	s_waitcnt vmcnt(0)
	v_fmac_f32_e32 v2, s27, v51
	global_store_dword v[0:1], v2, off
	s_branch .LBB13_3
.LBB13_63:
	s_endpgm
	.section	.rodata,"a",@progbits
	.p2align	6, 0x0
	.amdhsa_kernel _ZL30rocblas_trmm_outofplace_kernelIfLi32ELi2ELb0ELb0ELb0ELb0EfKffEv17rocblas_diagonal_iiT6_lPT7_lllS4_lllPT8_llli
		.amdhsa_group_segment_fixed_size 8192
		.amdhsa_private_segment_fixed_size 0
		.amdhsa_kernarg_size 384
		.amdhsa_user_sgpr_count 6
		.amdhsa_user_sgpr_private_segment_buffer 1
		.amdhsa_user_sgpr_dispatch_ptr 0
		.amdhsa_user_sgpr_queue_ptr 0
		.amdhsa_user_sgpr_kernarg_segment_ptr 1
		.amdhsa_user_sgpr_dispatch_id 0
		.amdhsa_user_sgpr_flat_scratch_init 0
		.amdhsa_user_sgpr_kernarg_preload_length 0
		.amdhsa_user_sgpr_kernarg_preload_offset 0
		.amdhsa_user_sgpr_private_segment_size 0
		.amdhsa_uses_dynamic_stack 0
		.amdhsa_system_sgpr_private_segment_wavefront_offset 0
		.amdhsa_system_sgpr_workgroup_id_x 1
		.amdhsa_system_sgpr_workgroup_id_y 1
		.amdhsa_system_sgpr_workgroup_id_z 1
		.amdhsa_system_sgpr_workgroup_info 0
		.amdhsa_system_vgpr_workitem_id 1
		.amdhsa_next_free_vgpr 66
		.amdhsa_next_free_sgpr 58
		.amdhsa_accum_offset 68
		.amdhsa_reserve_vcc 1
		.amdhsa_reserve_flat_scratch 0
		.amdhsa_float_round_mode_32 0
		.amdhsa_float_round_mode_16_64 0
		.amdhsa_float_denorm_mode_32 3
		.amdhsa_float_denorm_mode_16_64 3
		.amdhsa_dx10_clamp 1
		.amdhsa_ieee_mode 1
		.amdhsa_fp16_overflow 0
		.amdhsa_tg_split 0
		.amdhsa_exception_fp_ieee_invalid_op 0
		.amdhsa_exception_fp_denorm_src 0
		.amdhsa_exception_fp_ieee_div_zero 0
		.amdhsa_exception_fp_ieee_overflow 0
		.amdhsa_exception_fp_ieee_underflow 0
		.amdhsa_exception_fp_ieee_inexact 0
		.amdhsa_exception_int_div_zero 0
	.end_amdhsa_kernel
	.section	.text._ZL30rocblas_trmm_outofplace_kernelIfLi32ELi2ELb0ELb0ELb0ELb0EfKffEv17rocblas_diagonal_iiT6_lPT7_lllS4_lllPT8_llli,"axG",@progbits,_ZL30rocblas_trmm_outofplace_kernelIfLi32ELi2ELb0ELb0ELb0ELb0EfKffEv17rocblas_diagonal_iiT6_lPT7_lllS4_lllPT8_llli,comdat
.Lfunc_end13:
	.size	_ZL30rocblas_trmm_outofplace_kernelIfLi32ELi2ELb0ELb0ELb0ELb0EfKffEv17rocblas_diagonal_iiT6_lPT7_lllS4_lllPT8_llli, .Lfunc_end13-_ZL30rocblas_trmm_outofplace_kernelIfLi32ELi2ELb0ELb0ELb0ELb0EfKffEv17rocblas_diagonal_iiT6_lPT7_lllS4_lllPT8_llli
                                        ; -- End function
	.section	.AMDGPU.csdata,"",@progbits
; Kernel info:
; codeLenInByte = 3048
; NumSgprs: 62
; NumVgprs: 66
; NumAgprs: 0
; TotalNumVgprs: 66
; ScratchSize: 0
; MemoryBound: 0
; FloatMode: 240
; IeeeMode: 1
; LDSByteSize: 8192 bytes/workgroup (compile time only)
; SGPRBlocks: 7
; VGPRBlocks: 8
; NumSGPRsForWavesPerEU: 62
; NumVGPRsForWavesPerEU: 66
; AccumOffset: 68
; Occupancy: 7
; WaveLimiterHint : 0
; COMPUTE_PGM_RSRC2:SCRATCH_EN: 0
; COMPUTE_PGM_RSRC2:USER_SGPR: 6
; COMPUTE_PGM_RSRC2:TRAP_HANDLER: 0
; COMPUTE_PGM_RSRC2:TGID_X_EN: 1
; COMPUTE_PGM_RSRC2:TGID_Y_EN: 1
; COMPUTE_PGM_RSRC2:TGID_Z_EN: 1
; COMPUTE_PGM_RSRC2:TIDIG_COMP_CNT: 1
; COMPUTE_PGM_RSRC3_GFX90A:ACCUM_OFFSET: 16
; COMPUTE_PGM_RSRC3_GFX90A:TG_SPLIT: 0
	.section	.text._ZL30rocblas_trmm_outofplace_kernelIfLi32ELi2ELb0ELb1ELb0ELb0EPKfS0_fEv17rocblas_diagonal_iiT6_lPT7_lllS5_lllPT8_llli,"axG",@progbits,_ZL30rocblas_trmm_outofplace_kernelIfLi32ELi2ELb0ELb1ELb0ELb0EPKfS0_fEv17rocblas_diagonal_iiT6_lPT7_lllS5_lllPT8_llli,comdat
	.globl	_ZL30rocblas_trmm_outofplace_kernelIfLi32ELi2ELb0ELb1ELb0ELb0EPKfS0_fEv17rocblas_diagonal_iiT6_lPT7_lllS5_lllPT8_llli ; -- Begin function _ZL30rocblas_trmm_outofplace_kernelIfLi32ELi2ELb0ELb1ELb0ELb0EPKfS0_fEv17rocblas_diagonal_iiT6_lPT7_lllS5_lllPT8_llli
	.p2align	8
	.type	_ZL30rocblas_trmm_outofplace_kernelIfLi32ELi2ELb0ELb1ELb0ELb0EPKfS0_fEv17rocblas_diagonal_iiT6_lPT7_lllS5_lllPT8_llli,@function
_ZL30rocblas_trmm_outofplace_kernelIfLi32ELi2ELb0ELb1ELb0ELb0EPKfS0_fEv17rocblas_diagonal_iiT6_lPT7_lllS5_lllPT8_llli: ; @_ZL30rocblas_trmm_outofplace_kernelIfLi32ELi2ELb0ELb1ELb0ELb0EPKfS0_fEv17rocblas_diagonal_iiT6_lPT7_lllS5_lllPT8_llli
; %bb.0:
	s_load_dwordx16 s[16:31], s[4:5], 0x10
	s_waitcnt lgkmcnt(0)
	s_mul_i32 s0, s8, s19
	s_mul_hi_u32 s1, s8, s18
	s_add_i32 s1, s1, s0
	s_mul_i32 s0, s8, s18
	s_lshl_b64 s[0:1], s[0:1], 2
	s_add_u32 s0, s16, s0
	s_addc_u32 s1, s17, s1
	s_load_dword s33, s[0:1], 0x0
	s_waitcnt lgkmcnt(0)
	v_cmp_eq_f32_e64 s[0:1], s33, 0
	s_and_b64 vcc, exec, s[0:1]
	s_cbranch_vccnz .LBB14_63
; %bb.1:
	s_load_dwordx4 s[36:39], s[4:5], 0x0
	s_waitcnt lgkmcnt(0)
	s_add_i32 s0, s38, -1
	s_ashr_i32 s1, s0, 31
	s_lshr_b32 s1, s1, 27
	s_add_i32 s0, s0, s1
	s_ashr_i32 s46, s0, 5
	s_cmp_gt_i32 s7, s46
	s_cbranch_scc1 .LBB14_63
; %bb.2:
	s_load_dwordx4 s[40:43], s[4:5], 0x70
	s_load_dwordx8 s[12:19], s[4:5], 0x50
	s_load_dword s47, s[4:5], 0x8c
	v_and_b32_e32 v14, 0x3ff, v0
	v_bfe_u32 v12, v0, 10, 10
	v_lshl_add_u32 v0, s6, 5, v14
	s_waitcnt lgkmcnt(0)
	s_mul_i32 s0, s8, s43
	s_mul_hi_u32 s1, s8, s42
	s_add_i32 s1, s1, s0
	s_mul_i32 s0, s8, s42
	s_lshl_b64 s[0:1], s[0:1], 2
	s_add_u32 s2, s16, s0
	s_addc_u32 s3, s17, s1
	s_lshl_b64 s[0:1], s[18:19], 2
	s_add_u32 s48, s2, s0
	s_addc_u32 s49, s3, s1
	s_cmpk_eq_i32 s36, 0x84
	s_cselect_b64 s[34:35], -1, 0
	s_ashr_i32 s0, s37, 31
	v_ashrrev_i32_e32 v1, 31, v0
	v_mov_b32_e32 v3, s0
	v_sub_co_u32_e32 v2, vcc, s37, v0
	v_subb_co_u32_e32 v3, vcc, v3, v1, vcc
	v_cmp_gt_i64_e64 s[0:1], 1, v[2:3]
	v_cmp_gt_i64_e64 s[2:3], 17, v[2:3]
	v_mad_u64_u32 v[2:3], s[10:11], s12, v12, 0
	v_sub_co_u32_e32 v49, vcc, 0, v14
	v_mov_b32_e32 v4, v3
	s_ashr_i32 s39, s38, 31
	s_lshl_b64 s[42:43], s[12:13], 7
	v_subb_co_u32_e64 v50, s[10:11], 0, 0, vcc
	v_mad_u64_u32 v[4:5], s[10:11], s13, v12, v[4:5]
	s_add_u32 s44, s38, -16
	s_mul_i32 s9, s15, s8
	s_mul_hi_u32 s10, s14, s8
	s_addc_u32 s45, s39, -1
	s_add_i32 s11, s10, s9
	s_mul_i32 s10, s14, s8
	s_lshl_b32 s6, s47, 5
	s_lshl_b64 s[10:11], s[10:11], 2
	s_lshl_b64 s[14:15], s[30:31], 2
	s_add_u32 s9, s10, s14
	s_addc_u32 s10, s11, s15
	s_add_u32 s9, s28, s9
	v_lshlrev_b64 v[24:25], 2, v[0:1]
	s_addc_u32 s10, s29, s10
	v_cmp_gt_i32_e64 s[4:5], s37, v0
	v_add_u32_e32 v18, 16, v0
	v_mov_b32_e32 v0, s10
	v_add_co_u32_e32 v1, vcc, s9, v24
	s_mul_i32 s9, s27, s8
	s_mul_hi_u32 s10, s26, s8
	s_add_i32 s9, s10, s9
	s_mul_i32 s8, s26, s8
	s_lshl_b64 s[8:9], s[8:9], 2
	s_lshl_b64 s[10:11], s[22:23], 2
	s_add_u32 s8, s8, s10
	v_addc_co_u32_e32 v0, vcc, v0, v25, vcc
	s_addc_u32 s9, s9, s11
	v_add_co_u32_e32 v26, vcc, 64, v1
	s_add_u32 s20, s20, s8
	v_lshl_add_u32 v1, v12, 2, 64
	s_addc_u32 s21, s21, s9
	v_mad_u64_u32 v[28:29], s[8:9], s12, v1, 0
	v_lshlrev_b32_e32 v16, 2, v14
	v_addc_co_u32_e32 v27, vcc, 0, v0, vcc
	v_mov_b32_e32 v0, v29
	v_lshlrev_b32_e32 v17, 7, v12
	v_or_b32_e32 v47, 0x1000, v16
	v_mov_b32_e32 v3, v4
	v_mad_u64_u32 v[0:1], s[8:9], s13, v1, v[0:1]
	v_mov_b32_e32 v15, 0
	v_add_u32_e32 v46, v17, v16
	v_add_u32_e32 v48, v47, v17
	v_cmp_gt_i32_e64 s[16:17], s37, v18
	v_ashrrev_i32_e32 v19, 31, v18
	v_lshl_add_u32 v20, s7, 5, v12
	v_lshlrev_b64 v[22:23], 2, v[2:3]
	s_lshl_b64 s[22:23], s[24:25], 2
	v_mov_b32_e32 v13, v0
	v_mov_b32_e32 v29, 1.0
	s_branch .LBB14_4
.LBB14_3:                               ;   in Loop: Header=BB14_4 Depth=1
	s_or_b64 exec, exec, s[8:9]
	s_add_i32 s7, s47, s7
	s_cmp_le_i32 s7, s46
	v_add_u32_e32 v20, s6, v20
	s_cbranch_scc0 .LBB14_63
.LBB14_4:                               ; =>This Loop Header: Depth=1
                                        ;     Child Loop BB14_7 Depth 2
	s_lshl_b32 s50, s7, 5
	v_add_u32_e32 v30, s50, v12
	v_ashrrev_i32_e32 v31, 31, v30
	s_cmp_lt_i32 s7, 0
	v_mov_b32_e32 v53, 0
	v_mov_b32_e32 v52, 0
	;; [unrolled: 1-line block ×4, first 2 shown]
	s_cbranch_scc1 .LBB14_55
; %bb.5:                                ;   in Loop: Header=BB14_4 Depth=1
	v_ashrrev_i32_e32 v21, 31, v20
	v_pk_mov_b32 v[0:1], s[20:21], s[20:21] op_sel:[0,1]
	v_add_co_u32_e32 v32, vcc, v49, v20
	v_mad_u64_u32 v[34:35], s[8:9], s22, v20, v[0:1]
	v_mul_lo_u32 v2, s23, v20
	v_mul_lo_u32 v3, s22, v21
	v_addc_co_u32_e32 v33, vcc, v50, v21, vcc
	v_add3_u32 v35, v2, v35, v3
	v_lshlrev_b64 v[2:3], 2, v[20:21]
	v_add_co_u32_e32 v2, vcc, 64, v2
	v_addc_co_u32_e32 v3, vcc, 0, v3, vcc
	v_add_co_u32_e32 v38, vcc, 16, v30
	v_addc_co_u32_e32 v39, vcc, 0, v31, vcc
	;; [unrolled: 2-line block ×3, first 2 shown]
	v_mul_lo_u32 v3, s24, v3
	v_mul_lo_u32 v4, s25, v2
	v_mad_u64_u32 v[36:37], s[8:9], s24, v2, v[0:1]
	v_add_co_u32_e32 v42, vcc, -16, v32
	v_add3_u32 v37, v4, v37, v3
	v_cmp_le_i32_e64 s[8:9], s38, v30
	v_cmp_le_i64_e64 s[10:11], s[38:39], v[38:39]
	v_addc_co_u32_e32 v43, vcc, -1, v33, vcc
	s_mov_b64 s[26:27], 0
	v_mov_b32_e32 v21, 0
	v_pk_mov_b32 v[44:45], v[26:27], v[26:27] op_sel:[0,1]
	v_mov_b32_e32 v51, 0
	v_mov_b32_e32 v52, 0
	v_mov_b32_e32 v53, 0
	s_branch .LBB14_7
.LBB14_6:                               ;   in Loop: Header=BB14_7 Depth=2
	s_or_b64 exec, exec, s[12:13]
	s_waitcnt lgkmcnt(0)
	s_barrier
	ds_read_b128 v[54:57], v17
	ds_read_b128 v[8:11], v17 offset:16
	ds_read_b128 v[4:7], v17 offset:32
	;; [unrolled: 1-line block ×3, first 2 shown]
	ds_read2_b32 v[62:63], v47 offset1:16
	ds_read_b128 v[58:61], v17 offset:2048
	v_add_co_u32_e32 v44, vcc, s42, v44
	s_add_u32 s26, s26, 32
	s_waitcnt lgkmcnt(1)
	v_fmac_f32_e32 v53, v62, v54
	v_fmac_f32_e32 v52, v63, v54
	s_waitcnt lgkmcnt(0)
	v_fmac_f32_e32 v51, v62, v58
	v_fmac_f32_e32 v21, v63, v58
	ds_read2_b32 v[62:63], v47 offset0:32 offset1:48
	s_addc_u32 s27, s27, 0
	s_sub_i32 s12, s26, 32
	s_cmp_ge_i32 s12, s50
	s_waitcnt lgkmcnt(0)
	v_fmac_f32_e32 v53, v62, v55
	v_fmac_f32_e32 v52, v63, v55
	ds_read2_b32 v[54:55], v47 offset0:64 offset1:80
	v_fmac_f32_e32 v51, v62, v59
	v_fmac_f32_e32 v21, v63, v59
	ds_read2_b32 v[58:59], v47 offset0:128 offset1:144
	s_waitcnt lgkmcnt(1)
	v_fmac_f32_e32 v53, v54, v56
	v_fmac_f32_e32 v52, v55, v56
	;; [unrolled: 1-line block ×4, first 2 shown]
	ds_read2_b32 v[54:55], v47 offset0:96 offset1:112
	s_waitcnt lgkmcnt(0)
	v_fmac_f32_e32 v53, v54, v57
	v_fmac_f32_e32 v52, v55, v57
	v_fmac_f32_e32 v51, v54, v61
	v_fmac_f32_e32 v21, v55, v61
	ds_read_b128 v[54:57], v17 offset:2064
	v_fmac_f32_e32 v53, v58, v8
	v_fmac_f32_e32 v52, v59, v8
	s_waitcnt lgkmcnt(0)
	v_fmac_f32_e32 v51, v58, v54
	v_fmac_f32_e32 v21, v59, v54
	ds_read2_b32 v[58:59], v47 offset0:160 offset1:176
	s_waitcnt lgkmcnt(0)
	v_fmac_f32_e32 v53, v58, v9
	v_fmac_f32_e32 v52, v59, v9
	ds_read2_b32 v[8:9], v47 offset0:192 offset1:208
	v_fmac_f32_e32 v51, v58, v55
	v_fmac_f32_e32 v21, v59, v55
	s_waitcnt lgkmcnt(0)
	v_fmac_f32_e32 v53, v8, v10
	v_fmac_f32_e32 v52, v9, v10
	;; [unrolled: 1-line block ×4, first 2 shown]
	ds_read2_b32 v[8:9], v47 offset0:224 offset1:240
	v_add_u32_e32 v56, 0x400, v47
	ds_read2_b32 v[54:55], v56 offset1:16
	s_waitcnt lgkmcnt(1)
	v_fmac_f32_e32 v53, v8, v11
	v_fmac_f32_e32 v52, v9, v11
	;; [unrolled: 1-line block ×4, first 2 shown]
	ds_read_b128 v[8:11], v17 offset:2080
	s_waitcnt lgkmcnt(1)
	v_fmac_f32_e32 v53, v54, v4
	v_fmac_f32_e32 v52, v55, v4
	s_waitcnt lgkmcnt(0)
	v_fmac_f32_e32 v51, v54, v8
	v_fmac_f32_e32 v21, v55, v8
	ds_read2_b32 v[54:55], v56 offset0:32 offset1:48
	s_waitcnt lgkmcnt(0)
	v_fmac_f32_e32 v53, v54, v5
	v_fmac_f32_e32 v52, v55, v5
	ds_read2_b32 v[4:5], v56 offset0:64 offset1:80
	v_fmac_f32_e32 v51, v54, v9
	v_fmac_f32_e32 v21, v55, v9
	ds_read2_b32 v[8:9], v56 offset0:128 offset1:144
	s_waitcnt lgkmcnt(1)
	v_fmac_f32_e32 v53, v4, v6
	v_fmac_f32_e32 v52, v5, v6
	;; [unrolled: 1-line block ×4, first 2 shown]
	ds_read2_b32 v[4:5], v56 offset0:96 offset1:112
	v_add_u32_e32 v10, 0x800, v47
	s_waitcnt lgkmcnt(0)
	v_fmac_f32_e32 v53, v4, v7
	v_fmac_f32_e32 v52, v5, v7
	;; [unrolled: 1-line block ×4, first 2 shown]
	ds_read_b128 v[4:7], v17 offset:2096
	v_fmac_f32_e32 v53, v8, v0
	v_fmac_f32_e32 v52, v9, v0
	s_waitcnt lgkmcnt(0)
	v_fmac_f32_e32 v51, v8, v4
	v_fmac_f32_e32 v21, v9, v4
	ds_read2_b32 v[8:9], v56 offset0:160 offset1:176
	s_waitcnt lgkmcnt(0)
	v_fmac_f32_e32 v53, v8, v1
	v_fmac_f32_e32 v52, v9, v1
	ds_read2_b32 v[0:1], v56 offset0:192 offset1:208
	v_fmac_f32_e32 v51, v8, v5
	v_fmac_f32_e32 v21, v9, v5
	ds_read2_b32 v[8:9], v10 offset1:16
	s_waitcnt lgkmcnt(1)
	v_fmac_f32_e32 v53, v0, v2
	v_fmac_f32_e32 v52, v1, v2
	;; [unrolled: 1-line block ×4, first 2 shown]
	ds_read2_b32 v[0:1], v56 offset0:224 offset1:240
	s_waitcnt lgkmcnt(0)
	v_fmac_f32_e32 v53, v0, v3
	v_fmac_f32_e32 v52, v1, v3
	;; [unrolled: 1-line block ×4, first 2 shown]
	ds_read_b128 v[0:3], v17 offset:64
	ds_read_b128 v[4:7], v17 offset:2112
	s_waitcnt lgkmcnt(1)
	v_fmac_f32_e32 v53, v8, v0
	v_fmac_f32_e32 v52, v9, v0
	s_waitcnt lgkmcnt(0)
	v_fmac_f32_e32 v51, v8, v4
	v_fmac_f32_e32 v21, v9, v4
	ds_read2_b32 v[8:9], v10 offset0:32 offset1:48
	s_waitcnt lgkmcnt(0)
	v_fmac_f32_e32 v53, v8, v1
	v_fmac_f32_e32 v52, v9, v1
	ds_read2_b32 v[0:1], v10 offset0:64 offset1:80
	v_fmac_f32_e32 v51, v8, v5
	v_fmac_f32_e32 v21, v9, v5
	s_waitcnt lgkmcnt(0)
	v_fmac_f32_e32 v53, v0, v2
	v_fmac_f32_e32 v52, v1, v2
	;; [unrolled: 1-line block ×4, first 2 shown]
	ds_read2_b32 v[0:1], v10 offset0:96 offset1:112
	s_waitcnt lgkmcnt(0)
	v_fmac_f32_e32 v53, v0, v3
	v_fmac_f32_e32 v52, v1, v3
	;; [unrolled: 1-line block ×4, first 2 shown]
	ds_read_b128 v[0:3], v17 offset:80
	ds_read2_b32 v[8:9], v10 offset0:128 offset1:144
	ds_read_b128 v[4:7], v17 offset:2128
	s_waitcnt lgkmcnt(1)
	v_fmac_f32_e32 v53, v8, v0
	v_fmac_f32_e32 v52, v9, v0
	s_waitcnt lgkmcnt(0)
	v_fmac_f32_e32 v51, v8, v4
	v_fmac_f32_e32 v21, v9, v4
	ds_read2_b32 v[8:9], v10 offset0:160 offset1:176
	s_waitcnt lgkmcnt(0)
	v_fmac_f32_e32 v53, v8, v1
	v_fmac_f32_e32 v52, v9, v1
	ds_read2_b32 v[0:1], v10 offset0:192 offset1:208
	v_fmac_f32_e32 v51, v8, v5
	v_fmac_f32_e32 v21, v9, v5
	s_waitcnt lgkmcnt(0)
	v_fmac_f32_e32 v53, v0, v2
	v_fmac_f32_e32 v52, v1, v2
	;; [unrolled: 1-line block ×4, first 2 shown]
	ds_read2_b32 v[0:1], v10 offset0:224 offset1:240
	v_add_u32_e32 v10, 0xc00, v47
	ds_read2_b32 v[8:9], v10 offset1:16
	s_waitcnt lgkmcnt(1)
	v_fmac_f32_e32 v53, v0, v3
	v_fmac_f32_e32 v52, v1, v3
	;; [unrolled: 1-line block ×4, first 2 shown]
	ds_read_b128 v[0:3], v17 offset:96
	ds_read_b128 v[4:7], v17 offset:2144
	s_waitcnt lgkmcnt(1)
	v_fmac_f32_e32 v53, v8, v0
	v_fmac_f32_e32 v52, v9, v0
	s_waitcnt lgkmcnt(0)
	v_fmac_f32_e32 v51, v8, v4
	v_fmac_f32_e32 v21, v9, v4
	ds_read2_b32 v[8:9], v10 offset0:32 offset1:48
	s_waitcnt lgkmcnt(0)
	v_fmac_f32_e32 v53, v8, v1
	v_fmac_f32_e32 v52, v9, v1
	ds_read2_b32 v[0:1], v10 offset0:64 offset1:80
	v_fmac_f32_e32 v51, v8, v5
	v_fmac_f32_e32 v21, v9, v5
	s_waitcnt lgkmcnt(0)
	v_fmac_f32_e32 v53, v0, v2
	v_fmac_f32_e32 v52, v1, v2
	;; [unrolled: 1-line block ×4, first 2 shown]
	ds_read2_b32 v[0:1], v10 offset0:96 offset1:112
	s_waitcnt lgkmcnt(0)
	v_fmac_f32_e32 v53, v0, v3
	v_fmac_f32_e32 v52, v1, v3
	;; [unrolled: 1-line block ×4, first 2 shown]
	ds_read_b128 v[0:3], v17 offset:112
	ds_read2_b32 v[8:9], v10 offset0:128 offset1:144
	ds_read_b128 v[4:7], v17 offset:2160
	s_waitcnt lgkmcnt(1)
	v_fmac_f32_e32 v53, v8, v0
	v_fmac_f32_e32 v52, v9, v0
	s_waitcnt lgkmcnt(0)
	v_fmac_f32_e32 v51, v8, v4
	v_fmac_f32_e32 v21, v9, v4
	ds_read2_b32 v[8:9], v10 offset0:160 offset1:176
	s_waitcnt lgkmcnt(0)
	v_fmac_f32_e32 v53, v8, v1
	v_fmac_f32_e32 v52, v9, v1
	ds_read2_b32 v[0:1], v10 offset0:192 offset1:208
	v_fmac_f32_e32 v51, v8, v5
	v_fmac_f32_e32 v21, v9, v5
	s_waitcnt lgkmcnt(0)
	v_fmac_f32_e32 v53, v0, v2
	v_fmac_f32_e32 v52, v1, v2
	;; [unrolled: 1-line block ×4, first 2 shown]
	ds_read2_b32 v[0:1], v10 offset0:224 offset1:240
	s_waitcnt lgkmcnt(0)
	s_barrier
	v_fmac_f32_e32 v53, v0, v3
	v_fmac_f32_e32 v51, v0, v7
	v_mov_b32_e32 v0, s43
	v_addc_co_u32_e32 v45, vcc, v45, v0, vcc
	v_add_co_u32_e32 v34, vcc, 0x80, v34
	v_addc_co_u32_e32 v35, vcc, 0, v35, vcc
	v_add_co_u32_e32 v36, vcc, 0x80, v36
	v_fmac_f32_e32 v52, v1, v3
	v_fmac_f32_e32 v21, v1, v7
	v_addc_co_u32_e32 v37, vcc, 0, v37, vcc
	s_cbranch_scc1 .LBB14_55
.LBB14_7:                               ;   Parent Loop BB14_4 Depth=1
                                        ; =>  This Inner Loop Header: Depth=2
	v_mov_b32_e32 v1, s27
	v_add_co_u32_e32 v0, vcc, s26, v14
	v_addc_co_u32_e32 v1, vcc, 0, v1, vcc
	v_add_co_u32_e32 v2, vcc, v34, v16
	v_addc_co_u32_e32 v3, vcc, 0, v35, vcc
	v_cmp_eq_u64_e32 vcc, s[26:27], v[32:33]
	s_and_b64 s[30:31], s[34:35], vcc
	v_cmp_gt_i64_e32 vcc, v[0:1], v[30:31]
	s_or_b64 s[14:15], s[8:9], vcc
	v_cmp_le_i64_e64 s[12:13], s[38:39], v[0:1]
	s_or_b64 s[14:15], s[14:15], s[30:31]
	s_or_b64 s[14:15], s[12:13], s[14:15]
	s_xor_b64 s[14:15], s[14:15], -1
	s_and_saveexec_b64 s[18:19], s[14:15]
	s_xor_b64 s[14:15], exec, s[18:19]
	s_cbranch_execz .LBB14_9
; %bb.8:                                ;   in Loop: Header=BB14_7 Depth=2
	global_load_dword v4, v[2:3], off
	s_waitcnt vmcnt(0)
	ds_write_b32 v46, v4
.LBB14_9:                               ;   in Loop: Header=BB14_7 Depth=2
	s_or_saveexec_b64 s[14:15], s[14:15]
	s_xor_b64 s[28:29], s[30:31], -1
	s_xor_b64 exec, exec, s[14:15]
	s_cbranch_execz .LBB14_15
; %bb.10:                               ;   in Loop: Header=BB14_7 Depth=2
	s_and_saveexec_b64 s[18:19], s[28:29]
	s_xor_b64 s[18:19], exec, s[18:19]
	s_cbranch_execz .LBB14_12
; %bb.11:                               ;   in Loop: Header=BB14_7 Depth=2
	ds_write_b32 v46, v15
.LBB14_12:                              ;   in Loop: Header=BB14_7 Depth=2
	s_andn2_saveexec_b64 s[18:19], s[18:19]
	s_cbranch_execz .LBB14_14
; %bb.13:                               ;   in Loop: Header=BB14_7 Depth=2
	ds_write_b32 v46, v29
.LBB14_14:                              ;   in Loop: Header=BB14_7 Depth=2
	s_or_b64 exec, exec, s[18:19]
.LBB14_15:                              ;   in Loop: Header=BB14_7 Depth=2
	s_or_b64 exec, exec, s[14:15]
	v_add_co_u32_e64 v4, s[14:15], 16, v0
	v_addc_co_u32_e64 v5, s[14:15], 0, v1, s[14:15]
	v_cmp_eq_u64_e64 s[14:15], s[26:27], v[42:43]
	v_cmp_gt_i64_e64 s[18:19], v[4:5], v[30:31]
	s_and_b64 s[36:37], s[34:35], s[14:15]
	s_or_b64 s[18:19], s[8:9], s[18:19]
	v_cmp_le_i64_e64 s[14:15], s[38:39], v[4:5]
	s_or_b64 s[18:19], s[18:19], s[36:37]
	s_or_b64 s[18:19], s[14:15], s[18:19]
	s_xor_b64 s[18:19], s[18:19], -1
	s_and_saveexec_b64 s[52:53], s[18:19]
	s_xor_b64 s[18:19], exec, s[52:53]
	s_cbranch_execz .LBB14_17
; %bb.16:                               ;   in Loop: Header=BB14_7 Depth=2
	global_load_dword v2, v[2:3], off offset:64
	s_waitcnt vmcnt(0)
	ds_write_b32 v46, v2 offset:64
.LBB14_17:                              ;   in Loop: Header=BB14_7 Depth=2
	s_andn2_saveexec_b64 s[18:19], s[18:19]
	s_cbranch_execz .LBB14_23
; %bb.18:                               ;   in Loop: Header=BB14_7 Depth=2
	s_xor_b64 s[36:37], s[36:37], -1
	s_and_saveexec_b64 s[52:53], s[36:37]
	s_xor_b64 s[36:37], exec, s[52:53]
	s_cbranch_execz .LBB14_20
; %bb.19:                               ;   in Loop: Header=BB14_7 Depth=2
	ds_write_b32 v46, v15 offset:64
.LBB14_20:                              ;   in Loop: Header=BB14_7 Depth=2
	s_andn2_saveexec_b64 s[36:37], s[36:37]
	s_cbranch_execz .LBB14_22
; %bb.21:                               ;   in Loop: Header=BB14_7 Depth=2
	ds_write_b32 v46, v29 offset:64
.LBB14_22:                              ;   in Loop: Header=BB14_7 Depth=2
	s_or_b64 exec, exec, s[36:37]
.LBB14_23:                              ;   in Loop: Header=BB14_7 Depth=2
	s_or_b64 exec, exec, s[18:19]
	v_cmp_eq_u64_e64 s[18:19], s[26:27], v[40:41]
	s_and_b64 s[36:37], s[34:35], s[18:19]
	v_cmp_gt_i64_e64 s[18:19], v[0:1], v[38:39]
	s_or_b64 s[18:19], s[10:11], s[18:19]
	s_or_b64 s[18:19], s[18:19], s[36:37]
	;; [unrolled: 1-line block ×3, first 2 shown]
	s_xor_b64 s[12:13], s[12:13], -1
	s_and_saveexec_b64 s[18:19], s[12:13]
	s_xor_b64 s[18:19], exec, s[18:19]
	s_cbranch_execz .LBB14_25
; %bb.24:                               ;   in Loop: Header=BB14_7 Depth=2
	v_add_co_u32_e64 v0, s[12:13], v36, v16
	v_addc_co_u32_e64 v1, s[12:13], 0, v37, s[12:13]
	global_load_dword v0, v[0:1], off
	s_waitcnt vmcnt(0)
	ds_write_b32 v46, v0 offset:2048
.LBB14_25:                              ;   in Loop: Header=BB14_7 Depth=2
	s_andn2_saveexec_b64 s[12:13], s[18:19]
	s_cbranch_execz .LBB14_31
; %bb.26:                               ;   in Loop: Header=BB14_7 Depth=2
	s_xor_b64 s[18:19], s[36:37], -1
	s_and_saveexec_b64 s[36:37], s[18:19]
	s_xor_b64 s[18:19], exec, s[36:37]
	s_cbranch_execz .LBB14_28
; %bb.27:                               ;   in Loop: Header=BB14_7 Depth=2
	ds_write_b32 v46, v15 offset:2048
.LBB14_28:                              ;   in Loop: Header=BB14_7 Depth=2
	s_andn2_saveexec_b64 s[18:19], s[18:19]
	s_cbranch_execz .LBB14_30
; %bb.29:                               ;   in Loop: Header=BB14_7 Depth=2
	ds_write_b32 v46, v29 offset:2048
.LBB14_30:                              ;   in Loop: Header=BB14_7 Depth=2
	s_or_b64 exec, exec, s[18:19]
.LBB14_31:                              ;   in Loop: Header=BB14_7 Depth=2
	s_or_b64 exec, exec, s[12:13]
	s_or_b64 s[12:13], s[10:11], vcc
	s_or_b64 s[12:13], s[12:13], s[30:31]
	s_or_b64 s[12:13], s[14:15], s[12:13]
	s_xor_b64 s[12:13], s[12:13], -1
	s_and_saveexec_b64 s[14:15], s[12:13]
	s_xor_b64 s[12:13], exec, s[14:15]
	s_cbranch_execz .LBB14_33
; %bb.32:                               ;   in Loop: Header=BB14_7 Depth=2
	v_add_co_u32_e32 v0, vcc, v36, v16
	v_addc_co_u32_e32 v1, vcc, 0, v37, vcc
	global_load_dword v0, v[0:1], off offset:64
	s_waitcnt vmcnt(0)
	ds_write_b32 v46, v0 offset:2112
.LBB14_33:                              ;   in Loop: Header=BB14_7 Depth=2
	s_andn2_saveexec_b64 s[12:13], s[12:13]
	s_cbranch_execz .LBB14_39
; %bb.34:                               ;   in Loop: Header=BB14_7 Depth=2
	s_and_saveexec_b64 s[14:15], s[28:29]
	s_xor_b64 s[14:15], exec, s[14:15]
	s_cbranch_execz .LBB14_36
; %bb.35:                               ;   in Loop: Header=BB14_7 Depth=2
	ds_write_b32 v46, v15 offset:2112
.LBB14_36:                              ;   in Loop: Header=BB14_7 Depth=2
	s_andn2_saveexec_b64 s[14:15], s[14:15]
	s_cbranch_execz .LBB14_38
; %bb.37:                               ;   in Loop: Header=BB14_7 Depth=2
	ds_write_b32 v46, v29 offset:2112
.LBB14_38:                              ;   in Loop: Header=BB14_7 Depth=2
	s_or_b64 exec, exec, s[14:15]
.LBB14_39:                              ;   in Loop: Header=BB14_7 Depth=2
	s_or_b64 exec, exec, s[12:13]
	v_mov_b32_e32 v1, s27
	v_add_co_u32_e32 v0, vcc, s26, v12
	v_addc_co_u32_e32 v1, vcc, 0, v1, vcc
	v_add_co_u32_e32 v2, vcc, v44, v22
	v_addc_co_u32_e32 v3, vcc, v45, v23, vcc
	v_cmp_le_i64_e32 vcc, s[38:39], v[0:1]
	s_or_b64 s[12:13], vcc, s[0:1]
	s_xor_b64 s[12:13], s[12:13], -1
	s_and_saveexec_b64 s[14:15], s[12:13]
	s_xor_b64 s[12:13], exec, s[14:15]
	s_cbranch_execz .LBB14_41
; %bb.40:                               ;   in Loop: Header=BB14_7 Depth=2
	global_load_dword v4, v[2:3], off offset:-64
	s_waitcnt vmcnt(0)
	ds_write_b32 v48, v4
.LBB14_41:                              ;   in Loop: Header=BB14_7 Depth=2
	s_andn2_saveexec_b64 s[12:13], s[12:13]
	s_cbranch_execz .LBB14_43
; %bb.42:                               ;   in Loop: Header=BB14_7 Depth=2
	ds_write_b32 v48, v15
.LBB14_43:                              ;   in Loop: Header=BB14_7 Depth=2
	s_or_b64 exec, exec, s[12:13]
	s_or_b64 s[12:13], vcc, s[2:3]
	s_xor_b64 s[12:13], s[12:13], -1
	s_and_saveexec_b64 s[14:15], s[12:13]
	s_xor_b64 s[12:13], exec, s[14:15]
	s_cbranch_execz .LBB14_45
; %bb.44:                               ;   in Loop: Header=BB14_7 Depth=2
	global_load_dword v2, v[2:3], off
	s_waitcnt vmcnt(0)
	ds_write_b32 v48, v2 offset:64
.LBB14_45:                              ;   in Loop: Header=BB14_7 Depth=2
	s_andn2_saveexec_b64 s[12:13], s[12:13]
	s_cbranch_execz .LBB14_47
; %bb.46:                               ;   in Loop: Header=BB14_7 Depth=2
	ds_write_b32 v48, v15 offset:64
.LBB14_47:                              ;   in Loop: Header=BB14_7 Depth=2
	s_or_b64 exec, exec, s[12:13]
	v_cmp_le_i64_e32 vcc, s[44:45], v[0:1]
	s_or_b64 s[12:13], vcc, s[0:1]
	s_xor_b64 s[12:13], s[12:13], -1
	s_and_saveexec_b64 s[14:15], s[12:13]
	s_xor_b64 s[14:15], exec, s[14:15]
	s_cbranch_execz .LBB14_49
; %bb.48:                               ;   in Loop: Header=BB14_7 Depth=2
	v_add_co_u32_e64 v0, s[12:13], v44, v28
	v_addc_co_u32_e64 v1, s[12:13], v45, v13, s[12:13]
	global_load_dword v0, v[0:1], off offset:-64
	s_waitcnt vmcnt(0)
	ds_write_b32 v48, v0 offset:2048
.LBB14_49:                              ;   in Loop: Header=BB14_7 Depth=2
	s_andn2_saveexec_b64 s[12:13], s[14:15]
	s_cbranch_execz .LBB14_51
; %bb.50:                               ;   in Loop: Header=BB14_7 Depth=2
	ds_write_b32 v48, v15 offset:2048
.LBB14_51:                              ;   in Loop: Header=BB14_7 Depth=2
	s_or_b64 exec, exec, s[12:13]
	s_or_b64 s[12:13], vcc, s[2:3]
	s_xor_b64 s[12:13], s[12:13], -1
	s_and_saveexec_b64 s[14:15], s[12:13]
	s_xor_b64 s[12:13], exec, s[14:15]
	s_cbranch_execz .LBB14_53
; %bb.52:                               ;   in Loop: Header=BB14_7 Depth=2
	v_add_co_u32_e32 v0, vcc, v44, v28
	v_addc_co_u32_e32 v1, vcc, v45, v13, vcc
	global_load_dword v0, v[0:1], off
	s_waitcnt vmcnt(0)
	ds_write_b32 v48, v0 offset:2112
.LBB14_53:                              ;   in Loop: Header=BB14_7 Depth=2
	s_andn2_saveexec_b64 s[12:13], s[12:13]
	s_cbranch_execz .LBB14_6
; %bb.54:                               ;   in Loop: Header=BB14_7 Depth=2
	ds_write_b32 v48, v15 offset:2112
	s_branch .LBB14_6
.LBB14_55:                              ;   in Loop: Header=BB14_4 Depth=1
	v_mul_lo_u32 v2, v31, s40
	v_mul_lo_u32 v3, v30, s41
	v_mad_u64_u32 v[0:1], s[8:9], v30, s40, 0
	v_add3_u32 v1, v1, v3, v2
	v_lshlrev_b64 v[0:1], 2, v[0:1]
	v_mov_b32_e32 v2, s49
	v_add_co_u32_e64 v0, s[8:9], s48, v0
	v_cmp_gt_i32_e32 vcc, s38, v30
	v_addc_co_u32_e64 v1, s[8:9], v2, v1, s[8:9]
	s_and_b64 s[8:9], s[4:5], vcc
	s_and_saveexec_b64 s[10:11], s[8:9]
	s_cbranch_execz .LBB14_57
; %bb.56:                               ;   in Loop: Header=BB14_4 Depth=1
	v_add_co_u32_e64 v2, s[8:9], v0, v24
	v_addc_co_u32_e64 v3, s[8:9], v1, v25, s[8:9]
	global_load_dword v4, v[2:3], off
	s_waitcnt vmcnt(0)
	v_fmac_f32_e32 v4, s33, v53
	global_store_dword v[2:3], v4, off
.LBB14_57:                              ;   in Loop: Header=BB14_4 Depth=1
	s_or_b64 exec, exec, s[10:11]
	s_and_b64 s[10:11], s[16:17], vcc
	s_and_saveexec_b64 s[8:9], s[10:11]
	s_cbranch_execz .LBB14_59
; %bb.58:                               ;   in Loop: Header=BB14_4 Depth=1
	v_lshlrev_b64 v[2:3], 2, v[18:19]
	v_add_co_u32_e32 v0, vcc, v0, v2
	v_addc_co_u32_e32 v1, vcc, v1, v3, vcc
	global_load_dword v2, v[0:1], off
	s_waitcnt vmcnt(0)
	v_fmac_f32_e32 v2, s33, v52
	global_store_dword v[0:1], v2, off
.LBB14_59:                              ;   in Loop: Header=BB14_4 Depth=1
	s_or_b64 exec, exec, s[8:9]
	v_add_u32_e32 v0, 16, v30
	v_ashrrev_i32_e32 v1, 31, v0
	v_cmp_gt_i32_e32 vcc, s38, v0
	v_mul_lo_u32 v2, v1, s40
	v_mul_lo_u32 v3, v0, s41
	v_mad_u64_u32 v[0:1], s[8:9], v0, s40, 0
	v_add3_u32 v1, v1, v3, v2
	v_lshlrev_b64 v[0:1], 2, v[0:1]
	v_mov_b32_e32 v2, s49
	v_add_co_u32_e64 v0, s[8:9], s48, v0
	v_addc_co_u32_e64 v1, s[8:9], v2, v1, s[8:9]
	s_and_b64 s[8:9], s[4:5], vcc
	s_and_saveexec_b64 s[10:11], s[8:9]
	s_cbranch_execz .LBB14_61
; %bb.60:                               ;   in Loop: Header=BB14_4 Depth=1
	v_add_co_u32_e64 v2, s[8:9], v0, v24
	v_addc_co_u32_e64 v3, s[8:9], v1, v25, s[8:9]
	global_load_dword v4, v[2:3], off
	s_waitcnt vmcnt(0)
	v_fmac_f32_e32 v4, s33, v51
	global_store_dword v[2:3], v4, off
.LBB14_61:                              ;   in Loop: Header=BB14_4 Depth=1
	s_or_b64 exec, exec, s[10:11]
	s_and_b64 s[10:11], s[16:17], vcc
	s_and_saveexec_b64 s[8:9], s[10:11]
	s_cbranch_execz .LBB14_3
; %bb.62:                               ;   in Loop: Header=BB14_4 Depth=1
	v_lshlrev_b64 v[2:3], 2, v[18:19]
	v_add_co_u32_e32 v0, vcc, v0, v2
	v_addc_co_u32_e32 v1, vcc, v1, v3, vcc
	global_load_dword v2, v[0:1], off
	s_waitcnt vmcnt(0)
	v_fmac_f32_e32 v2, s33, v21
	global_store_dword v[0:1], v2, off
	s_branch .LBB14_3
.LBB14_63:
	s_endpgm
	.section	.rodata,"a",@progbits
	.p2align	6, 0x0
	.amdhsa_kernel _ZL30rocblas_trmm_outofplace_kernelIfLi32ELi2ELb0ELb1ELb0ELb0EPKfS0_fEv17rocblas_diagonal_iiT6_lPT7_lllS5_lllPT8_llli
		.amdhsa_group_segment_fixed_size 8192
		.amdhsa_private_segment_fixed_size 0
		.amdhsa_kernarg_size 392
		.amdhsa_user_sgpr_count 6
		.amdhsa_user_sgpr_private_segment_buffer 1
		.amdhsa_user_sgpr_dispatch_ptr 0
		.amdhsa_user_sgpr_queue_ptr 0
		.amdhsa_user_sgpr_kernarg_segment_ptr 1
		.amdhsa_user_sgpr_dispatch_id 0
		.amdhsa_user_sgpr_flat_scratch_init 0
		.amdhsa_user_sgpr_kernarg_preload_length 0
		.amdhsa_user_sgpr_kernarg_preload_offset 0
		.amdhsa_user_sgpr_private_segment_size 0
		.amdhsa_uses_dynamic_stack 0
		.amdhsa_system_sgpr_private_segment_wavefront_offset 0
		.amdhsa_system_sgpr_workgroup_id_x 1
		.amdhsa_system_sgpr_workgroup_id_y 1
		.amdhsa_system_sgpr_workgroup_id_z 1
		.amdhsa_system_sgpr_workgroup_info 0
		.amdhsa_system_vgpr_workitem_id 1
		.amdhsa_next_free_vgpr 64
		.amdhsa_next_free_sgpr 54
		.amdhsa_accum_offset 64
		.amdhsa_reserve_vcc 1
		.amdhsa_reserve_flat_scratch 0
		.amdhsa_float_round_mode_32 0
		.amdhsa_float_round_mode_16_64 0
		.amdhsa_float_denorm_mode_32 3
		.amdhsa_float_denorm_mode_16_64 3
		.amdhsa_dx10_clamp 1
		.amdhsa_ieee_mode 1
		.amdhsa_fp16_overflow 0
		.amdhsa_tg_split 0
		.amdhsa_exception_fp_ieee_invalid_op 0
		.amdhsa_exception_fp_denorm_src 0
		.amdhsa_exception_fp_ieee_div_zero 0
		.amdhsa_exception_fp_ieee_overflow 0
		.amdhsa_exception_fp_ieee_underflow 0
		.amdhsa_exception_fp_ieee_inexact 0
		.amdhsa_exception_int_div_zero 0
	.end_amdhsa_kernel
	.section	.text._ZL30rocblas_trmm_outofplace_kernelIfLi32ELi2ELb0ELb1ELb0ELb0EPKfS0_fEv17rocblas_diagonal_iiT6_lPT7_lllS5_lllPT8_llli,"axG",@progbits,_ZL30rocblas_trmm_outofplace_kernelIfLi32ELi2ELb0ELb1ELb0ELb0EPKfS0_fEv17rocblas_diagonal_iiT6_lPT7_lllS5_lllPT8_llli,comdat
.Lfunc_end14:
	.size	_ZL30rocblas_trmm_outofplace_kernelIfLi32ELi2ELb0ELb1ELb0ELb0EPKfS0_fEv17rocblas_diagonal_iiT6_lPT7_lllS5_lllPT8_llli, .Lfunc_end14-_ZL30rocblas_trmm_outofplace_kernelIfLi32ELi2ELb0ELb1ELb0ELb0EPKfS0_fEv17rocblas_diagonal_iiT6_lPT7_lllS5_lllPT8_llli
                                        ; -- End function
	.section	.AMDGPU.csdata,"",@progbits
; Kernel info:
; codeLenInByte = 3092
; NumSgprs: 58
; NumVgprs: 64
; NumAgprs: 0
; TotalNumVgprs: 64
; ScratchSize: 0
; MemoryBound: 0
; FloatMode: 240
; IeeeMode: 1
; LDSByteSize: 8192 bytes/workgroup (compile time only)
; SGPRBlocks: 7
; VGPRBlocks: 7
; NumSGPRsForWavesPerEU: 58
; NumVGPRsForWavesPerEU: 64
; AccumOffset: 64
; Occupancy: 8
; WaveLimiterHint : 0
; COMPUTE_PGM_RSRC2:SCRATCH_EN: 0
; COMPUTE_PGM_RSRC2:USER_SGPR: 6
; COMPUTE_PGM_RSRC2:TRAP_HANDLER: 0
; COMPUTE_PGM_RSRC2:TGID_X_EN: 1
; COMPUTE_PGM_RSRC2:TGID_Y_EN: 1
; COMPUTE_PGM_RSRC2:TGID_Z_EN: 1
; COMPUTE_PGM_RSRC2:TIDIG_COMP_CNT: 1
; COMPUTE_PGM_RSRC3_GFX90A:ACCUM_OFFSET: 15
; COMPUTE_PGM_RSRC3_GFX90A:TG_SPLIT: 0
	.section	.text._ZL30rocblas_trmm_outofplace_kernelIfLi32ELi2ELb0ELb1ELb0ELb0EfKffEv17rocblas_diagonal_iiT6_lPT7_lllS4_lllPT8_llli,"axG",@progbits,_ZL30rocblas_trmm_outofplace_kernelIfLi32ELi2ELb0ELb1ELb0ELb0EfKffEv17rocblas_diagonal_iiT6_lPT7_lllS4_lllPT8_llli,comdat
	.globl	_ZL30rocblas_trmm_outofplace_kernelIfLi32ELi2ELb0ELb1ELb0ELb0EfKffEv17rocblas_diagonal_iiT6_lPT7_lllS4_lllPT8_llli ; -- Begin function _ZL30rocblas_trmm_outofplace_kernelIfLi32ELi2ELb0ELb1ELb0ELb0EfKffEv17rocblas_diagonal_iiT6_lPT7_lllS4_lllPT8_llli
	.p2align	8
	.type	_ZL30rocblas_trmm_outofplace_kernelIfLi32ELi2ELb0ELb1ELb0ELb0EfKffEv17rocblas_diagonal_iiT6_lPT7_lllS4_lllPT8_llli,@function
_ZL30rocblas_trmm_outofplace_kernelIfLi32ELi2ELb0ELb1ELb0ELb0EfKffEv17rocblas_diagonal_iiT6_lPT7_lllS4_lllPT8_llli: ; @_ZL30rocblas_trmm_outofplace_kernelIfLi32ELi2ELb0ELb1ELb0ELb0EfKffEv17rocblas_diagonal_iiT6_lPT7_lllS4_lllPT8_llli
; %bb.0:
	s_load_dwordx4 s[24:27], s[4:5], 0x0
	s_waitcnt lgkmcnt(0)
	v_cmp_eq_f32_e64 s[0:1], s27, 0
	s_and_b64 vcc, exec, s[0:1]
	s_cbranch_vccnz .LBB15_63
; %bb.1:
	s_add_i32 s0, s26, -1
	s_ashr_i32 s1, s0, 31
	s_lshr_b32 s1, s1, 27
	s_add_i32 s0, s0, s1
	s_ashr_i32 s33, s0, 5
	s_cmp_gt_i32 s7, s33
	s_cbranch_scc1 .LBB15_63
; %bb.2:
	s_load_dwordx8 s[16:23], s[4:5], 0x58
	s_load_dwordx16 s[36:51], s[4:5], 0x18
	v_and_b32_e32 v14, 0x3ff, v0
	v_bfe_u32 v12, v0, 10, 10
	v_lshl_add_u32 v0, s6, 5, v14
	s_waitcnt lgkmcnt(0)
	s_mul_i32 s1, s8, s23
	s_mul_hi_u32 s2, s8, s22
	s_mul_i32 s0, s8, s22
	s_add_i32 s1, s2, s1
	s_lshl_b64 s[0:1], s[0:1], 2
	s_add_u32 s2, s16, s0
	s_addc_u32 s3, s17, s1
	s_lshl_b64 s[0:1], s[18:19], 2
	s_add_u32 s52, s2, s0
	s_addc_u32 s53, s3, s1
	s_cmpk_eq_i32 s24, 0x84
	s_cselect_b64 s[22:23], -1, 0
	s_ashr_i32 s0, s25, 31
	v_ashrrev_i32_e32 v1, 31, v0
	v_mov_b32_e32 v3, s0
	v_sub_co_u32_e32 v2, vcc, s25, v0
	v_subb_co_u32_e32 v3, vcc, v3, v1, vcc
	s_load_dword s6, s[4:5], 0x84
	v_cmp_gt_i64_e64 s[0:1], 1, v[2:3]
	v_cmp_gt_i64_e64 s[2:3], 17, v[2:3]
	v_mad_u64_u32 v[2:3], s[10:11], s48, v12, 0
	v_sub_co_u32_e32 v49, vcc, 0, v14
	v_mov_b32_e32 v4, v3
	s_ashr_i32 s29, s26, 31
	s_lshl_b64 s[30:31], s[48:49], 7
	v_subb_co_u32_e64 v50, s[10:11], 0, 0, vcc
	v_mad_u64_u32 v[4:5], s[10:11], s49, v12, v[4:5]
	s_add_u32 s34, s26, -16
	s_mul_i32 s9, s51, s8
	s_mul_hi_u32 s10, s50, s8
	s_addc_u32 s35, s29, -1
	s_add_i32 s11, s10, s9
	s_mul_i32 s10, s50, s8
	s_waitcnt lgkmcnt(0)
	s_lshl_b32 s54, s6, 5
	s_lshl_b64 s[10:11], s[10:11], 2
	s_lshl_b64 s[12:13], s[46:47], 2
	s_add_u32 s9, s10, s12
	s_addc_u32 s10, s11, s13
	s_add_u32 s9, s44, s9
	v_lshlrev_b64 v[24:25], 2, v[0:1]
	s_addc_u32 s10, s45, s10
	v_cmp_gt_i32_e64 s[4:5], s25, v0
	v_add_u32_e32 v18, 16, v0
	v_mov_b32_e32 v0, s10
	v_add_co_u32_e32 v1, vcc, s9, v24
	s_mul_i32 s9, s43, s8
	s_mul_hi_u32 s10, s42, s8
	s_add_i32 s9, s10, s9
	s_mul_i32 s8, s42, s8
	s_lshl_b64 s[8:9], s[8:9], 2
	s_lshl_b64 s[10:11], s[38:39], 2
	s_add_u32 s8, s8, s10
	v_addc_co_u32_e32 v0, vcc, v0, v25, vcc
	s_addc_u32 s9, s9, s11
	v_add_co_u32_e32 v26, vcc, 64, v1
	s_add_u32 s24, s36, s8
	v_lshl_add_u32 v1, v12, 2, 64
	v_cmp_gt_i32_e64 s[16:17], s25, v18
	s_addc_u32 s25, s37, s9
	v_mad_u64_u32 v[28:29], s[8:9], s48, v1, 0
	v_lshlrev_b32_e32 v16, 2, v14
	v_addc_co_u32_e32 v27, vcc, 0, v0, vcc
	v_mov_b32_e32 v0, v29
	v_lshlrev_b32_e32 v17, 7, v12
	v_or_b32_e32 v47, 0x1000, v16
	v_mov_b32_e32 v3, v4
	v_mad_u64_u32 v[0:1], s[8:9], s49, v1, v[0:1]
	v_mov_b32_e32 v15, 0
	s_mov_b32 s28, s26
	v_add_u32_e32 v46, v17, v16
	v_add_u32_e32 v48, v47, v17
	v_ashrrev_i32_e32 v19, 31, v18
	v_lshl_add_u32 v20, s7, 5, v12
	v_lshlrev_b64 v[22:23], 2, v[2:3]
	s_lshl_b64 s[36:37], s[40:41], 2
	v_mov_b32_e32 v13, v0
	v_mov_b32_e32 v29, 1.0
	s_branch .LBB15_4
.LBB15_3:                               ;   in Loop: Header=BB15_4 Depth=1
	s_or_b64 exec, exec, s[8:9]
	s_add_i32 s7, s6, s7
	s_cmp_le_i32 s7, s33
	v_add_u32_e32 v20, s54, v20
	s_cbranch_scc0 .LBB15_63
.LBB15_4:                               ; =>This Loop Header: Depth=1
                                        ;     Child Loop BB15_7 Depth 2
	s_lshl_b32 s48, s7, 5
	v_add_u32_e32 v30, s48, v12
	v_ashrrev_i32_e32 v31, 31, v30
	s_cmp_lt_i32 s7, 0
	v_mov_b32_e32 v53, 0
	v_mov_b32_e32 v52, 0
	;; [unrolled: 1-line block ×4, first 2 shown]
	s_cbranch_scc1 .LBB15_55
; %bb.5:                                ;   in Loop: Header=BB15_4 Depth=1
	v_ashrrev_i32_e32 v21, 31, v20
	v_pk_mov_b32 v[0:1], s[24:25], s[24:25] op_sel:[0,1]
	v_add_co_u32_e32 v32, vcc, v49, v20
	v_mad_u64_u32 v[34:35], s[8:9], s36, v20, v[0:1]
	v_mul_lo_u32 v2, s37, v20
	v_mul_lo_u32 v3, s36, v21
	v_addc_co_u32_e32 v33, vcc, v50, v21, vcc
	v_add3_u32 v35, v2, v35, v3
	v_lshlrev_b64 v[2:3], 2, v[20:21]
	v_add_co_u32_e32 v2, vcc, 64, v2
	v_addc_co_u32_e32 v3, vcc, 0, v3, vcc
	v_add_co_u32_e32 v38, vcc, 16, v30
	v_addc_co_u32_e32 v39, vcc, 0, v31, vcc
	;; [unrolled: 2-line block ×3, first 2 shown]
	v_mul_lo_u32 v3, s40, v3
	v_mul_lo_u32 v4, s41, v2
	v_mad_u64_u32 v[36:37], s[8:9], s40, v2, v[0:1]
	v_add_co_u32_e32 v42, vcc, -16, v32
	v_add3_u32 v37, v4, v37, v3
	v_cmp_le_i32_e64 s[8:9], s26, v30
	v_cmp_le_i64_e64 s[10:11], s[28:29], v[38:39]
	v_addc_co_u32_e32 v43, vcc, -1, v33, vcc
	s_mov_b64 s[38:39], 0
	v_mov_b32_e32 v21, 0
	v_pk_mov_b32 v[44:45], v[26:27], v[26:27] op_sel:[0,1]
	v_mov_b32_e32 v51, 0
	v_mov_b32_e32 v52, 0
	;; [unrolled: 1-line block ×3, first 2 shown]
	s_branch .LBB15_7
.LBB15_6:                               ;   in Loop: Header=BB15_7 Depth=2
	s_or_b64 exec, exec, s[12:13]
	s_waitcnt lgkmcnt(0)
	s_barrier
	ds_read_b128 v[54:57], v17
	ds_read_b128 v[8:11], v17 offset:16
	ds_read_b128 v[4:7], v17 offset:32
	;; [unrolled: 1-line block ×3, first 2 shown]
	ds_read2_b32 v[62:63], v47 offset1:16
	ds_read_b128 v[58:61], v17 offset:2048
	v_add_co_u32_e32 v44, vcc, s30, v44
	s_add_u32 s38, s38, 32
	s_waitcnt lgkmcnt(1)
	v_fmac_f32_e32 v53, v62, v54
	v_fmac_f32_e32 v52, v63, v54
	s_waitcnt lgkmcnt(0)
	v_fmac_f32_e32 v51, v62, v58
	v_fmac_f32_e32 v21, v63, v58
	ds_read2_b32 v[62:63], v47 offset0:32 offset1:48
	s_addc_u32 s39, s39, 0
	s_sub_i32 s12, s38, 32
	s_cmp_ge_i32 s12, s48
	s_waitcnt lgkmcnt(0)
	v_fmac_f32_e32 v53, v62, v55
	v_fmac_f32_e32 v52, v63, v55
	ds_read2_b32 v[54:55], v47 offset0:64 offset1:80
	v_fmac_f32_e32 v51, v62, v59
	v_fmac_f32_e32 v21, v63, v59
	ds_read2_b32 v[58:59], v47 offset0:128 offset1:144
	s_waitcnt lgkmcnt(1)
	v_fmac_f32_e32 v53, v54, v56
	v_fmac_f32_e32 v52, v55, v56
	;; [unrolled: 1-line block ×4, first 2 shown]
	ds_read2_b32 v[54:55], v47 offset0:96 offset1:112
	s_waitcnt lgkmcnt(0)
	v_fmac_f32_e32 v53, v54, v57
	v_fmac_f32_e32 v52, v55, v57
	;; [unrolled: 1-line block ×4, first 2 shown]
	ds_read_b128 v[54:57], v17 offset:2064
	v_fmac_f32_e32 v53, v58, v8
	v_fmac_f32_e32 v52, v59, v8
	s_waitcnt lgkmcnt(0)
	v_fmac_f32_e32 v51, v58, v54
	v_fmac_f32_e32 v21, v59, v54
	ds_read2_b32 v[58:59], v47 offset0:160 offset1:176
	s_waitcnt lgkmcnt(0)
	v_fmac_f32_e32 v53, v58, v9
	v_fmac_f32_e32 v52, v59, v9
	ds_read2_b32 v[8:9], v47 offset0:192 offset1:208
	v_fmac_f32_e32 v51, v58, v55
	v_fmac_f32_e32 v21, v59, v55
	s_waitcnt lgkmcnt(0)
	v_fmac_f32_e32 v53, v8, v10
	v_fmac_f32_e32 v52, v9, v10
	v_fmac_f32_e32 v51, v8, v56
	v_fmac_f32_e32 v21, v9, v56
	ds_read2_b32 v[8:9], v47 offset0:224 offset1:240
	v_add_u32_e32 v56, 0x400, v47
	ds_read2_b32 v[54:55], v56 offset1:16
	s_waitcnt lgkmcnt(1)
	v_fmac_f32_e32 v53, v8, v11
	v_fmac_f32_e32 v52, v9, v11
	;; [unrolled: 1-line block ×4, first 2 shown]
	ds_read_b128 v[8:11], v17 offset:2080
	s_waitcnt lgkmcnt(1)
	v_fmac_f32_e32 v53, v54, v4
	v_fmac_f32_e32 v52, v55, v4
	s_waitcnt lgkmcnt(0)
	v_fmac_f32_e32 v51, v54, v8
	v_fmac_f32_e32 v21, v55, v8
	ds_read2_b32 v[54:55], v56 offset0:32 offset1:48
	s_waitcnt lgkmcnt(0)
	v_fmac_f32_e32 v53, v54, v5
	v_fmac_f32_e32 v52, v55, v5
	ds_read2_b32 v[4:5], v56 offset0:64 offset1:80
	v_fmac_f32_e32 v51, v54, v9
	v_fmac_f32_e32 v21, v55, v9
	ds_read2_b32 v[8:9], v56 offset0:128 offset1:144
	s_waitcnt lgkmcnt(1)
	v_fmac_f32_e32 v53, v4, v6
	v_fmac_f32_e32 v52, v5, v6
	;; [unrolled: 1-line block ×4, first 2 shown]
	ds_read2_b32 v[4:5], v56 offset0:96 offset1:112
	v_add_u32_e32 v10, 0x800, v47
	s_waitcnt lgkmcnt(0)
	v_fmac_f32_e32 v53, v4, v7
	v_fmac_f32_e32 v52, v5, v7
	;; [unrolled: 1-line block ×4, first 2 shown]
	ds_read_b128 v[4:7], v17 offset:2096
	v_fmac_f32_e32 v53, v8, v0
	v_fmac_f32_e32 v52, v9, v0
	s_waitcnt lgkmcnt(0)
	v_fmac_f32_e32 v51, v8, v4
	v_fmac_f32_e32 v21, v9, v4
	ds_read2_b32 v[8:9], v56 offset0:160 offset1:176
	s_waitcnt lgkmcnt(0)
	v_fmac_f32_e32 v53, v8, v1
	v_fmac_f32_e32 v52, v9, v1
	ds_read2_b32 v[0:1], v56 offset0:192 offset1:208
	v_fmac_f32_e32 v51, v8, v5
	v_fmac_f32_e32 v21, v9, v5
	ds_read2_b32 v[8:9], v10 offset1:16
	s_waitcnt lgkmcnt(1)
	v_fmac_f32_e32 v53, v0, v2
	v_fmac_f32_e32 v52, v1, v2
	;; [unrolled: 1-line block ×4, first 2 shown]
	ds_read2_b32 v[0:1], v56 offset0:224 offset1:240
	s_waitcnt lgkmcnt(0)
	v_fmac_f32_e32 v53, v0, v3
	v_fmac_f32_e32 v52, v1, v3
	;; [unrolled: 1-line block ×4, first 2 shown]
	ds_read_b128 v[0:3], v17 offset:64
	ds_read_b128 v[4:7], v17 offset:2112
	s_waitcnt lgkmcnt(1)
	v_fmac_f32_e32 v53, v8, v0
	v_fmac_f32_e32 v52, v9, v0
	s_waitcnt lgkmcnt(0)
	v_fmac_f32_e32 v51, v8, v4
	v_fmac_f32_e32 v21, v9, v4
	ds_read2_b32 v[8:9], v10 offset0:32 offset1:48
	s_waitcnt lgkmcnt(0)
	v_fmac_f32_e32 v53, v8, v1
	v_fmac_f32_e32 v52, v9, v1
	ds_read2_b32 v[0:1], v10 offset0:64 offset1:80
	v_fmac_f32_e32 v51, v8, v5
	v_fmac_f32_e32 v21, v9, v5
	s_waitcnt lgkmcnt(0)
	v_fmac_f32_e32 v53, v0, v2
	v_fmac_f32_e32 v52, v1, v2
	;; [unrolled: 1-line block ×4, first 2 shown]
	ds_read2_b32 v[0:1], v10 offset0:96 offset1:112
	s_waitcnt lgkmcnt(0)
	v_fmac_f32_e32 v53, v0, v3
	v_fmac_f32_e32 v52, v1, v3
	;; [unrolled: 1-line block ×4, first 2 shown]
	ds_read_b128 v[0:3], v17 offset:80
	ds_read2_b32 v[8:9], v10 offset0:128 offset1:144
	ds_read_b128 v[4:7], v17 offset:2128
	s_waitcnt lgkmcnt(1)
	v_fmac_f32_e32 v53, v8, v0
	v_fmac_f32_e32 v52, v9, v0
	s_waitcnt lgkmcnt(0)
	v_fmac_f32_e32 v51, v8, v4
	v_fmac_f32_e32 v21, v9, v4
	ds_read2_b32 v[8:9], v10 offset0:160 offset1:176
	s_waitcnt lgkmcnt(0)
	v_fmac_f32_e32 v53, v8, v1
	v_fmac_f32_e32 v52, v9, v1
	ds_read2_b32 v[0:1], v10 offset0:192 offset1:208
	v_fmac_f32_e32 v51, v8, v5
	v_fmac_f32_e32 v21, v9, v5
	s_waitcnt lgkmcnt(0)
	v_fmac_f32_e32 v53, v0, v2
	v_fmac_f32_e32 v52, v1, v2
	;; [unrolled: 1-line block ×4, first 2 shown]
	ds_read2_b32 v[0:1], v10 offset0:224 offset1:240
	v_add_u32_e32 v10, 0xc00, v47
	ds_read2_b32 v[8:9], v10 offset1:16
	s_waitcnt lgkmcnt(1)
	v_fmac_f32_e32 v53, v0, v3
	v_fmac_f32_e32 v52, v1, v3
	;; [unrolled: 1-line block ×4, first 2 shown]
	ds_read_b128 v[0:3], v17 offset:96
	ds_read_b128 v[4:7], v17 offset:2144
	s_waitcnt lgkmcnt(1)
	v_fmac_f32_e32 v53, v8, v0
	v_fmac_f32_e32 v52, v9, v0
	s_waitcnt lgkmcnt(0)
	v_fmac_f32_e32 v51, v8, v4
	v_fmac_f32_e32 v21, v9, v4
	ds_read2_b32 v[8:9], v10 offset0:32 offset1:48
	s_waitcnt lgkmcnt(0)
	v_fmac_f32_e32 v53, v8, v1
	v_fmac_f32_e32 v52, v9, v1
	ds_read2_b32 v[0:1], v10 offset0:64 offset1:80
	v_fmac_f32_e32 v51, v8, v5
	v_fmac_f32_e32 v21, v9, v5
	s_waitcnt lgkmcnt(0)
	v_fmac_f32_e32 v53, v0, v2
	v_fmac_f32_e32 v52, v1, v2
	;; [unrolled: 1-line block ×4, first 2 shown]
	ds_read2_b32 v[0:1], v10 offset0:96 offset1:112
	s_waitcnt lgkmcnt(0)
	v_fmac_f32_e32 v53, v0, v3
	v_fmac_f32_e32 v52, v1, v3
	v_fmac_f32_e32 v51, v0, v7
	v_fmac_f32_e32 v21, v1, v7
	ds_read_b128 v[0:3], v17 offset:112
	ds_read2_b32 v[8:9], v10 offset0:128 offset1:144
	ds_read_b128 v[4:7], v17 offset:2160
	s_waitcnt lgkmcnt(1)
	v_fmac_f32_e32 v53, v8, v0
	v_fmac_f32_e32 v52, v9, v0
	s_waitcnt lgkmcnt(0)
	v_fmac_f32_e32 v51, v8, v4
	v_fmac_f32_e32 v21, v9, v4
	ds_read2_b32 v[8:9], v10 offset0:160 offset1:176
	s_waitcnt lgkmcnt(0)
	v_fmac_f32_e32 v53, v8, v1
	v_fmac_f32_e32 v52, v9, v1
	ds_read2_b32 v[0:1], v10 offset0:192 offset1:208
	v_fmac_f32_e32 v51, v8, v5
	v_fmac_f32_e32 v21, v9, v5
	s_waitcnt lgkmcnt(0)
	v_fmac_f32_e32 v53, v0, v2
	v_fmac_f32_e32 v52, v1, v2
	;; [unrolled: 1-line block ×4, first 2 shown]
	ds_read2_b32 v[0:1], v10 offset0:224 offset1:240
	s_waitcnt lgkmcnt(0)
	s_barrier
	v_fmac_f32_e32 v53, v0, v3
	v_fmac_f32_e32 v51, v0, v7
	v_mov_b32_e32 v0, s31
	v_addc_co_u32_e32 v45, vcc, v45, v0, vcc
	v_add_co_u32_e32 v34, vcc, 0x80, v34
	v_addc_co_u32_e32 v35, vcc, 0, v35, vcc
	v_add_co_u32_e32 v36, vcc, 0x80, v36
	v_fmac_f32_e32 v52, v1, v3
	v_fmac_f32_e32 v21, v1, v7
	v_addc_co_u32_e32 v37, vcc, 0, v37, vcc
	s_cbranch_scc1 .LBB15_55
.LBB15_7:                               ;   Parent Loop BB15_4 Depth=1
                                        ; =>  This Inner Loop Header: Depth=2
	v_mov_b32_e32 v1, s39
	v_add_co_u32_e32 v0, vcc, s38, v14
	v_addc_co_u32_e32 v1, vcc, 0, v1, vcc
	v_add_co_u32_e32 v2, vcc, v34, v16
	v_addc_co_u32_e32 v3, vcc, 0, v35, vcc
	v_cmp_eq_u64_e32 vcc, s[38:39], v[32:33]
	s_and_b64 s[44:45], s[22:23], vcc
	v_cmp_gt_i64_e32 vcc, v[0:1], v[30:31]
	s_or_b64 s[14:15], s[8:9], vcc
	v_cmp_le_i64_e64 s[12:13], s[28:29], v[0:1]
	s_or_b64 s[14:15], s[14:15], s[44:45]
	s_or_b64 s[14:15], s[12:13], s[14:15]
	s_xor_b64 s[14:15], s[14:15], -1
	s_and_saveexec_b64 s[18:19], s[14:15]
	s_xor_b64 s[14:15], exec, s[18:19]
	s_cbranch_execz .LBB15_9
; %bb.8:                                ;   in Loop: Header=BB15_7 Depth=2
	global_load_dword v4, v[2:3], off
	s_waitcnt vmcnt(0)
	ds_write_b32 v46, v4
.LBB15_9:                               ;   in Loop: Header=BB15_7 Depth=2
	s_or_saveexec_b64 s[14:15], s[14:15]
	s_xor_b64 s[42:43], s[44:45], -1
	s_xor_b64 exec, exec, s[14:15]
	s_cbranch_execz .LBB15_15
; %bb.10:                               ;   in Loop: Header=BB15_7 Depth=2
	s_and_saveexec_b64 s[18:19], s[42:43]
	s_xor_b64 s[18:19], exec, s[18:19]
	s_cbranch_execz .LBB15_12
; %bb.11:                               ;   in Loop: Header=BB15_7 Depth=2
	ds_write_b32 v46, v15
.LBB15_12:                              ;   in Loop: Header=BB15_7 Depth=2
	s_andn2_saveexec_b64 s[18:19], s[18:19]
	s_cbranch_execz .LBB15_14
; %bb.13:                               ;   in Loop: Header=BB15_7 Depth=2
	ds_write_b32 v46, v29
.LBB15_14:                              ;   in Loop: Header=BB15_7 Depth=2
	s_or_b64 exec, exec, s[18:19]
.LBB15_15:                              ;   in Loop: Header=BB15_7 Depth=2
	s_or_b64 exec, exec, s[14:15]
	v_add_co_u32_e64 v4, s[14:15], 16, v0
	v_addc_co_u32_e64 v5, s[14:15], 0, v1, s[14:15]
	v_cmp_eq_u64_e64 s[14:15], s[38:39], v[42:43]
	v_cmp_gt_i64_e64 s[18:19], v[4:5], v[30:31]
	s_and_b64 s[46:47], s[22:23], s[14:15]
	s_or_b64 s[18:19], s[8:9], s[18:19]
	v_cmp_le_i64_e64 s[14:15], s[28:29], v[4:5]
	s_or_b64 s[18:19], s[18:19], s[46:47]
	s_or_b64 s[18:19], s[14:15], s[18:19]
	s_xor_b64 s[18:19], s[18:19], -1
	s_and_saveexec_b64 s[50:51], s[18:19]
	s_xor_b64 s[18:19], exec, s[50:51]
	s_cbranch_execz .LBB15_17
; %bb.16:                               ;   in Loop: Header=BB15_7 Depth=2
	global_load_dword v2, v[2:3], off offset:64
	s_waitcnt vmcnt(0)
	ds_write_b32 v46, v2 offset:64
.LBB15_17:                              ;   in Loop: Header=BB15_7 Depth=2
	s_andn2_saveexec_b64 s[18:19], s[18:19]
	s_cbranch_execz .LBB15_23
; %bb.18:                               ;   in Loop: Header=BB15_7 Depth=2
	s_xor_b64 s[46:47], s[46:47], -1
	s_and_saveexec_b64 s[50:51], s[46:47]
	s_xor_b64 s[46:47], exec, s[50:51]
	s_cbranch_execz .LBB15_20
; %bb.19:                               ;   in Loop: Header=BB15_7 Depth=2
	ds_write_b32 v46, v15 offset:64
.LBB15_20:                              ;   in Loop: Header=BB15_7 Depth=2
	s_andn2_saveexec_b64 s[46:47], s[46:47]
	s_cbranch_execz .LBB15_22
; %bb.21:                               ;   in Loop: Header=BB15_7 Depth=2
	ds_write_b32 v46, v29 offset:64
.LBB15_22:                              ;   in Loop: Header=BB15_7 Depth=2
	s_or_b64 exec, exec, s[46:47]
.LBB15_23:                              ;   in Loop: Header=BB15_7 Depth=2
	s_or_b64 exec, exec, s[18:19]
	v_cmp_eq_u64_e64 s[18:19], s[38:39], v[40:41]
	s_and_b64 s[46:47], s[22:23], s[18:19]
	v_cmp_gt_i64_e64 s[18:19], v[0:1], v[38:39]
	s_or_b64 s[18:19], s[10:11], s[18:19]
	s_or_b64 s[18:19], s[18:19], s[46:47]
	;; [unrolled: 1-line block ×3, first 2 shown]
	s_xor_b64 s[12:13], s[12:13], -1
	s_and_saveexec_b64 s[18:19], s[12:13]
	s_xor_b64 s[18:19], exec, s[18:19]
	s_cbranch_execz .LBB15_25
; %bb.24:                               ;   in Loop: Header=BB15_7 Depth=2
	v_add_co_u32_e64 v0, s[12:13], v36, v16
	v_addc_co_u32_e64 v1, s[12:13], 0, v37, s[12:13]
	global_load_dword v0, v[0:1], off
	s_waitcnt vmcnt(0)
	ds_write_b32 v46, v0 offset:2048
.LBB15_25:                              ;   in Loop: Header=BB15_7 Depth=2
	s_andn2_saveexec_b64 s[12:13], s[18:19]
	s_cbranch_execz .LBB15_31
; %bb.26:                               ;   in Loop: Header=BB15_7 Depth=2
	s_xor_b64 s[18:19], s[46:47], -1
	s_and_saveexec_b64 s[46:47], s[18:19]
	s_xor_b64 s[18:19], exec, s[46:47]
	s_cbranch_execz .LBB15_28
; %bb.27:                               ;   in Loop: Header=BB15_7 Depth=2
	ds_write_b32 v46, v15 offset:2048
.LBB15_28:                              ;   in Loop: Header=BB15_7 Depth=2
	s_andn2_saveexec_b64 s[18:19], s[18:19]
	s_cbranch_execz .LBB15_30
; %bb.29:                               ;   in Loop: Header=BB15_7 Depth=2
	ds_write_b32 v46, v29 offset:2048
.LBB15_30:                              ;   in Loop: Header=BB15_7 Depth=2
	s_or_b64 exec, exec, s[18:19]
.LBB15_31:                              ;   in Loop: Header=BB15_7 Depth=2
	s_or_b64 exec, exec, s[12:13]
	s_or_b64 s[12:13], s[10:11], vcc
	s_or_b64 s[12:13], s[12:13], s[44:45]
	s_or_b64 s[12:13], s[14:15], s[12:13]
	s_xor_b64 s[12:13], s[12:13], -1
	s_and_saveexec_b64 s[14:15], s[12:13]
	s_xor_b64 s[12:13], exec, s[14:15]
	s_cbranch_execz .LBB15_33
; %bb.32:                               ;   in Loop: Header=BB15_7 Depth=2
	v_add_co_u32_e32 v0, vcc, v36, v16
	v_addc_co_u32_e32 v1, vcc, 0, v37, vcc
	global_load_dword v0, v[0:1], off offset:64
	s_waitcnt vmcnt(0)
	ds_write_b32 v46, v0 offset:2112
.LBB15_33:                              ;   in Loop: Header=BB15_7 Depth=2
	s_andn2_saveexec_b64 s[12:13], s[12:13]
	s_cbranch_execz .LBB15_39
; %bb.34:                               ;   in Loop: Header=BB15_7 Depth=2
	s_and_saveexec_b64 s[14:15], s[42:43]
	s_xor_b64 s[14:15], exec, s[14:15]
	s_cbranch_execz .LBB15_36
; %bb.35:                               ;   in Loop: Header=BB15_7 Depth=2
	ds_write_b32 v46, v15 offset:2112
.LBB15_36:                              ;   in Loop: Header=BB15_7 Depth=2
	s_andn2_saveexec_b64 s[14:15], s[14:15]
	s_cbranch_execz .LBB15_38
; %bb.37:                               ;   in Loop: Header=BB15_7 Depth=2
	ds_write_b32 v46, v29 offset:2112
.LBB15_38:                              ;   in Loop: Header=BB15_7 Depth=2
	s_or_b64 exec, exec, s[14:15]
.LBB15_39:                              ;   in Loop: Header=BB15_7 Depth=2
	s_or_b64 exec, exec, s[12:13]
	v_mov_b32_e32 v1, s39
	v_add_co_u32_e32 v0, vcc, s38, v12
	v_addc_co_u32_e32 v1, vcc, 0, v1, vcc
	v_add_co_u32_e32 v2, vcc, v44, v22
	v_addc_co_u32_e32 v3, vcc, v45, v23, vcc
	v_cmp_le_i64_e32 vcc, s[28:29], v[0:1]
	s_or_b64 s[12:13], vcc, s[0:1]
	s_xor_b64 s[12:13], s[12:13], -1
	s_and_saveexec_b64 s[14:15], s[12:13]
	s_xor_b64 s[12:13], exec, s[14:15]
	s_cbranch_execz .LBB15_41
; %bb.40:                               ;   in Loop: Header=BB15_7 Depth=2
	global_load_dword v4, v[2:3], off offset:-64
	s_waitcnt vmcnt(0)
	ds_write_b32 v48, v4
.LBB15_41:                              ;   in Loop: Header=BB15_7 Depth=2
	s_andn2_saveexec_b64 s[12:13], s[12:13]
	s_cbranch_execz .LBB15_43
; %bb.42:                               ;   in Loop: Header=BB15_7 Depth=2
	ds_write_b32 v48, v15
.LBB15_43:                              ;   in Loop: Header=BB15_7 Depth=2
	s_or_b64 exec, exec, s[12:13]
	s_or_b64 s[12:13], vcc, s[2:3]
	s_xor_b64 s[12:13], s[12:13], -1
	s_and_saveexec_b64 s[14:15], s[12:13]
	s_xor_b64 s[12:13], exec, s[14:15]
	s_cbranch_execz .LBB15_45
; %bb.44:                               ;   in Loop: Header=BB15_7 Depth=2
	global_load_dword v2, v[2:3], off
	s_waitcnt vmcnt(0)
	ds_write_b32 v48, v2 offset:64
.LBB15_45:                              ;   in Loop: Header=BB15_7 Depth=2
	s_andn2_saveexec_b64 s[12:13], s[12:13]
	s_cbranch_execz .LBB15_47
; %bb.46:                               ;   in Loop: Header=BB15_7 Depth=2
	ds_write_b32 v48, v15 offset:64
.LBB15_47:                              ;   in Loop: Header=BB15_7 Depth=2
	s_or_b64 exec, exec, s[12:13]
	v_cmp_le_i64_e32 vcc, s[34:35], v[0:1]
	s_or_b64 s[12:13], vcc, s[0:1]
	s_xor_b64 s[12:13], s[12:13], -1
	s_and_saveexec_b64 s[14:15], s[12:13]
	s_xor_b64 s[14:15], exec, s[14:15]
	s_cbranch_execz .LBB15_49
; %bb.48:                               ;   in Loop: Header=BB15_7 Depth=2
	v_add_co_u32_e64 v0, s[12:13], v44, v28
	v_addc_co_u32_e64 v1, s[12:13], v45, v13, s[12:13]
	global_load_dword v0, v[0:1], off offset:-64
	s_waitcnt vmcnt(0)
	ds_write_b32 v48, v0 offset:2048
.LBB15_49:                              ;   in Loop: Header=BB15_7 Depth=2
	s_andn2_saveexec_b64 s[12:13], s[14:15]
	s_cbranch_execz .LBB15_51
; %bb.50:                               ;   in Loop: Header=BB15_7 Depth=2
	ds_write_b32 v48, v15 offset:2048
.LBB15_51:                              ;   in Loop: Header=BB15_7 Depth=2
	s_or_b64 exec, exec, s[12:13]
	s_or_b64 s[12:13], vcc, s[2:3]
	s_xor_b64 s[12:13], s[12:13], -1
	s_and_saveexec_b64 s[14:15], s[12:13]
	s_xor_b64 s[12:13], exec, s[14:15]
	s_cbranch_execz .LBB15_53
; %bb.52:                               ;   in Loop: Header=BB15_7 Depth=2
	v_add_co_u32_e32 v0, vcc, v44, v28
	v_addc_co_u32_e32 v1, vcc, v45, v13, vcc
	global_load_dword v0, v[0:1], off
	s_waitcnt vmcnt(0)
	ds_write_b32 v48, v0 offset:2112
.LBB15_53:                              ;   in Loop: Header=BB15_7 Depth=2
	s_andn2_saveexec_b64 s[12:13], s[12:13]
	s_cbranch_execz .LBB15_6
; %bb.54:                               ;   in Loop: Header=BB15_7 Depth=2
	ds_write_b32 v48, v15 offset:2112
	s_branch .LBB15_6
.LBB15_55:                              ;   in Loop: Header=BB15_4 Depth=1
	v_mul_lo_u32 v2, v31, s20
	v_mul_lo_u32 v3, v30, s21
	v_mad_u64_u32 v[0:1], s[8:9], v30, s20, 0
	v_add3_u32 v1, v1, v3, v2
	v_lshlrev_b64 v[0:1], 2, v[0:1]
	v_mov_b32_e32 v2, s53
	v_add_co_u32_e64 v0, s[8:9], s52, v0
	v_cmp_gt_i32_e32 vcc, s26, v30
	v_addc_co_u32_e64 v1, s[8:9], v2, v1, s[8:9]
	s_and_b64 s[8:9], s[4:5], vcc
	s_and_saveexec_b64 s[10:11], s[8:9]
	s_cbranch_execz .LBB15_57
; %bb.56:                               ;   in Loop: Header=BB15_4 Depth=1
	v_add_co_u32_e64 v2, s[8:9], v0, v24
	v_addc_co_u32_e64 v3, s[8:9], v1, v25, s[8:9]
	global_load_dword v4, v[2:3], off
	s_waitcnt vmcnt(0)
	v_fmac_f32_e32 v4, s27, v53
	global_store_dword v[2:3], v4, off
.LBB15_57:                              ;   in Loop: Header=BB15_4 Depth=1
	s_or_b64 exec, exec, s[10:11]
	s_and_b64 s[10:11], s[16:17], vcc
	s_and_saveexec_b64 s[8:9], s[10:11]
	s_cbranch_execz .LBB15_59
; %bb.58:                               ;   in Loop: Header=BB15_4 Depth=1
	v_lshlrev_b64 v[2:3], 2, v[18:19]
	v_add_co_u32_e32 v0, vcc, v0, v2
	v_addc_co_u32_e32 v1, vcc, v1, v3, vcc
	global_load_dword v2, v[0:1], off
	s_waitcnt vmcnt(0)
	v_fmac_f32_e32 v2, s27, v52
	global_store_dword v[0:1], v2, off
.LBB15_59:                              ;   in Loop: Header=BB15_4 Depth=1
	s_or_b64 exec, exec, s[8:9]
	v_add_u32_e32 v0, 16, v30
	v_ashrrev_i32_e32 v1, 31, v0
	v_cmp_gt_i32_e32 vcc, s26, v0
	v_mul_lo_u32 v2, v1, s20
	v_mul_lo_u32 v3, v0, s21
	v_mad_u64_u32 v[0:1], s[8:9], v0, s20, 0
	v_add3_u32 v1, v1, v3, v2
	v_lshlrev_b64 v[0:1], 2, v[0:1]
	v_mov_b32_e32 v2, s53
	v_add_co_u32_e64 v0, s[8:9], s52, v0
	v_addc_co_u32_e64 v1, s[8:9], v2, v1, s[8:9]
	s_and_b64 s[8:9], s[4:5], vcc
	s_and_saveexec_b64 s[10:11], s[8:9]
	s_cbranch_execz .LBB15_61
; %bb.60:                               ;   in Loop: Header=BB15_4 Depth=1
	v_add_co_u32_e64 v2, s[8:9], v0, v24
	v_addc_co_u32_e64 v3, s[8:9], v1, v25, s[8:9]
	global_load_dword v4, v[2:3], off
	s_waitcnt vmcnt(0)
	v_fmac_f32_e32 v4, s27, v51
	global_store_dword v[2:3], v4, off
.LBB15_61:                              ;   in Loop: Header=BB15_4 Depth=1
	s_or_b64 exec, exec, s[10:11]
	s_and_b64 s[10:11], s[16:17], vcc
	s_and_saveexec_b64 s[8:9], s[10:11]
	s_cbranch_execz .LBB15_3
; %bb.62:                               ;   in Loop: Header=BB15_4 Depth=1
	v_lshlrev_b64 v[2:3], 2, v[18:19]
	v_add_co_u32_e32 v0, vcc, v0, v2
	v_addc_co_u32_e32 v1, vcc, v1, v3, vcc
	global_load_dword v2, v[0:1], off
	s_waitcnt vmcnt(0)
	v_fmac_f32_e32 v2, s27, v21
	global_store_dword v[0:1], v2, off
	s_branch .LBB15_3
.LBB15_63:
	s_endpgm
	.section	.rodata,"a",@progbits
	.p2align	6, 0x0
	.amdhsa_kernel _ZL30rocblas_trmm_outofplace_kernelIfLi32ELi2ELb0ELb1ELb0ELb0EfKffEv17rocblas_diagonal_iiT6_lPT7_lllS4_lllPT8_llli
		.amdhsa_group_segment_fixed_size 8192
		.amdhsa_private_segment_fixed_size 0
		.amdhsa_kernarg_size 384
		.amdhsa_user_sgpr_count 6
		.amdhsa_user_sgpr_private_segment_buffer 1
		.amdhsa_user_sgpr_dispatch_ptr 0
		.amdhsa_user_sgpr_queue_ptr 0
		.amdhsa_user_sgpr_kernarg_segment_ptr 1
		.amdhsa_user_sgpr_dispatch_id 0
		.amdhsa_user_sgpr_flat_scratch_init 0
		.amdhsa_user_sgpr_kernarg_preload_length 0
		.amdhsa_user_sgpr_kernarg_preload_offset 0
		.amdhsa_user_sgpr_private_segment_size 0
		.amdhsa_uses_dynamic_stack 0
		.amdhsa_system_sgpr_private_segment_wavefront_offset 0
		.amdhsa_system_sgpr_workgroup_id_x 1
		.amdhsa_system_sgpr_workgroup_id_y 1
		.amdhsa_system_sgpr_workgroup_id_z 1
		.amdhsa_system_sgpr_workgroup_info 0
		.amdhsa_system_vgpr_workitem_id 1
		.amdhsa_next_free_vgpr 64
		.amdhsa_next_free_sgpr 55
		.amdhsa_accum_offset 64
		.amdhsa_reserve_vcc 1
		.amdhsa_reserve_flat_scratch 0
		.amdhsa_float_round_mode_32 0
		.amdhsa_float_round_mode_16_64 0
		.amdhsa_float_denorm_mode_32 3
		.amdhsa_float_denorm_mode_16_64 3
		.amdhsa_dx10_clamp 1
		.amdhsa_ieee_mode 1
		.amdhsa_fp16_overflow 0
		.amdhsa_tg_split 0
		.amdhsa_exception_fp_ieee_invalid_op 0
		.amdhsa_exception_fp_denorm_src 0
		.amdhsa_exception_fp_ieee_div_zero 0
		.amdhsa_exception_fp_ieee_overflow 0
		.amdhsa_exception_fp_ieee_underflow 0
		.amdhsa_exception_fp_ieee_inexact 0
		.amdhsa_exception_int_div_zero 0
	.end_amdhsa_kernel
	.section	.text._ZL30rocblas_trmm_outofplace_kernelIfLi32ELi2ELb0ELb1ELb0ELb0EfKffEv17rocblas_diagonal_iiT6_lPT7_lllS4_lllPT8_llli,"axG",@progbits,_ZL30rocblas_trmm_outofplace_kernelIfLi32ELi2ELb0ELb1ELb0ELb0EfKffEv17rocblas_diagonal_iiT6_lPT7_lllS4_lllPT8_llli,comdat
.Lfunc_end15:
	.size	_ZL30rocblas_trmm_outofplace_kernelIfLi32ELi2ELb0ELb1ELb0ELb0EfKffEv17rocblas_diagonal_iiT6_lPT7_lllS4_lllPT8_llli, .Lfunc_end15-_ZL30rocblas_trmm_outofplace_kernelIfLi32ELi2ELb0ELb1ELb0ELb0EfKffEv17rocblas_diagonal_iiT6_lPT7_lllS4_lllPT8_llli
                                        ; -- End function
	.section	.AMDGPU.csdata,"",@progbits
; Kernel info:
; codeLenInByte = 3048
; NumSgprs: 59
; NumVgprs: 64
; NumAgprs: 0
; TotalNumVgprs: 64
; ScratchSize: 0
; MemoryBound: 0
; FloatMode: 240
; IeeeMode: 1
; LDSByteSize: 8192 bytes/workgroup (compile time only)
; SGPRBlocks: 7
; VGPRBlocks: 7
; NumSGPRsForWavesPerEU: 59
; NumVGPRsForWavesPerEU: 64
; AccumOffset: 64
; Occupancy: 8
; WaveLimiterHint : 0
; COMPUTE_PGM_RSRC2:SCRATCH_EN: 0
; COMPUTE_PGM_RSRC2:USER_SGPR: 6
; COMPUTE_PGM_RSRC2:TRAP_HANDLER: 0
; COMPUTE_PGM_RSRC2:TGID_X_EN: 1
; COMPUTE_PGM_RSRC2:TGID_Y_EN: 1
; COMPUTE_PGM_RSRC2:TGID_Z_EN: 1
; COMPUTE_PGM_RSRC2:TIDIG_COMP_CNT: 1
; COMPUTE_PGM_RSRC3_GFX90A:ACCUM_OFFSET: 15
; COMPUTE_PGM_RSRC3_GFX90A:TG_SPLIT: 0
	.section	.text._ZL30rocblas_trmm_outofplace_kernelIfLi32ELi2ELb0ELb0ELb1ELb0EPKfS0_fEv17rocblas_diagonal_iiT6_lPT7_lllS5_lllPT8_llli,"axG",@progbits,_ZL30rocblas_trmm_outofplace_kernelIfLi32ELi2ELb0ELb0ELb1ELb0EPKfS0_fEv17rocblas_diagonal_iiT6_lPT7_lllS5_lllPT8_llli,comdat
	.globl	_ZL30rocblas_trmm_outofplace_kernelIfLi32ELi2ELb0ELb0ELb1ELb0EPKfS0_fEv17rocblas_diagonal_iiT6_lPT7_lllS5_lllPT8_llli ; -- Begin function _ZL30rocblas_trmm_outofplace_kernelIfLi32ELi2ELb0ELb0ELb1ELb0EPKfS0_fEv17rocblas_diagonal_iiT6_lPT7_lllS5_lllPT8_llli
	.p2align	8
	.type	_ZL30rocblas_trmm_outofplace_kernelIfLi32ELi2ELb0ELb0ELb1ELb0EPKfS0_fEv17rocblas_diagonal_iiT6_lPT7_lllS5_lllPT8_llli,@function
_ZL30rocblas_trmm_outofplace_kernelIfLi32ELi2ELb0ELb0ELb1ELb0EPKfS0_fEv17rocblas_diagonal_iiT6_lPT7_lllS5_lllPT8_llli: ; @_ZL30rocblas_trmm_outofplace_kernelIfLi32ELi2ELb0ELb0ELb1ELb0EPKfS0_fEv17rocblas_diagonal_iiT6_lPT7_lllS5_lllPT8_llli
; %bb.0:
	s_load_dwordx16 s[12:27], s[4:5], 0x10
	s_waitcnt lgkmcnt(0)
	s_mul_i32 s0, s8, s15
	s_mul_hi_u32 s1, s8, s14
	s_add_i32 s1, s1, s0
	s_mul_i32 s0, s8, s14
	s_lshl_b64 s[0:1], s[0:1], 2
	s_add_u32 s0, s12, s0
	s_addc_u32 s1, s13, s1
	s_load_dword s33, s[0:1], 0x0
	s_waitcnt lgkmcnt(0)
	v_cmp_eq_f32_e64 s[0:1], s33, 0
	s_and_b64 vcc, exec, s[0:1]
	s_cbranch_vccnz .LBB16_63
; %bb.1:
	s_load_dwordx4 s[28:31], s[4:5], 0x0
	s_waitcnt lgkmcnt(0)
	s_add_i32 s0, s30, -1
	s_ashr_i32 s1, s0, 31
	s_lshr_b32 s1, s1, 27
	s_add_i32 s0, s0, s1
	s_ashr_i32 s48, s0, 5
	s_cmp_gt_i32 s7, s48
	s_cbranch_scc1 .LBB16_63
; %bb.2:
	s_mul_i32 s0, s8, s23
	s_mul_hi_u32 s1, s8, s22
	s_add_i32 s1, s1, s0
	s_mul_i32 s0, s8, s22
	s_load_dwordx4 s[44:47], s[4:5], 0x70
	s_load_dword s49, s[4:5], 0x8c
	s_lshl_b64 s[12:13], s[0:1], 2
	s_add_u32 s0, s16, s12
	s_load_dwordx8 s[36:43], s[4:5], 0x50
	s_addc_u32 s1, s17, s13
	s_lshl_b64 s[14:15], s[18:19], 2
	s_add_u32 s2, s0, s14
	s_addc_u32 s3, s1, s15
	s_waitcnt lgkmcnt(0)
	s_mul_i32 s0, s8, s47
	s_mul_hi_u32 s1, s8, s46
	s_add_i32 s1, s1, s0
	s_mul_i32 s0, s8, s46
	s_lshl_b64 s[0:1], s[0:1], 2
	s_add_u32 s4, s40, s0
	s_addc_u32 s5, s41, s1
	s_lshl_b64 s[0:1], s[42:43], 2
	s_add_u32 s46, s4, s0
	v_and_b32_e32 v14, 0x3ff, v0
	s_addc_u32 s47, s5, s1
	v_mad_u64_u32 v[2:3], s[0:1], v14, s20, 0
	v_mov_b32_e32 v4, v3
	v_mad_u64_u32 v[4:5], s[0:1], v14, s21, v[4:5]
	v_mov_b32_e32 v3, v4
	v_lshlrev_b64 v[2:3], 2, v[2:3]
	v_mov_b32_e32 v4, s3
	v_add_co_u32_e32 v16, vcc, s2, v2
	s_cmpk_eq_i32 s28, 0x84
	v_bfe_u32 v12, v0, 10, 10
	v_lshl_add_u32 v0, s6, 5, v14
	v_addc_co_u32_e32 v17, vcc, v4, v3, vcc
	s_cselect_b64 s[22:23], -1, 0
	s_ashr_i32 s0, s29, 31
	v_ashrrev_i32_e32 v1, 31, v0
	v_mov_b32_e32 v3, s0
	v_sub_co_u32_e32 v2, vcc, s29, v0
	v_subb_co_u32_e32 v3, vcc, v3, v1, vcc
	v_sub_co_u32_e64 v54, s[10:11], 0, v14
	v_cmp_gt_i64_e32 vcc, 1, v[2:3]
	v_cmp_gt_i64_e64 s[0:1], 17, v[2:3]
	v_subb_co_u32_e64 v55, s[10:11], 0, 0, s[10:11]
	v_mad_u64_u32 v[2:3], s[10:11], s36, v12, 0
	v_mov_b32_e32 v4, v3
	s_ashr_i32 s31, s30, 31
	s_lshl_b64 s[34:35], s[20:21], 7
	s_lshl_b64 s[40:41], s[36:37], 7
	v_mad_u64_u32 v[4:5], s[10:11], s37, v12, v[4:5]
	s_add_u32 s42, s30, -16
	s_mul_i32 s9, s39, s8
	s_mul_hi_u32 s10, s38, s8
	s_addc_u32 s43, s31, -1
	s_add_i32 s9, s10, s9
	s_mul_i32 s8, s38, s8
	s_lshl_b32 s6, s49, 5
	s_lshl_b64 s[8:9], s[8:9], 2
	s_lshl_b64 s[10:11], s[26:27], 2
	s_add_u32 s8, s8, s10
	s_addc_u32 s9, s9, s11
	s_add_u32 s8, s24, s8
	v_lshlrev_b64 v[24:25], 2, v[0:1]
	s_addc_u32 s9, s25, s9
	v_cmp_gt_i32_e64 s[2:3], s29, v0
	v_add_u32_e32 v18, 16, v0
	v_mov_b32_e32 v0, s9
	v_add_co_u32_e64 v1, s[8:9], s8, v24
	v_addc_co_u32_e64 v0, s[8:9], v0, v25, s[8:9]
	v_add_co_u32_e64 v26, s[8:9], 64, v1
	v_addc_co_u32_e64 v27, s[8:9], 0, v0, s[8:9]
	s_add_u32 s8, s16, s14
	s_addc_u32 s9, s17, s15
	s_add_u32 s8, s8, s12
	v_lshlrev_b32_e32 v6, 2, v14
	v_mov_b32_e32 v3, v4
	s_addc_u32 s9, s9, s13
	v_lshlrev_b64 v[22:23], 2, v[2:3]
	v_add_u32_e32 v2, 64, v6
	v_pk_mov_b32 v[0:1], s[8:9], s[8:9] op_sel:[0,1]
	v_mad_u64_u32 v[28:29], s[8:9], s20, v2, v[0:1]
	v_mov_b32_e32 v0, v29
	v_mad_u64_u32 v[0:1], s[8:9], s21, v2, v[0:1]
	v_lshl_add_u32 v1, v12, 2, 64
	v_mad_u64_u32 v[30:31], s[8:9], s36, v1, 0
	v_mov_b32_e32 v29, v0
	v_mov_b32_e32 v0, v31
	v_lshlrev_b32_e32 v50, 7, v12
	v_or_b32_e32 v52, 0x1000, v6
	v_mad_u64_u32 v[0:1], s[8:9], s37, v1, v[0:1]
	v_mov_b32_e32 v15, 0
	v_add_u32_e32 v51, v50, v6
	v_add_u32_e32 v53, v52, v50
	v_cmp_gt_i32_e64 s[4:5], s29, v18
	v_ashrrev_i32_e32 v19, 31, v18
	v_lshl_add_u32 v20, s7, 5, v12
	v_mov_b32_e32 v13, v0
	v_mov_b32_e32 v31, 1.0
	s_branch .LBB16_4
.LBB16_3:                               ;   in Loop: Header=BB16_4 Depth=1
	s_or_b64 exec, exec, s[10:11]
	s_add_i32 s7, s49, s7
	s_cmp_le_i32 s7, s48
	v_add_u32_e32 v20, s6, v20
	s_cbranch_scc0 .LBB16_63
.LBB16_4:                               ; =>This Loop Header: Depth=1
                                        ;     Child Loop BB16_7 Depth 2
	s_lshl_b32 s38, s7, 5
	v_add_u32_e32 v32, s38, v12
	v_ashrrev_i32_e32 v33, 31, v32
	s_cmp_lt_i32 s7, 0
	v_mov_b32_e32 v58, 0
	v_mov_b32_e32 v57, 0
	v_mov_b32_e32 v56, 0
	v_mov_b32_e32 v21, 0
	s_cbranch_scc1 .LBB16_55
; %bb.5:                                ;   in Loop: Header=BB16_4 Depth=1
	v_ashrrev_i32_e32 v21, 31, v20
	v_add_co_u32_e64 v34, s[8:9], v54, v20
	v_addc_co_u32_e64 v35, s[8:9], v55, v21, s[8:9]
	v_add_co_u32_e64 v40, s[10:11], 16, v34
	v_add_co_u32_e64 v38, s[8:9], 16, v32
	v_addc_co_u32_e64 v41, s[10:11], 0, v35, s[10:11]
	v_addc_co_u32_e64 v39, s[8:9], 0, v33, s[8:9]
	v_add_co_u32_e64 v42, s[10:11], -16, v34
	v_lshlrev_b64 v[36:37], 2, v[20:21]
	v_cmp_le_i32_e64 s[16:17], s30, v32
	v_cmp_le_i64_e64 s[8:9], s[30:31], v[38:39]
	v_addc_co_u32_e64 v43, s[10:11], -1, v35, s[10:11]
	s_mov_b64 s[20:21], 0
	v_mov_b32_e32 v21, 0
	v_pk_mov_b32 v[44:45], v[16:17], v[16:17] op_sel:[0,1]
	v_pk_mov_b32 v[46:47], v[28:29], v[28:29] op_sel:[0,1]
	;; [unrolled: 1-line block ×3, first 2 shown]
	v_mov_b32_e32 v56, 0
	v_mov_b32_e32 v57, 0
	;; [unrolled: 1-line block ×3, first 2 shown]
	s_branch .LBB16_7
.LBB16_6:                               ;   in Loop: Header=BB16_7 Depth=2
	s_or_b64 exec, exec, s[10:11]
	s_waitcnt lgkmcnt(0)
	s_barrier
	ds_read_b128 v[60:63], v50
	ds_read_b128 v[8:11], v50 offset:16
	ds_read_b128 v[4:7], v50 offset:32
	;; [unrolled: 1-line block ×3, first 2 shown]
	ds_read2_b32 v[68:69], v52 offset1:16
	ds_read_b128 v[64:67], v50 offset:2048
	v_add_u32_e32 v59, 0x400, v52
	v_add_co_u32_e64 v48, s[10:11], s40, v48
	s_waitcnt lgkmcnt(1)
	v_fmac_f32_e32 v58, v68, v60
	v_fmac_f32_e32 v57, v69, v60
	s_waitcnt lgkmcnt(0)
	v_fmac_f32_e32 v56, v68, v64
	v_fmac_f32_e32 v21, v69, v64
	ds_read2_b32 v[68:69], v52 offset0:32 offset1:48
	s_add_u32 s20, s20, 32
	s_addc_u32 s21, s21, 0
	s_sub_i32 s12, s20, 32
	s_cmp_ge_i32 s12, s38
	s_waitcnt lgkmcnt(0)
	v_fmac_f32_e32 v58, v68, v61
	v_fmac_f32_e32 v57, v69, v61
	ds_read2_b32 v[60:61], v52 offset0:64 offset1:80
	v_fmac_f32_e32 v56, v68, v65
	v_fmac_f32_e32 v21, v69, v65
	ds_read2_b32 v[64:65], v52 offset0:128 offset1:144
	s_waitcnt lgkmcnt(1)
	v_fmac_f32_e32 v58, v60, v62
	v_fmac_f32_e32 v57, v61, v62
	;; [unrolled: 1-line block ×4, first 2 shown]
	ds_read2_b32 v[60:61], v52 offset0:96 offset1:112
	s_waitcnt lgkmcnt(0)
	v_fmac_f32_e32 v58, v60, v63
	v_fmac_f32_e32 v57, v61, v63
	;; [unrolled: 1-line block ×4, first 2 shown]
	ds_read_b128 v[60:63], v50 offset:2064
	v_fmac_f32_e32 v58, v64, v8
	v_fmac_f32_e32 v57, v65, v8
	s_waitcnt lgkmcnt(0)
	v_fmac_f32_e32 v56, v64, v60
	v_fmac_f32_e32 v21, v65, v60
	ds_read2_b32 v[64:65], v52 offset0:160 offset1:176
	s_waitcnt lgkmcnt(0)
	v_fmac_f32_e32 v58, v64, v9
	v_fmac_f32_e32 v57, v65, v9
	ds_read2_b32 v[8:9], v52 offset0:192 offset1:208
	v_fmac_f32_e32 v56, v64, v61
	v_fmac_f32_e32 v21, v65, v61
	ds_read2_b32 v[60:61], v59 offset1:16
	s_waitcnt lgkmcnt(1)
	v_fmac_f32_e32 v58, v8, v10
	v_fmac_f32_e32 v57, v9, v10
	;; [unrolled: 1-line block ×4, first 2 shown]
	ds_read2_b32 v[8:9], v52 offset0:224 offset1:240
	s_waitcnt lgkmcnt(0)
	v_fmac_f32_e32 v58, v8, v11
	v_fmac_f32_e32 v57, v9, v11
	;; [unrolled: 1-line block ×4, first 2 shown]
	ds_read_b128 v[8:11], v50 offset:2080
	v_fmac_f32_e32 v58, v60, v4
	v_fmac_f32_e32 v57, v61, v4
	s_waitcnt lgkmcnt(0)
	v_fmac_f32_e32 v56, v60, v8
	v_fmac_f32_e32 v21, v61, v8
	ds_read2_b32 v[60:61], v59 offset0:32 offset1:48
	s_waitcnt lgkmcnt(0)
	v_fmac_f32_e32 v58, v60, v5
	v_fmac_f32_e32 v57, v61, v5
	ds_read2_b32 v[4:5], v59 offset0:64 offset1:80
	v_fmac_f32_e32 v56, v60, v9
	v_fmac_f32_e32 v21, v61, v9
	ds_read2_b32 v[8:9], v59 offset0:128 offset1:144
	s_waitcnt lgkmcnt(1)
	v_fmac_f32_e32 v58, v4, v6
	v_fmac_f32_e32 v57, v5, v6
	;; [unrolled: 1-line block ×4, first 2 shown]
	ds_read2_b32 v[4:5], v59 offset0:96 offset1:112
	v_add_u32_e32 v10, 0x800, v52
	s_waitcnt lgkmcnt(0)
	v_fmac_f32_e32 v58, v4, v7
	v_fmac_f32_e32 v57, v5, v7
	;; [unrolled: 1-line block ×4, first 2 shown]
	ds_read_b128 v[4:7], v50 offset:2096
	v_fmac_f32_e32 v58, v8, v0
	v_fmac_f32_e32 v57, v9, v0
	s_waitcnt lgkmcnt(0)
	v_fmac_f32_e32 v56, v8, v4
	v_fmac_f32_e32 v21, v9, v4
	ds_read2_b32 v[8:9], v59 offset0:160 offset1:176
	s_waitcnt lgkmcnt(0)
	v_fmac_f32_e32 v58, v8, v1
	v_fmac_f32_e32 v57, v9, v1
	ds_read2_b32 v[0:1], v59 offset0:192 offset1:208
	v_fmac_f32_e32 v56, v8, v5
	v_fmac_f32_e32 v21, v9, v5
	ds_read2_b32 v[8:9], v10 offset1:16
	s_waitcnt lgkmcnt(1)
	v_fmac_f32_e32 v58, v0, v2
	v_fmac_f32_e32 v57, v1, v2
	;; [unrolled: 1-line block ×4, first 2 shown]
	ds_read2_b32 v[0:1], v59 offset0:224 offset1:240
	s_waitcnt lgkmcnt(0)
	v_fmac_f32_e32 v58, v0, v3
	v_fmac_f32_e32 v57, v1, v3
	;; [unrolled: 1-line block ×4, first 2 shown]
	ds_read_b128 v[0:3], v50 offset:64
	ds_read_b128 v[4:7], v50 offset:2112
	s_waitcnt lgkmcnt(1)
	v_fmac_f32_e32 v58, v8, v0
	v_fmac_f32_e32 v57, v9, v0
	s_waitcnt lgkmcnt(0)
	v_fmac_f32_e32 v56, v8, v4
	v_fmac_f32_e32 v21, v9, v4
	ds_read2_b32 v[8:9], v10 offset0:32 offset1:48
	s_waitcnt lgkmcnt(0)
	v_fmac_f32_e32 v58, v8, v1
	v_fmac_f32_e32 v57, v9, v1
	ds_read2_b32 v[0:1], v10 offset0:64 offset1:80
	v_fmac_f32_e32 v56, v8, v5
	v_fmac_f32_e32 v21, v9, v5
	s_waitcnt lgkmcnt(0)
	v_fmac_f32_e32 v58, v0, v2
	v_fmac_f32_e32 v57, v1, v2
	;; [unrolled: 1-line block ×4, first 2 shown]
	ds_read2_b32 v[0:1], v10 offset0:96 offset1:112
	s_waitcnt lgkmcnt(0)
	v_fmac_f32_e32 v58, v0, v3
	v_fmac_f32_e32 v57, v1, v3
	;; [unrolled: 1-line block ×4, first 2 shown]
	ds_read_b128 v[0:3], v50 offset:80
	ds_read2_b32 v[8:9], v10 offset0:128 offset1:144
	ds_read_b128 v[4:7], v50 offset:2128
	s_waitcnt lgkmcnt(1)
	v_fmac_f32_e32 v58, v8, v0
	v_fmac_f32_e32 v57, v9, v0
	s_waitcnt lgkmcnt(0)
	v_fmac_f32_e32 v56, v8, v4
	v_fmac_f32_e32 v21, v9, v4
	ds_read2_b32 v[8:9], v10 offset0:160 offset1:176
	s_waitcnt lgkmcnt(0)
	v_fmac_f32_e32 v58, v8, v1
	v_fmac_f32_e32 v57, v9, v1
	ds_read2_b32 v[0:1], v10 offset0:192 offset1:208
	v_fmac_f32_e32 v56, v8, v5
	v_fmac_f32_e32 v21, v9, v5
	s_waitcnt lgkmcnt(0)
	v_fmac_f32_e32 v58, v0, v2
	v_fmac_f32_e32 v57, v1, v2
	v_fmac_f32_e32 v56, v0, v6
	v_fmac_f32_e32 v21, v1, v6
	ds_read2_b32 v[0:1], v10 offset0:224 offset1:240
	v_add_u32_e32 v10, 0xc00, v52
	ds_read2_b32 v[8:9], v10 offset1:16
	s_waitcnt lgkmcnt(1)
	v_fmac_f32_e32 v58, v0, v3
	v_fmac_f32_e32 v57, v1, v3
	;; [unrolled: 1-line block ×4, first 2 shown]
	ds_read_b128 v[0:3], v50 offset:96
	ds_read_b128 v[4:7], v50 offset:2144
	s_waitcnt lgkmcnt(1)
	v_fmac_f32_e32 v58, v8, v0
	v_fmac_f32_e32 v57, v9, v0
	s_waitcnt lgkmcnt(0)
	v_fmac_f32_e32 v56, v8, v4
	v_fmac_f32_e32 v21, v9, v4
	ds_read2_b32 v[8:9], v10 offset0:32 offset1:48
	s_waitcnt lgkmcnt(0)
	v_fmac_f32_e32 v58, v8, v1
	v_fmac_f32_e32 v57, v9, v1
	ds_read2_b32 v[0:1], v10 offset0:64 offset1:80
	v_fmac_f32_e32 v56, v8, v5
	v_fmac_f32_e32 v21, v9, v5
	s_waitcnt lgkmcnt(0)
	v_fmac_f32_e32 v58, v0, v2
	v_fmac_f32_e32 v57, v1, v2
	;; [unrolled: 1-line block ×4, first 2 shown]
	ds_read2_b32 v[0:1], v10 offset0:96 offset1:112
	s_waitcnt lgkmcnt(0)
	v_fmac_f32_e32 v58, v0, v3
	v_fmac_f32_e32 v57, v1, v3
	;; [unrolled: 1-line block ×4, first 2 shown]
	ds_read_b128 v[0:3], v50 offset:112
	ds_read2_b32 v[8:9], v10 offset0:128 offset1:144
	ds_read_b128 v[4:7], v50 offset:2160
	s_waitcnt lgkmcnt(1)
	v_fmac_f32_e32 v58, v8, v0
	v_fmac_f32_e32 v57, v9, v0
	s_waitcnt lgkmcnt(0)
	v_fmac_f32_e32 v56, v8, v4
	v_fmac_f32_e32 v21, v9, v4
	ds_read2_b32 v[8:9], v10 offset0:160 offset1:176
	s_waitcnt lgkmcnt(0)
	v_fmac_f32_e32 v58, v8, v1
	v_fmac_f32_e32 v57, v9, v1
	ds_read2_b32 v[0:1], v10 offset0:192 offset1:208
	v_fmac_f32_e32 v56, v8, v5
	v_fmac_f32_e32 v21, v9, v5
	s_waitcnt lgkmcnt(0)
	v_fmac_f32_e32 v58, v0, v2
	v_fmac_f32_e32 v57, v1, v2
	;; [unrolled: 1-line block ×4, first 2 shown]
	ds_read2_b32 v[0:1], v10 offset0:224 offset1:240
	s_waitcnt lgkmcnt(0)
	s_barrier
	v_fmac_f32_e32 v58, v0, v3
	v_fmac_f32_e32 v56, v0, v7
	v_mov_b32_e32 v0, s41
	v_addc_co_u32_e64 v49, s[10:11], v49, v0, s[10:11]
	v_add_co_u32_e64 v46, s[10:11], s34, v46
	v_mov_b32_e32 v0, s35
	v_addc_co_u32_e64 v47, s[10:11], v47, v0, s[10:11]
	v_add_co_u32_e64 v44, s[10:11], s34, v44
	v_fmac_f32_e32 v57, v1, v3
	v_fmac_f32_e32 v21, v1, v7
	v_addc_co_u32_e64 v45, s[10:11], v45, v0, s[10:11]
	s_cbranch_scc1 .LBB16_55
.LBB16_7:                               ;   Parent Loop BB16_4 Depth=1
                                        ; =>  This Inner Loop Header: Depth=2
	v_mov_b32_e32 v0, s21
	v_add_co_u32_e64 v2, s[10:11], s20, v14
	v_addc_co_u32_e64 v3, s[10:11], 0, v0, s[10:11]
	v_add_co_u32_e64 v0, s[10:11], v44, v36
	v_addc_co_u32_e64 v1, s[10:11], v45, v37, s[10:11]
	v_cmp_eq_u64_e64 s[10:11], s[20:21], v[34:35]
	s_and_b64 s[26:27], s[22:23], s[10:11]
	v_cmp_gt_i64_e64 s[10:11], v[2:3], v[32:33]
	s_or_b64 s[14:15], s[16:17], s[10:11]
	v_cmp_le_i64_e64 s[12:13], s[30:31], v[2:3]
	s_or_b64 s[14:15], s[14:15], s[26:27]
	s_or_b64 s[14:15], s[12:13], s[14:15]
	s_xor_b64 s[14:15], s[14:15], -1
	s_and_saveexec_b64 s[18:19], s[14:15]
	s_xor_b64 s[14:15], exec, s[18:19]
	s_cbranch_execz .LBB16_9
; %bb.8:                                ;   in Loop: Header=BB16_7 Depth=2
	global_load_dword v4, v[0:1], off
	s_waitcnt vmcnt(0)
	ds_write_b32 v51, v4
.LBB16_9:                               ;   in Loop: Header=BB16_7 Depth=2
	s_or_saveexec_b64 s[14:15], s[14:15]
	s_xor_b64 s[24:25], s[26:27], -1
	s_xor_b64 exec, exec, s[14:15]
	s_cbranch_execz .LBB16_15
; %bb.10:                               ;   in Loop: Header=BB16_7 Depth=2
	s_and_saveexec_b64 s[18:19], s[24:25]
	s_xor_b64 s[18:19], exec, s[18:19]
	s_cbranch_execz .LBB16_12
; %bb.11:                               ;   in Loop: Header=BB16_7 Depth=2
	ds_write_b32 v51, v15
.LBB16_12:                              ;   in Loop: Header=BB16_7 Depth=2
	s_andn2_saveexec_b64 s[18:19], s[18:19]
	s_cbranch_execz .LBB16_14
; %bb.13:                               ;   in Loop: Header=BB16_7 Depth=2
	ds_write_b32 v51, v31
.LBB16_14:                              ;   in Loop: Header=BB16_7 Depth=2
	s_or_b64 exec, exec, s[18:19]
.LBB16_15:                              ;   in Loop: Header=BB16_7 Depth=2
	s_or_b64 exec, exec, s[14:15]
	v_add_co_u32_e64 v4, s[14:15], 16, v2
	v_addc_co_u32_e64 v5, s[14:15], 0, v3, s[14:15]
	v_cmp_eq_u64_e64 s[14:15], s[20:21], v[42:43]
	v_cmp_gt_i64_e64 s[18:19], v[4:5], v[32:33]
	s_and_b64 s[28:29], s[22:23], s[14:15]
	s_or_b64 s[18:19], s[16:17], s[18:19]
	v_cmp_le_i64_e64 s[14:15], s[30:31], v[4:5]
	s_or_b64 s[18:19], s[18:19], s[28:29]
	s_or_b64 s[18:19], s[14:15], s[18:19]
	s_xor_b64 s[18:19], s[18:19], -1
	s_and_saveexec_b64 s[36:37], s[18:19]
	s_xor_b64 s[36:37], exec, s[36:37]
	s_cbranch_execz .LBB16_17
; %bb.16:                               ;   in Loop: Header=BB16_7 Depth=2
	v_add_co_u32_e64 v4, s[18:19], v46, v36
	v_addc_co_u32_e64 v5, s[18:19], v47, v37, s[18:19]
	global_load_dword v4, v[4:5], off
	s_waitcnt vmcnt(0)
	ds_write_b32 v51, v4 offset:64
.LBB16_17:                              ;   in Loop: Header=BB16_7 Depth=2
	s_andn2_saveexec_b64 s[18:19], s[36:37]
	s_cbranch_execz .LBB16_23
; %bb.18:                               ;   in Loop: Header=BB16_7 Depth=2
	s_xor_b64 s[28:29], s[28:29], -1
	s_and_saveexec_b64 s[36:37], s[28:29]
	s_xor_b64 s[28:29], exec, s[36:37]
	s_cbranch_execz .LBB16_20
; %bb.19:                               ;   in Loop: Header=BB16_7 Depth=2
	ds_write_b32 v51, v15 offset:64
.LBB16_20:                              ;   in Loop: Header=BB16_7 Depth=2
	s_andn2_saveexec_b64 s[28:29], s[28:29]
	s_cbranch_execz .LBB16_22
; %bb.21:                               ;   in Loop: Header=BB16_7 Depth=2
	ds_write_b32 v51, v31 offset:64
.LBB16_22:                              ;   in Loop: Header=BB16_7 Depth=2
	s_or_b64 exec, exec, s[28:29]
.LBB16_23:                              ;   in Loop: Header=BB16_7 Depth=2
	s_or_b64 exec, exec, s[18:19]
	v_cmp_eq_u64_e64 s[18:19], s[20:21], v[40:41]
	s_and_b64 s[28:29], s[22:23], s[18:19]
	v_cmp_gt_i64_e64 s[18:19], v[2:3], v[38:39]
	s_or_b64 s[18:19], s[8:9], s[18:19]
	s_or_b64 s[18:19], s[18:19], s[28:29]
	;; [unrolled: 1-line block ×3, first 2 shown]
	s_xor_b64 s[12:13], s[12:13], -1
	s_and_saveexec_b64 s[18:19], s[12:13]
	s_xor_b64 s[12:13], exec, s[18:19]
	s_cbranch_execz .LBB16_25
; %bb.24:                               ;   in Loop: Header=BB16_7 Depth=2
	global_load_dword v0, v[0:1], off offset:64
	s_waitcnt vmcnt(0)
	ds_write_b32 v51, v0 offset:2048
.LBB16_25:                              ;   in Loop: Header=BB16_7 Depth=2
	s_andn2_saveexec_b64 s[12:13], s[12:13]
	s_cbranch_execz .LBB16_31
; %bb.26:                               ;   in Loop: Header=BB16_7 Depth=2
	s_xor_b64 s[18:19], s[28:29], -1
	s_and_saveexec_b64 s[28:29], s[18:19]
	s_xor_b64 s[18:19], exec, s[28:29]
	s_cbranch_execz .LBB16_28
; %bb.27:                               ;   in Loop: Header=BB16_7 Depth=2
	ds_write_b32 v51, v15 offset:2048
.LBB16_28:                              ;   in Loop: Header=BB16_7 Depth=2
	s_andn2_saveexec_b64 s[18:19], s[18:19]
	s_cbranch_execz .LBB16_30
; %bb.29:                               ;   in Loop: Header=BB16_7 Depth=2
	ds_write_b32 v51, v31 offset:2048
.LBB16_30:                              ;   in Loop: Header=BB16_7 Depth=2
	s_or_b64 exec, exec, s[18:19]
.LBB16_31:                              ;   in Loop: Header=BB16_7 Depth=2
	s_or_b64 exec, exec, s[12:13]
	s_or_b64 s[10:11], s[8:9], s[10:11]
	s_or_b64 s[10:11], s[10:11], s[26:27]
	;; [unrolled: 1-line block ×3, first 2 shown]
	s_xor_b64 s[10:11], s[10:11], -1
	s_and_saveexec_b64 s[12:13], s[10:11]
	s_xor_b64 s[12:13], exec, s[12:13]
	s_cbranch_execz .LBB16_33
; %bb.32:                               ;   in Loop: Header=BB16_7 Depth=2
	v_add_co_u32_e64 v0, s[10:11], v46, v36
	v_addc_co_u32_e64 v1, s[10:11], v47, v37, s[10:11]
	global_load_dword v0, v[0:1], off offset:64
	s_waitcnt vmcnt(0)
	ds_write_b32 v51, v0 offset:2112
.LBB16_33:                              ;   in Loop: Header=BB16_7 Depth=2
	s_andn2_saveexec_b64 s[10:11], s[12:13]
	s_cbranch_execz .LBB16_39
; %bb.34:                               ;   in Loop: Header=BB16_7 Depth=2
	s_and_saveexec_b64 s[12:13], s[24:25]
	s_xor_b64 s[12:13], exec, s[12:13]
	s_cbranch_execz .LBB16_36
; %bb.35:                               ;   in Loop: Header=BB16_7 Depth=2
	ds_write_b32 v51, v15 offset:2112
.LBB16_36:                              ;   in Loop: Header=BB16_7 Depth=2
	s_andn2_saveexec_b64 s[12:13], s[12:13]
	s_cbranch_execz .LBB16_38
; %bb.37:                               ;   in Loop: Header=BB16_7 Depth=2
	ds_write_b32 v51, v31 offset:2112
.LBB16_38:                              ;   in Loop: Header=BB16_7 Depth=2
	s_or_b64 exec, exec, s[12:13]
.LBB16_39:                              ;   in Loop: Header=BB16_7 Depth=2
	s_or_b64 exec, exec, s[10:11]
	v_mov_b32_e32 v1, s21
	v_add_co_u32_e64 v0, s[10:11], s20, v12
	v_addc_co_u32_e64 v1, s[10:11], 0, v1, s[10:11]
	v_add_co_u32_e64 v2, s[10:11], v48, v22
	v_addc_co_u32_e64 v3, s[10:11], v49, v23, s[10:11]
	v_cmp_le_i64_e64 s[10:11], s[30:31], v[0:1]
	s_or_b64 s[12:13], s[10:11], vcc
	s_xor_b64 s[12:13], s[12:13], -1
	s_and_saveexec_b64 s[14:15], s[12:13]
	s_xor_b64 s[12:13], exec, s[14:15]
	s_cbranch_execz .LBB16_41
; %bb.40:                               ;   in Loop: Header=BB16_7 Depth=2
	global_load_dword v4, v[2:3], off offset:-64
	s_waitcnt vmcnt(0)
	ds_write_b32 v53, v4
.LBB16_41:                              ;   in Loop: Header=BB16_7 Depth=2
	s_andn2_saveexec_b64 s[12:13], s[12:13]
	s_cbranch_execz .LBB16_43
; %bb.42:                               ;   in Loop: Header=BB16_7 Depth=2
	ds_write_b32 v53, v15
.LBB16_43:                              ;   in Loop: Header=BB16_7 Depth=2
	s_or_b64 exec, exec, s[12:13]
	s_or_b64 s[10:11], s[10:11], s[0:1]
	s_xor_b64 s[10:11], s[10:11], -1
	s_and_saveexec_b64 s[12:13], s[10:11]
	s_xor_b64 s[10:11], exec, s[12:13]
	s_cbranch_execz .LBB16_45
; %bb.44:                               ;   in Loop: Header=BB16_7 Depth=2
	global_load_dword v2, v[2:3], off
	s_waitcnt vmcnt(0)
	ds_write_b32 v53, v2 offset:64
.LBB16_45:                              ;   in Loop: Header=BB16_7 Depth=2
	s_andn2_saveexec_b64 s[10:11], s[10:11]
	s_cbranch_execz .LBB16_47
; %bb.46:                               ;   in Loop: Header=BB16_7 Depth=2
	ds_write_b32 v53, v15 offset:64
.LBB16_47:                              ;   in Loop: Header=BB16_7 Depth=2
	s_or_b64 exec, exec, s[10:11]
	v_cmp_le_i64_e64 s[10:11], s[42:43], v[0:1]
	s_or_b64 s[12:13], s[10:11], vcc
	s_xor_b64 s[12:13], s[12:13], -1
	s_and_saveexec_b64 s[14:15], s[12:13]
	s_xor_b64 s[14:15], exec, s[14:15]
	s_cbranch_execz .LBB16_49
; %bb.48:                               ;   in Loop: Header=BB16_7 Depth=2
	v_add_co_u32_e64 v0, s[12:13], v48, v30
	v_addc_co_u32_e64 v1, s[12:13], v49, v13, s[12:13]
	global_load_dword v0, v[0:1], off offset:-64
	s_waitcnt vmcnt(0)
	ds_write_b32 v53, v0 offset:2048
.LBB16_49:                              ;   in Loop: Header=BB16_7 Depth=2
	s_andn2_saveexec_b64 s[12:13], s[14:15]
	s_cbranch_execz .LBB16_51
; %bb.50:                               ;   in Loop: Header=BB16_7 Depth=2
	ds_write_b32 v53, v15 offset:2048
.LBB16_51:                              ;   in Loop: Header=BB16_7 Depth=2
	s_or_b64 exec, exec, s[12:13]
	s_or_b64 s[10:11], s[10:11], s[0:1]
	s_xor_b64 s[10:11], s[10:11], -1
	s_and_saveexec_b64 s[12:13], s[10:11]
	s_xor_b64 s[12:13], exec, s[12:13]
	s_cbranch_execz .LBB16_53
; %bb.52:                               ;   in Loop: Header=BB16_7 Depth=2
	v_add_co_u32_e64 v0, s[10:11], v48, v30
	v_addc_co_u32_e64 v1, s[10:11], v49, v13, s[10:11]
	global_load_dword v0, v[0:1], off
	s_waitcnt vmcnt(0)
	ds_write_b32 v53, v0 offset:2112
.LBB16_53:                              ;   in Loop: Header=BB16_7 Depth=2
	s_andn2_saveexec_b64 s[10:11], s[12:13]
	s_cbranch_execz .LBB16_6
; %bb.54:                               ;   in Loop: Header=BB16_7 Depth=2
	ds_write_b32 v53, v15 offset:2112
	s_branch .LBB16_6
.LBB16_55:                              ;   in Loop: Header=BB16_4 Depth=1
	v_mul_lo_u32 v2, v33, s44
	v_mul_lo_u32 v3, v32, s45
	v_mad_u64_u32 v[0:1], s[10:11], v32, s44, 0
	v_add3_u32 v1, v1, v3, v2
	v_lshlrev_b64 v[0:1], 2, v[0:1]
	v_mov_b32_e32 v2, s47
	v_add_co_u32_e64 v0, s[10:11], s46, v0
	v_cmp_gt_i32_e64 s[8:9], s30, v32
	v_addc_co_u32_e64 v1, s[10:11], v2, v1, s[10:11]
	s_and_b64 s[10:11], s[2:3], s[8:9]
	s_and_saveexec_b64 s[12:13], s[10:11]
	s_cbranch_execz .LBB16_57
; %bb.56:                               ;   in Loop: Header=BB16_4 Depth=1
	v_add_co_u32_e64 v2, s[10:11], v0, v24
	v_addc_co_u32_e64 v3, s[10:11], v1, v25, s[10:11]
	global_load_dword v4, v[2:3], off
	s_waitcnt vmcnt(0)
	v_fmac_f32_e32 v4, s33, v58
	global_store_dword v[2:3], v4, off
.LBB16_57:                              ;   in Loop: Header=BB16_4 Depth=1
	s_or_b64 exec, exec, s[12:13]
	s_and_b64 s[8:9], s[4:5], s[8:9]
	s_and_saveexec_b64 s[10:11], s[8:9]
	s_cbranch_execz .LBB16_59
; %bb.58:                               ;   in Loop: Header=BB16_4 Depth=1
	v_lshlrev_b64 v[2:3], 2, v[18:19]
	v_add_co_u32_e64 v0, s[8:9], v0, v2
	v_addc_co_u32_e64 v1, s[8:9], v1, v3, s[8:9]
	global_load_dword v2, v[0:1], off
	s_waitcnt vmcnt(0)
	v_fmac_f32_e32 v2, s33, v57
	global_store_dword v[0:1], v2, off
.LBB16_59:                              ;   in Loop: Header=BB16_4 Depth=1
	s_or_b64 exec, exec, s[10:11]
	v_add_u32_e32 v0, 16, v32
	v_ashrrev_i32_e32 v1, 31, v0
	v_cmp_gt_i32_e64 s[8:9], s30, v0
	v_mul_lo_u32 v2, v1, s44
	v_mul_lo_u32 v3, v0, s45
	v_mad_u64_u32 v[0:1], s[10:11], v0, s44, 0
	v_add3_u32 v1, v1, v3, v2
	v_lshlrev_b64 v[0:1], 2, v[0:1]
	v_mov_b32_e32 v2, s47
	v_add_co_u32_e64 v0, s[10:11], s46, v0
	v_addc_co_u32_e64 v1, s[10:11], v2, v1, s[10:11]
	s_and_b64 s[10:11], s[2:3], s[8:9]
	s_and_saveexec_b64 s[12:13], s[10:11]
	s_cbranch_execz .LBB16_61
; %bb.60:                               ;   in Loop: Header=BB16_4 Depth=1
	v_add_co_u32_e64 v2, s[10:11], v0, v24
	v_addc_co_u32_e64 v3, s[10:11], v1, v25, s[10:11]
	global_load_dword v4, v[2:3], off
	s_waitcnt vmcnt(0)
	v_fmac_f32_e32 v4, s33, v56
	global_store_dword v[2:3], v4, off
.LBB16_61:                              ;   in Loop: Header=BB16_4 Depth=1
	s_or_b64 exec, exec, s[12:13]
	s_and_b64 s[8:9], s[4:5], s[8:9]
	s_and_saveexec_b64 s[10:11], s[8:9]
	s_cbranch_execz .LBB16_3
; %bb.62:                               ;   in Loop: Header=BB16_4 Depth=1
	v_lshlrev_b64 v[2:3], 2, v[18:19]
	v_add_co_u32_e64 v0, s[8:9], v0, v2
	v_addc_co_u32_e64 v1, s[8:9], v1, v3, s[8:9]
	global_load_dword v2, v[0:1], off
	s_waitcnt vmcnt(0)
	v_fmac_f32_e32 v2, s33, v21
	global_store_dword v[0:1], v2, off
	s_branch .LBB16_3
.LBB16_63:
	s_endpgm
	.section	.rodata,"a",@progbits
	.p2align	6, 0x0
	.amdhsa_kernel _ZL30rocblas_trmm_outofplace_kernelIfLi32ELi2ELb0ELb0ELb1ELb0EPKfS0_fEv17rocblas_diagonal_iiT6_lPT7_lllS5_lllPT8_llli
		.amdhsa_group_segment_fixed_size 8192
		.amdhsa_private_segment_fixed_size 0
		.amdhsa_kernarg_size 392
		.amdhsa_user_sgpr_count 6
		.amdhsa_user_sgpr_private_segment_buffer 1
		.amdhsa_user_sgpr_dispatch_ptr 0
		.amdhsa_user_sgpr_queue_ptr 0
		.amdhsa_user_sgpr_kernarg_segment_ptr 1
		.amdhsa_user_sgpr_dispatch_id 0
		.amdhsa_user_sgpr_flat_scratch_init 0
		.amdhsa_user_sgpr_kernarg_preload_length 0
		.amdhsa_user_sgpr_kernarg_preload_offset 0
		.amdhsa_user_sgpr_private_segment_size 0
		.amdhsa_uses_dynamic_stack 0
		.amdhsa_system_sgpr_private_segment_wavefront_offset 0
		.amdhsa_system_sgpr_workgroup_id_x 1
		.amdhsa_system_sgpr_workgroup_id_y 1
		.amdhsa_system_sgpr_workgroup_id_z 1
		.amdhsa_system_sgpr_workgroup_info 0
		.amdhsa_system_vgpr_workitem_id 1
		.amdhsa_next_free_vgpr 70
		.amdhsa_next_free_sgpr 50
		.amdhsa_accum_offset 72
		.amdhsa_reserve_vcc 1
		.amdhsa_reserve_flat_scratch 0
		.amdhsa_float_round_mode_32 0
		.amdhsa_float_round_mode_16_64 0
		.amdhsa_float_denorm_mode_32 3
		.amdhsa_float_denorm_mode_16_64 3
		.amdhsa_dx10_clamp 1
		.amdhsa_ieee_mode 1
		.amdhsa_fp16_overflow 0
		.amdhsa_tg_split 0
		.amdhsa_exception_fp_ieee_invalid_op 0
		.amdhsa_exception_fp_denorm_src 0
		.amdhsa_exception_fp_ieee_div_zero 0
		.amdhsa_exception_fp_ieee_overflow 0
		.amdhsa_exception_fp_ieee_underflow 0
		.amdhsa_exception_fp_ieee_inexact 0
		.amdhsa_exception_int_div_zero 0
	.end_amdhsa_kernel
	.section	.text._ZL30rocblas_trmm_outofplace_kernelIfLi32ELi2ELb0ELb0ELb1ELb0EPKfS0_fEv17rocblas_diagonal_iiT6_lPT7_lllS5_lllPT8_llli,"axG",@progbits,_ZL30rocblas_trmm_outofplace_kernelIfLi32ELi2ELb0ELb0ELb1ELb0EPKfS0_fEv17rocblas_diagonal_iiT6_lPT7_lllS5_lllPT8_llli,comdat
.Lfunc_end16:
	.size	_ZL30rocblas_trmm_outofplace_kernelIfLi32ELi2ELb0ELb0ELb1ELb0EPKfS0_fEv17rocblas_diagonal_iiT6_lPT7_lllS5_lllPT8_llli, .Lfunc_end16-_ZL30rocblas_trmm_outofplace_kernelIfLi32ELi2ELb0ELb0ELb1ELb0EPKfS0_fEv17rocblas_diagonal_iiT6_lPT7_lllS5_lllPT8_llli
                                        ; -- End function
	.section	.AMDGPU.csdata,"",@progbits
; Kernel info:
; codeLenInByte = 3276
; NumSgprs: 54
; NumVgprs: 70
; NumAgprs: 0
; TotalNumVgprs: 70
; ScratchSize: 0
; MemoryBound: 0
; FloatMode: 240
; IeeeMode: 1
; LDSByteSize: 8192 bytes/workgroup (compile time only)
; SGPRBlocks: 6
; VGPRBlocks: 8
; NumSGPRsForWavesPerEU: 54
; NumVGPRsForWavesPerEU: 70
; AccumOffset: 72
; Occupancy: 7
; WaveLimiterHint : 0
; COMPUTE_PGM_RSRC2:SCRATCH_EN: 0
; COMPUTE_PGM_RSRC2:USER_SGPR: 6
; COMPUTE_PGM_RSRC2:TRAP_HANDLER: 0
; COMPUTE_PGM_RSRC2:TGID_X_EN: 1
; COMPUTE_PGM_RSRC2:TGID_Y_EN: 1
; COMPUTE_PGM_RSRC2:TGID_Z_EN: 1
; COMPUTE_PGM_RSRC2:TIDIG_COMP_CNT: 1
; COMPUTE_PGM_RSRC3_GFX90A:ACCUM_OFFSET: 17
; COMPUTE_PGM_RSRC3_GFX90A:TG_SPLIT: 0
	.section	.text._ZL30rocblas_trmm_outofplace_kernelIfLi32ELi2ELb0ELb0ELb1ELb0EfKffEv17rocblas_diagonal_iiT6_lPT7_lllS4_lllPT8_llli,"axG",@progbits,_ZL30rocblas_trmm_outofplace_kernelIfLi32ELi2ELb0ELb0ELb1ELb0EfKffEv17rocblas_diagonal_iiT6_lPT7_lllS4_lllPT8_llli,comdat
	.globl	_ZL30rocblas_trmm_outofplace_kernelIfLi32ELi2ELb0ELb0ELb1ELb0EfKffEv17rocblas_diagonal_iiT6_lPT7_lllS4_lllPT8_llli ; -- Begin function _ZL30rocblas_trmm_outofplace_kernelIfLi32ELi2ELb0ELb0ELb1ELb0EfKffEv17rocblas_diagonal_iiT6_lPT7_lllS4_lllPT8_llli
	.p2align	8
	.type	_ZL30rocblas_trmm_outofplace_kernelIfLi32ELi2ELb0ELb0ELb1ELb0EfKffEv17rocblas_diagonal_iiT6_lPT7_lllS4_lllPT8_llli,@function
_ZL30rocblas_trmm_outofplace_kernelIfLi32ELi2ELb0ELb0ELb1ELb0EfKffEv17rocblas_diagonal_iiT6_lPT7_lllS4_lllPT8_llli: ; @_ZL30rocblas_trmm_outofplace_kernelIfLi32ELi2ELb0ELb0ELb1ELb0EfKffEv17rocblas_diagonal_iiT6_lPT7_lllS4_lllPT8_llli
; %bb.0:
	s_load_dwordx4 s[28:31], s[4:5], 0x0
	s_waitcnt lgkmcnt(0)
	v_cmp_eq_f32_e64 s[0:1], s31, 0
	s_and_b64 vcc, exec, s[0:1]
	s_cbranch_vccnz .LBB17_63
; %bb.1:
	s_add_i32 s0, s30, -1
	s_ashr_i32 s1, s0, 31
	s_lshr_b32 s1, s1, 27
	s_add_i32 s0, s0, s1
	s_ashr_i32 s33, s0, 5
	s_cmp_gt_i32 s7, s33
	s_cbranch_scc1 .LBB17_63
; %bb.2:
	s_load_dwordx16 s[12:27], s[4:5], 0x18
	s_load_dwordx8 s[36:43], s[4:5], 0x58
	v_and_b32_e32 v14, 0x3ff, v0
	v_bfe_u32 v12, v0, 10, 10
	v_lshl_add_u32 v0, s6, 5, v14
	s_waitcnt lgkmcnt(0)
	s_mul_i32 s1, s8, s19
	s_mul_hi_u32 s2, s8, s18
	s_mul_i32 s0, s8, s18
	s_add_i32 s1, s2, s1
	s_lshl_b64 s[18:19], s[0:1], 2
	s_add_u32 s0, s12, s18
	s_addc_u32 s1, s13, s19
	s_lshl_b64 s[14:15], s[14:15], 2
	s_add_u32 s2, s0, s14
	s_addc_u32 s3, s1, s15
	s_mul_i32 s0, s8, s43
	s_mul_hi_u32 s1, s8, s42
	s_add_i32 s1, s1, s0
	s_mul_i32 s0, s8, s42
	s_lshl_b64 s[0:1], s[0:1], 2
	s_add_u32 s9, s36, s0
	s_addc_u32 s10, s37, s1
	s_lshl_b64 s[0:1], s[38:39], 2
	s_add_u32 s46, s9, s0
	s_addc_u32 s47, s10, s1
	v_mad_u64_u32 v[2:3], s[0:1], v14, s16, 0
	v_mov_b32_e32 v4, v3
	v_mad_u64_u32 v[4:5], s[0:1], v14, s17, v[4:5]
	v_mov_b32_e32 v3, v4
	v_lshlrev_b64 v[2:3], 2, v[2:3]
	v_mov_b32_e32 v4, s3
	v_add_co_u32_e32 v16, vcc, s2, v2
	s_cmpk_eq_i32 s28, 0x84
	v_addc_co_u32_e32 v17, vcc, v4, v3, vcc
	s_cselect_b64 s[34:35], -1, 0
	s_ashr_i32 s0, s29, 31
	v_ashrrev_i32_e32 v1, 31, v0
	v_mov_b32_e32 v3, s0
	v_sub_co_u32_e32 v2, vcc, s29, v0
	v_subb_co_u32_e32 v3, vcc, v3, v1, vcc
	v_sub_co_u32_e64 v54, s[10:11], 0, v14
	s_load_dword s6, s[4:5], 0x84
	v_cmp_gt_i64_e32 vcc, 1, v[2:3]
	v_cmp_gt_i64_e64 s[0:1], 17, v[2:3]
	v_subb_co_u32_e64 v55, s[10:11], 0, 0, s[10:11]
	v_mad_u64_u32 v[2:3], s[10:11], s24, v12, 0
	v_mov_b32_e32 v4, v3
	s_ashr_i32 s37, s30, 31
	s_lshl_b64 s[38:39], s[16:17], 7
	s_lshl_b64 s[42:43], s[24:25], 7
	v_mad_u64_u32 v[4:5], s[10:11], s25, v12, v[4:5]
	s_add_u32 s44, s30, -16
	s_mul_i32 s9, s27, s8
	s_mul_hi_u32 s10, s26, s8
	s_addc_u32 s45, s37, -1
	s_add_i32 s9, s10, s9
	s_mul_i32 s8, s26, s8
	s_waitcnt lgkmcnt(0)
	s_lshl_b32 s48, s6, 5
	s_lshl_b64 s[8:9], s[8:9], 2
	s_lshl_b64 s[10:11], s[22:23], 2
	s_add_u32 s8, s8, s10
	s_addc_u32 s9, s9, s11
	s_add_u32 s8, s20, s8
	v_lshlrev_b64 v[24:25], 2, v[0:1]
	s_addc_u32 s9, s21, s9
	v_cmp_gt_i32_e64 s[2:3], s29, v0
	v_add_u32_e32 v18, 16, v0
	v_mov_b32_e32 v0, s9
	v_add_co_u32_e64 v1, s[8:9], s8, v24
	v_addc_co_u32_e64 v0, s[8:9], v0, v25, s[8:9]
	v_add_co_u32_e64 v26, s[8:9], 64, v1
	v_addc_co_u32_e64 v27, s[8:9], 0, v0, s[8:9]
	s_add_u32 s8, s12, s14
	s_addc_u32 s9, s13, s15
	s_add_u32 s8, s8, s18
	v_lshlrev_b32_e32 v6, 2, v14
	v_mov_b32_e32 v3, v4
	s_addc_u32 s9, s9, s19
	v_lshlrev_b64 v[22:23], 2, v[2:3]
	v_add_u32_e32 v2, 64, v6
	v_pk_mov_b32 v[0:1], s[8:9], s[8:9] op_sel:[0,1]
	v_mad_u64_u32 v[28:29], s[8:9], s16, v2, v[0:1]
	v_mov_b32_e32 v0, v29
	v_mad_u64_u32 v[0:1], s[8:9], s17, v2, v[0:1]
	v_lshl_add_u32 v1, v12, 2, 64
	v_mad_u64_u32 v[30:31], s[8:9], s24, v1, 0
	v_mov_b32_e32 v29, v0
	v_mov_b32_e32 v0, v31
	v_lshlrev_b32_e32 v50, 7, v12
	v_or_b32_e32 v52, 0x1000, v6
	v_mad_u64_u32 v[0:1], s[8:9], s25, v1, v[0:1]
	v_mov_b32_e32 v15, 0
	s_mov_b32 s36, s30
	v_add_u32_e32 v51, v50, v6
	v_add_u32_e32 v53, v52, v50
	v_cmp_gt_i32_e64 s[4:5], s29, v18
	v_ashrrev_i32_e32 v19, 31, v18
	v_lshl_add_u32 v20, s7, 5, v12
	v_mov_b32_e32 v13, v0
	v_mov_b32_e32 v31, 1.0
	s_branch .LBB17_4
.LBB17_3:                               ;   in Loop: Header=BB17_4 Depth=1
	s_or_b64 exec, exec, s[10:11]
	s_add_i32 s7, s6, s7
	s_cmp_le_i32 s7, s33
	v_add_u32_e32 v20, s48, v20
	s_cbranch_scc0 .LBB17_63
.LBB17_4:                               ; =>This Loop Header: Depth=1
                                        ;     Child Loop BB17_7 Depth 2
	s_lshl_b32 s49, s7, 5
	v_add_u32_e32 v32, s49, v12
	v_ashrrev_i32_e32 v33, 31, v32
	s_cmp_lt_i32 s7, 0
	v_mov_b32_e32 v58, 0
	v_mov_b32_e32 v57, 0
	;; [unrolled: 1-line block ×4, first 2 shown]
	s_cbranch_scc1 .LBB17_55
; %bb.5:                                ;   in Loop: Header=BB17_4 Depth=1
	v_ashrrev_i32_e32 v21, 31, v20
	v_add_co_u32_e64 v34, s[8:9], v54, v20
	v_addc_co_u32_e64 v35, s[8:9], v55, v21, s[8:9]
	v_add_co_u32_e64 v40, s[10:11], 16, v34
	v_add_co_u32_e64 v38, s[8:9], 16, v32
	v_addc_co_u32_e64 v41, s[10:11], 0, v35, s[10:11]
	v_addc_co_u32_e64 v39, s[8:9], 0, v33, s[8:9]
	v_add_co_u32_e64 v42, s[10:11], -16, v34
	v_lshlrev_b64 v[36:37], 2, v[20:21]
	v_cmp_le_i32_e64 s[16:17], s30, v32
	v_cmp_le_i64_e64 s[8:9], s[36:37], v[38:39]
	v_addc_co_u32_e64 v43, s[10:11], -1, v35, s[10:11]
	s_mov_b64 s[20:21], 0
	v_mov_b32_e32 v21, 0
	v_pk_mov_b32 v[44:45], v[16:17], v[16:17] op_sel:[0,1]
	v_pk_mov_b32 v[46:47], v[28:29], v[28:29] op_sel:[0,1]
	;; [unrolled: 1-line block ×3, first 2 shown]
	v_mov_b32_e32 v56, 0
	v_mov_b32_e32 v57, 0
	;; [unrolled: 1-line block ×3, first 2 shown]
	s_branch .LBB17_7
.LBB17_6:                               ;   in Loop: Header=BB17_7 Depth=2
	s_or_b64 exec, exec, s[10:11]
	s_waitcnt lgkmcnt(0)
	s_barrier
	ds_read_b128 v[60:63], v50
	ds_read_b128 v[8:11], v50 offset:16
	ds_read_b128 v[4:7], v50 offset:32
	;; [unrolled: 1-line block ×3, first 2 shown]
	ds_read2_b32 v[68:69], v52 offset1:16
	ds_read_b128 v[64:67], v50 offset:2048
	v_add_u32_e32 v59, 0x400, v52
	v_add_co_u32_e64 v48, s[10:11], s42, v48
	s_waitcnt lgkmcnt(1)
	v_fmac_f32_e32 v58, v68, v60
	v_fmac_f32_e32 v57, v69, v60
	s_waitcnt lgkmcnt(0)
	v_fmac_f32_e32 v56, v68, v64
	v_fmac_f32_e32 v21, v69, v64
	ds_read2_b32 v[68:69], v52 offset0:32 offset1:48
	s_add_u32 s20, s20, 32
	s_addc_u32 s21, s21, 0
	s_sub_i32 s12, s20, 32
	s_cmp_ge_i32 s12, s49
	s_waitcnt lgkmcnt(0)
	v_fmac_f32_e32 v58, v68, v61
	v_fmac_f32_e32 v57, v69, v61
	ds_read2_b32 v[60:61], v52 offset0:64 offset1:80
	v_fmac_f32_e32 v56, v68, v65
	v_fmac_f32_e32 v21, v69, v65
	ds_read2_b32 v[64:65], v52 offset0:128 offset1:144
	s_waitcnt lgkmcnt(1)
	v_fmac_f32_e32 v58, v60, v62
	v_fmac_f32_e32 v57, v61, v62
	;; [unrolled: 1-line block ×4, first 2 shown]
	ds_read2_b32 v[60:61], v52 offset0:96 offset1:112
	s_waitcnt lgkmcnt(0)
	v_fmac_f32_e32 v58, v60, v63
	v_fmac_f32_e32 v57, v61, v63
	;; [unrolled: 1-line block ×4, first 2 shown]
	ds_read_b128 v[60:63], v50 offset:2064
	v_fmac_f32_e32 v58, v64, v8
	v_fmac_f32_e32 v57, v65, v8
	s_waitcnt lgkmcnt(0)
	v_fmac_f32_e32 v56, v64, v60
	v_fmac_f32_e32 v21, v65, v60
	ds_read2_b32 v[64:65], v52 offset0:160 offset1:176
	s_waitcnt lgkmcnt(0)
	v_fmac_f32_e32 v58, v64, v9
	v_fmac_f32_e32 v57, v65, v9
	ds_read2_b32 v[8:9], v52 offset0:192 offset1:208
	v_fmac_f32_e32 v56, v64, v61
	v_fmac_f32_e32 v21, v65, v61
	ds_read2_b32 v[60:61], v59 offset1:16
	s_waitcnt lgkmcnt(1)
	v_fmac_f32_e32 v58, v8, v10
	v_fmac_f32_e32 v57, v9, v10
	;; [unrolled: 1-line block ×4, first 2 shown]
	ds_read2_b32 v[8:9], v52 offset0:224 offset1:240
	s_waitcnt lgkmcnt(0)
	v_fmac_f32_e32 v58, v8, v11
	v_fmac_f32_e32 v57, v9, v11
	;; [unrolled: 1-line block ×4, first 2 shown]
	ds_read_b128 v[8:11], v50 offset:2080
	v_fmac_f32_e32 v58, v60, v4
	v_fmac_f32_e32 v57, v61, v4
	s_waitcnt lgkmcnt(0)
	v_fmac_f32_e32 v56, v60, v8
	v_fmac_f32_e32 v21, v61, v8
	ds_read2_b32 v[60:61], v59 offset0:32 offset1:48
	s_waitcnt lgkmcnt(0)
	v_fmac_f32_e32 v58, v60, v5
	v_fmac_f32_e32 v57, v61, v5
	ds_read2_b32 v[4:5], v59 offset0:64 offset1:80
	v_fmac_f32_e32 v56, v60, v9
	v_fmac_f32_e32 v21, v61, v9
	ds_read2_b32 v[8:9], v59 offset0:128 offset1:144
	s_waitcnt lgkmcnt(1)
	v_fmac_f32_e32 v58, v4, v6
	v_fmac_f32_e32 v57, v5, v6
	;; [unrolled: 1-line block ×4, first 2 shown]
	ds_read2_b32 v[4:5], v59 offset0:96 offset1:112
	v_add_u32_e32 v10, 0x800, v52
	s_waitcnt lgkmcnt(0)
	v_fmac_f32_e32 v58, v4, v7
	v_fmac_f32_e32 v57, v5, v7
	;; [unrolled: 1-line block ×4, first 2 shown]
	ds_read_b128 v[4:7], v50 offset:2096
	v_fmac_f32_e32 v58, v8, v0
	v_fmac_f32_e32 v57, v9, v0
	s_waitcnt lgkmcnt(0)
	v_fmac_f32_e32 v56, v8, v4
	v_fmac_f32_e32 v21, v9, v4
	ds_read2_b32 v[8:9], v59 offset0:160 offset1:176
	s_waitcnt lgkmcnt(0)
	v_fmac_f32_e32 v58, v8, v1
	v_fmac_f32_e32 v57, v9, v1
	ds_read2_b32 v[0:1], v59 offset0:192 offset1:208
	v_fmac_f32_e32 v56, v8, v5
	v_fmac_f32_e32 v21, v9, v5
	ds_read2_b32 v[8:9], v10 offset1:16
	s_waitcnt lgkmcnt(1)
	v_fmac_f32_e32 v58, v0, v2
	v_fmac_f32_e32 v57, v1, v2
	;; [unrolled: 1-line block ×4, first 2 shown]
	ds_read2_b32 v[0:1], v59 offset0:224 offset1:240
	s_waitcnt lgkmcnt(0)
	v_fmac_f32_e32 v58, v0, v3
	v_fmac_f32_e32 v57, v1, v3
	;; [unrolled: 1-line block ×4, first 2 shown]
	ds_read_b128 v[0:3], v50 offset:64
	ds_read_b128 v[4:7], v50 offset:2112
	s_waitcnt lgkmcnt(1)
	v_fmac_f32_e32 v58, v8, v0
	v_fmac_f32_e32 v57, v9, v0
	s_waitcnt lgkmcnt(0)
	v_fmac_f32_e32 v56, v8, v4
	v_fmac_f32_e32 v21, v9, v4
	ds_read2_b32 v[8:9], v10 offset0:32 offset1:48
	s_waitcnt lgkmcnt(0)
	v_fmac_f32_e32 v58, v8, v1
	v_fmac_f32_e32 v57, v9, v1
	ds_read2_b32 v[0:1], v10 offset0:64 offset1:80
	v_fmac_f32_e32 v56, v8, v5
	v_fmac_f32_e32 v21, v9, v5
	s_waitcnt lgkmcnt(0)
	v_fmac_f32_e32 v58, v0, v2
	v_fmac_f32_e32 v57, v1, v2
	;; [unrolled: 1-line block ×4, first 2 shown]
	ds_read2_b32 v[0:1], v10 offset0:96 offset1:112
	s_waitcnt lgkmcnt(0)
	v_fmac_f32_e32 v58, v0, v3
	v_fmac_f32_e32 v57, v1, v3
	;; [unrolled: 1-line block ×4, first 2 shown]
	ds_read_b128 v[0:3], v50 offset:80
	ds_read2_b32 v[8:9], v10 offset0:128 offset1:144
	ds_read_b128 v[4:7], v50 offset:2128
	s_waitcnt lgkmcnt(1)
	v_fmac_f32_e32 v58, v8, v0
	v_fmac_f32_e32 v57, v9, v0
	s_waitcnt lgkmcnt(0)
	v_fmac_f32_e32 v56, v8, v4
	v_fmac_f32_e32 v21, v9, v4
	ds_read2_b32 v[8:9], v10 offset0:160 offset1:176
	s_waitcnt lgkmcnt(0)
	v_fmac_f32_e32 v58, v8, v1
	v_fmac_f32_e32 v57, v9, v1
	ds_read2_b32 v[0:1], v10 offset0:192 offset1:208
	v_fmac_f32_e32 v56, v8, v5
	v_fmac_f32_e32 v21, v9, v5
	s_waitcnt lgkmcnt(0)
	v_fmac_f32_e32 v58, v0, v2
	v_fmac_f32_e32 v57, v1, v2
	v_fmac_f32_e32 v56, v0, v6
	v_fmac_f32_e32 v21, v1, v6
	ds_read2_b32 v[0:1], v10 offset0:224 offset1:240
	v_add_u32_e32 v10, 0xc00, v52
	ds_read2_b32 v[8:9], v10 offset1:16
	s_waitcnt lgkmcnt(1)
	v_fmac_f32_e32 v58, v0, v3
	v_fmac_f32_e32 v57, v1, v3
	;; [unrolled: 1-line block ×4, first 2 shown]
	ds_read_b128 v[0:3], v50 offset:96
	ds_read_b128 v[4:7], v50 offset:2144
	s_waitcnt lgkmcnt(1)
	v_fmac_f32_e32 v58, v8, v0
	v_fmac_f32_e32 v57, v9, v0
	s_waitcnt lgkmcnt(0)
	v_fmac_f32_e32 v56, v8, v4
	v_fmac_f32_e32 v21, v9, v4
	ds_read2_b32 v[8:9], v10 offset0:32 offset1:48
	s_waitcnt lgkmcnt(0)
	v_fmac_f32_e32 v58, v8, v1
	v_fmac_f32_e32 v57, v9, v1
	ds_read2_b32 v[0:1], v10 offset0:64 offset1:80
	v_fmac_f32_e32 v56, v8, v5
	v_fmac_f32_e32 v21, v9, v5
	s_waitcnt lgkmcnt(0)
	v_fmac_f32_e32 v58, v0, v2
	v_fmac_f32_e32 v57, v1, v2
	;; [unrolled: 1-line block ×4, first 2 shown]
	ds_read2_b32 v[0:1], v10 offset0:96 offset1:112
	s_waitcnt lgkmcnt(0)
	v_fmac_f32_e32 v58, v0, v3
	v_fmac_f32_e32 v57, v1, v3
	;; [unrolled: 1-line block ×4, first 2 shown]
	ds_read_b128 v[0:3], v50 offset:112
	ds_read2_b32 v[8:9], v10 offset0:128 offset1:144
	ds_read_b128 v[4:7], v50 offset:2160
	s_waitcnt lgkmcnt(1)
	v_fmac_f32_e32 v58, v8, v0
	v_fmac_f32_e32 v57, v9, v0
	s_waitcnt lgkmcnt(0)
	v_fmac_f32_e32 v56, v8, v4
	v_fmac_f32_e32 v21, v9, v4
	ds_read2_b32 v[8:9], v10 offset0:160 offset1:176
	s_waitcnt lgkmcnt(0)
	v_fmac_f32_e32 v58, v8, v1
	v_fmac_f32_e32 v57, v9, v1
	ds_read2_b32 v[0:1], v10 offset0:192 offset1:208
	v_fmac_f32_e32 v56, v8, v5
	v_fmac_f32_e32 v21, v9, v5
	s_waitcnt lgkmcnt(0)
	v_fmac_f32_e32 v58, v0, v2
	v_fmac_f32_e32 v57, v1, v2
	;; [unrolled: 1-line block ×4, first 2 shown]
	ds_read2_b32 v[0:1], v10 offset0:224 offset1:240
	s_waitcnt lgkmcnt(0)
	s_barrier
	v_fmac_f32_e32 v58, v0, v3
	v_fmac_f32_e32 v56, v0, v7
	v_mov_b32_e32 v0, s43
	v_addc_co_u32_e64 v49, s[10:11], v49, v0, s[10:11]
	v_add_co_u32_e64 v46, s[10:11], s38, v46
	v_mov_b32_e32 v0, s39
	v_addc_co_u32_e64 v47, s[10:11], v47, v0, s[10:11]
	v_add_co_u32_e64 v44, s[10:11], s38, v44
	v_fmac_f32_e32 v57, v1, v3
	v_fmac_f32_e32 v21, v1, v7
	v_addc_co_u32_e64 v45, s[10:11], v45, v0, s[10:11]
	s_cbranch_scc1 .LBB17_55
.LBB17_7:                               ;   Parent Loop BB17_4 Depth=1
                                        ; =>  This Inner Loop Header: Depth=2
	v_mov_b32_e32 v0, s21
	v_add_co_u32_e64 v2, s[10:11], s20, v14
	v_addc_co_u32_e64 v3, s[10:11], 0, v0, s[10:11]
	v_add_co_u32_e64 v0, s[10:11], v44, v36
	v_addc_co_u32_e64 v1, s[10:11], v45, v37, s[10:11]
	v_cmp_eq_u64_e64 s[10:11], s[20:21], v[34:35]
	s_and_b64 s[24:25], s[34:35], s[10:11]
	v_cmp_gt_i64_e64 s[10:11], v[2:3], v[32:33]
	s_or_b64 s[14:15], s[16:17], s[10:11]
	v_cmp_le_i64_e64 s[12:13], s[36:37], v[2:3]
	s_or_b64 s[14:15], s[14:15], s[24:25]
	s_or_b64 s[14:15], s[12:13], s[14:15]
	s_xor_b64 s[14:15], s[14:15], -1
	s_and_saveexec_b64 s[18:19], s[14:15]
	s_xor_b64 s[14:15], exec, s[18:19]
	s_cbranch_execz .LBB17_9
; %bb.8:                                ;   in Loop: Header=BB17_7 Depth=2
	global_load_dword v4, v[0:1], off
	s_waitcnt vmcnt(0)
	ds_write_b32 v51, v4
.LBB17_9:                               ;   in Loop: Header=BB17_7 Depth=2
	s_or_saveexec_b64 s[14:15], s[14:15]
	s_xor_b64 s[22:23], s[24:25], -1
	s_xor_b64 exec, exec, s[14:15]
	s_cbranch_execz .LBB17_15
; %bb.10:                               ;   in Loop: Header=BB17_7 Depth=2
	s_and_saveexec_b64 s[18:19], s[22:23]
	s_xor_b64 s[18:19], exec, s[18:19]
	s_cbranch_execz .LBB17_12
; %bb.11:                               ;   in Loop: Header=BB17_7 Depth=2
	ds_write_b32 v51, v15
.LBB17_12:                              ;   in Loop: Header=BB17_7 Depth=2
	s_andn2_saveexec_b64 s[18:19], s[18:19]
	s_cbranch_execz .LBB17_14
; %bb.13:                               ;   in Loop: Header=BB17_7 Depth=2
	ds_write_b32 v51, v31
.LBB17_14:                              ;   in Loop: Header=BB17_7 Depth=2
	s_or_b64 exec, exec, s[18:19]
.LBB17_15:                              ;   in Loop: Header=BB17_7 Depth=2
	s_or_b64 exec, exec, s[14:15]
	v_add_co_u32_e64 v4, s[14:15], 16, v2
	v_addc_co_u32_e64 v5, s[14:15], 0, v3, s[14:15]
	v_cmp_eq_u64_e64 s[14:15], s[20:21], v[42:43]
	v_cmp_gt_i64_e64 s[18:19], v[4:5], v[32:33]
	s_and_b64 s[26:27], s[34:35], s[14:15]
	s_or_b64 s[18:19], s[16:17], s[18:19]
	v_cmp_le_i64_e64 s[14:15], s[36:37], v[4:5]
	s_or_b64 s[18:19], s[18:19], s[26:27]
	s_or_b64 s[18:19], s[14:15], s[18:19]
	s_xor_b64 s[18:19], s[18:19], -1
	s_and_saveexec_b64 s[28:29], s[18:19]
	s_xor_b64 s[28:29], exec, s[28:29]
	s_cbranch_execz .LBB17_17
; %bb.16:                               ;   in Loop: Header=BB17_7 Depth=2
	v_add_co_u32_e64 v4, s[18:19], v46, v36
	v_addc_co_u32_e64 v5, s[18:19], v47, v37, s[18:19]
	global_load_dword v4, v[4:5], off
	s_waitcnt vmcnt(0)
	ds_write_b32 v51, v4 offset:64
.LBB17_17:                              ;   in Loop: Header=BB17_7 Depth=2
	s_andn2_saveexec_b64 s[18:19], s[28:29]
	s_cbranch_execz .LBB17_23
; %bb.18:                               ;   in Loop: Header=BB17_7 Depth=2
	s_xor_b64 s[26:27], s[26:27], -1
	s_and_saveexec_b64 s[28:29], s[26:27]
	s_xor_b64 s[26:27], exec, s[28:29]
	s_cbranch_execz .LBB17_20
; %bb.19:                               ;   in Loop: Header=BB17_7 Depth=2
	ds_write_b32 v51, v15 offset:64
.LBB17_20:                              ;   in Loop: Header=BB17_7 Depth=2
	s_andn2_saveexec_b64 s[26:27], s[26:27]
	s_cbranch_execz .LBB17_22
; %bb.21:                               ;   in Loop: Header=BB17_7 Depth=2
	ds_write_b32 v51, v31 offset:64
.LBB17_22:                              ;   in Loop: Header=BB17_7 Depth=2
	s_or_b64 exec, exec, s[26:27]
.LBB17_23:                              ;   in Loop: Header=BB17_7 Depth=2
	s_or_b64 exec, exec, s[18:19]
	v_cmp_eq_u64_e64 s[18:19], s[20:21], v[40:41]
	s_and_b64 s[26:27], s[34:35], s[18:19]
	v_cmp_gt_i64_e64 s[18:19], v[2:3], v[38:39]
	s_or_b64 s[18:19], s[8:9], s[18:19]
	s_or_b64 s[18:19], s[18:19], s[26:27]
	;; [unrolled: 1-line block ×3, first 2 shown]
	s_xor_b64 s[12:13], s[12:13], -1
	s_and_saveexec_b64 s[18:19], s[12:13]
	s_xor_b64 s[12:13], exec, s[18:19]
	s_cbranch_execz .LBB17_25
; %bb.24:                               ;   in Loop: Header=BB17_7 Depth=2
	global_load_dword v0, v[0:1], off offset:64
	s_waitcnt vmcnt(0)
	ds_write_b32 v51, v0 offset:2048
.LBB17_25:                              ;   in Loop: Header=BB17_7 Depth=2
	s_andn2_saveexec_b64 s[12:13], s[12:13]
	s_cbranch_execz .LBB17_31
; %bb.26:                               ;   in Loop: Header=BB17_7 Depth=2
	s_xor_b64 s[18:19], s[26:27], -1
	s_and_saveexec_b64 s[26:27], s[18:19]
	s_xor_b64 s[18:19], exec, s[26:27]
	s_cbranch_execz .LBB17_28
; %bb.27:                               ;   in Loop: Header=BB17_7 Depth=2
	ds_write_b32 v51, v15 offset:2048
.LBB17_28:                              ;   in Loop: Header=BB17_7 Depth=2
	s_andn2_saveexec_b64 s[18:19], s[18:19]
	s_cbranch_execz .LBB17_30
; %bb.29:                               ;   in Loop: Header=BB17_7 Depth=2
	ds_write_b32 v51, v31 offset:2048
.LBB17_30:                              ;   in Loop: Header=BB17_7 Depth=2
	s_or_b64 exec, exec, s[18:19]
.LBB17_31:                              ;   in Loop: Header=BB17_7 Depth=2
	s_or_b64 exec, exec, s[12:13]
	s_or_b64 s[10:11], s[8:9], s[10:11]
	s_or_b64 s[10:11], s[10:11], s[24:25]
	;; [unrolled: 1-line block ×3, first 2 shown]
	s_xor_b64 s[10:11], s[10:11], -1
	s_and_saveexec_b64 s[12:13], s[10:11]
	s_xor_b64 s[12:13], exec, s[12:13]
	s_cbranch_execz .LBB17_33
; %bb.32:                               ;   in Loop: Header=BB17_7 Depth=2
	v_add_co_u32_e64 v0, s[10:11], v46, v36
	v_addc_co_u32_e64 v1, s[10:11], v47, v37, s[10:11]
	global_load_dword v0, v[0:1], off offset:64
	s_waitcnt vmcnt(0)
	ds_write_b32 v51, v0 offset:2112
.LBB17_33:                              ;   in Loop: Header=BB17_7 Depth=2
	s_andn2_saveexec_b64 s[10:11], s[12:13]
	s_cbranch_execz .LBB17_39
; %bb.34:                               ;   in Loop: Header=BB17_7 Depth=2
	s_and_saveexec_b64 s[12:13], s[22:23]
	s_xor_b64 s[12:13], exec, s[12:13]
	s_cbranch_execz .LBB17_36
; %bb.35:                               ;   in Loop: Header=BB17_7 Depth=2
	ds_write_b32 v51, v15 offset:2112
.LBB17_36:                              ;   in Loop: Header=BB17_7 Depth=2
	s_andn2_saveexec_b64 s[12:13], s[12:13]
	s_cbranch_execz .LBB17_38
; %bb.37:                               ;   in Loop: Header=BB17_7 Depth=2
	ds_write_b32 v51, v31 offset:2112
.LBB17_38:                              ;   in Loop: Header=BB17_7 Depth=2
	s_or_b64 exec, exec, s[12:13]
.LBB17_39:                              ;   in Loop: Header=BB17_7 Depth=2
	s_or_b64 exec, exec, s[10:11]
	v_mov_b32_e32 v1, s21
	v_add_co_u32_e64 v0, s[10:11], s20, v12
	v_addc_co_u32_e64 v1, s[10:11], 0, v1, s[10:11]
	v_add_co_u32_e64 v2, s[10:11], v48, v22
	v_addc_co_u32_e64 v3, s[10:11], v49, v23, s[10:11]
	v_cmp_le_i64_e64 s[10:11], s[36:37], v[0:1]
	s_or_b64 s[12:13], s[10:11], vcc
	s_xor_b64 s[12:13], s[12:13], -1
	s_and_saveexec_b64 s[14:15], s[12:13]
	s_xor_b64 s[12:13], exec, s[14:15]
	s_cbranch_execz .LBB17_41
; %bb.40:                               ;   in Loop: Header=BB17_7 Depth=2
	global_load_dword v4, v[2:3], off offset:-64
	s_waitcnt vmcnt(0)
	ds_write_b32 v53, v4
.LBB17_41:                              ;   in Loop: Header=BB17_7 Depth=2
	s_andn2_saveexec_b64 s[12:13], s[12:13]
	s_cbranch_execz .LBB17_43
; %bb.42:                               ;   in Loop: Header=BB17_7 Depth=2
	ds_write_b32 v53, v15
.LBB17_43:                              ;   in Loop: Header=BB17_7 Depth=2
	s_or_b64 exec, exec, s[12:13]
	s_or_b64 s[10:11], s[10:11], s[0:1]
	s_xor_b64 s[10:11], s[10:11], -1
	s_and_saveexec_b64 s[12:13], s[10:11]
	s_xor_b64 s[10:11], exec, s[12:13]
	s_cbranch_execz .LBB17_45
; %bb.44:                               ;   in Loop: Header=BB17_7 Depth=2
	global_load_dword v2, v[2:3], off
	s_waitcnt vmcnt(0)
	ds_write_b32 v53, v2 offset:64
.LBB17_45:                              ;   in Loop: Header=BB17_7 Depth=2
	s_andn2_saveexec_b64 s[10:11], s[10:11]
	s_cbranch_execz .LBB17_47
; %bb.46:                               ;   in Loop: Header=BB17_7 Depth=2
	ds_write_b32 v53, v15 offset:64
.LBB17_47:                              ;   in Loop: Header=BB17_7 Depth=2
	s_or_b64 exec, exec, s[10:11]
	v_cmp_le_i64_e64 s[10:11], s[44:45], v[0:1]
	s_or_b64 s[12:13], s[10:11], vcc
	s_xor_b64 s[12:13], s[12:13], -1
	s_and_saveexec_b64 s[14:15], s[12:13]
	s_xor_b64 s[14:15], exec, s[14:15]
	s_cbranch_execz .LBB17_49
; %bb.48:                               ;   in Loop: Header=BB17_7 Depth=2
	v_add_co_u32_e64 v0, s[12:13], v48, v30
	v_addc_co_u32_e64 v1, s[12:13], v49, v13, s[12:13]
	global_load_dword v0, v[0:1], off offset:-64
	s_waitcnt vmcnt(0)
	ds_write_b32 v53, v0 offset:2048
.LBB17_49:                              ;   in Loop: Header=BB17_7 Depth=2
	s_andn2_saveexec_b64 s[12:13], s[14:15]
	s_cbranch_execz .LBB17_51
; %bb.50:                               ;   in Loop: Header=BB17_7 Depth=2
	ds_write_b32 v53, v15 offset:2048
.LBB17_51:                              ;   in Loop: Header=BB17_7 Depth=2
	s_or_b64 exec, exec, s[12:13]
	s_or_b64 s[10:11], s[10:11], s[0:1]
	s_xor_b64 s[10:11], s[10:11], -1
	s_and_saveexec_b64 s[12:13], s[10:11]
	s_xor_b64 s[12:13], exec, s[12:13]
	s_cbranch_execz .LBB17_53
; %bb.52:                               ;   in Loop: Header=BB17_7 Depth=2
	v_add_co_u32_e64 v0, s[10:11], v48, v30
	v_addc_co_u32_e64 v1, s[10:11], v49, v13, s[10:11]
	global_load_dword v0, v[0:1], off
	s_waitcnt vmcnt(0)
	ds_write_b32 v53, v0 offset:2112
.LBB17_53:                              ;   in Loop: Header=BB17_7 Depth=2
	s_andn2_saveexec_b64 s[10:11], s[12:13]
	s_cbranch_execz .LBB17_6
; %bb.54:                               ;   in Loop: Header=BB17_7 Depth=2
	ds_write_b32 v53, v15 offset:2112
	s_branch .LBB17_6
.LBB17_55:                              ;   in Loop: Header=BB17_4 Depth=1
	v_mul_lo_u32 v2, v33, s40
	v_mul_lo_u32 v3, v32, s41
	v_mad_u64_u32 v[0:1], s[10:11], v32, s40, 0
	v_add3_u32 v1, v1, v3, v2
	v_lshlrev_b64 v[0:1], 2, v[0:1]
	v_mov_b32_e32 v2, s47
	v_add_co_u32_e64 v0, s[10:11], s46, v0
	v_cmp_gt_i32_e64 s[8:9], s30, v32
	v_addc_co_u32_e64 v1, s[10:11], v2, v1, s[10:11]
	s_and_b64 s[10:11], s[2:3], s[8:9]
	s_and_saveexec_b64 s[12:13], s[10:11]
	s_cbranch_execz .LBB17_57
; %bb.56:                               ;   in Loop: Header=BB17_4 Depth=1
	v_add_co_u32_e64 v2, s[10:11], v0, v24
	v_addc_co_u32_e64 v3, s[10:11], v1, v25, s[10:11]
	global_load_dword v4, v[2:3], off
	s_waitcnt vmcnt(0)
	v_fmac_f32_e32 v4, s31, v58
	global_store_dword v[2:3], v4, off
.LBB17_57:                              ;   in Loop: Header=BB17_4 Depth=1
	s_or_b64 exec, exec, s[12:13]
	s_and_b64 s[8:9], s[4:5], s[8:9]
	s_and_saveexec_b64 s[10:11], s[8:9]
	s_cbranch_execz .LBB17_59
; %bb.58:                               ;   in Loop: Header=BB17_4 Depth=1
	v_lshlrev_b64 v[2:3], 2, v[18:19]
	v_add_co_u32_e64 v0, s[8:9], v0, v2
	v_addc_co_u32_e64 v1, s[8:9], v1, v3, s[8:9]
	global_load_dword v2, v[0:1], off
	s_waitcnt vmcnt(0)
	v_fmac_f32_e32 v2, s31, v57
	global_store_dword v[0:1], v2, off
.LBB17_59:                              ;   in Loop: Header=BB17_4 Depth=1
	s_or_b64 exec, exec, s[10:11]
	v_add_u32_e32 v0, 16, v32
	v_ashrrev_i32_e32 v1, 31, v0
	v_cmp_gt_i32_e64 s[8:9], s30, v0
	v_mul_lo_u32 v2, v1, s40
	v_mul_lo_u32 v3, v0, s41
	v_mad_u64_u32 v[0:1], s[10:11], v0, s40, 0
	v_add3_u32 v1, v1, v3, v2
	v_lshlrev_b64 v[0:1], 2, v[0:1]
	v_mov_b32_e32 v2, s47
	v_add_co_u32_e64 v0, s[10:11], s46, v0
	v_addc_co_u32_e64 v1, s[10:11], v2, v1, s[10:11]
	s_and_b64 s[10:11], s[2:3], s[8:9]
	s_and_saveexec_b64 s[12:13], s[10:11]
	s_cbranch_execz .LBB17_61
; %bb.60:                               ;   in Loop: Header=BB17_4 Depth=1
	v_add_co_u32_e64 v2, s[10:11], v0, v24
	v_addc_co_u32_e64 v3, s[10:11], v1, v25, s[10:11]
	global_load_dword v4, v[2:3], off
	s_waitcnt vmcnt(0)
	v_fmac_f32_e32 v4, s31, v56
	global_store_dword v[2:3], v4, off
.LBB17_61:                              ;   in Loop: Header=BB17_4 Depth=1
	s_or_b64 exec, exec, s[12:13]
	s_and_b64 s[8:9], s[4:5], s[8:9]
	s_and_saveexec_b64 s[10:11], s[8:9]
	s_cbranch_execz .LBB17_3
; %bb.62:                               ;   in Loop: Header=BB17_4 Depth=1
	v_lshlrev_b64 v[2:3], 2, v[18:19]
	v_add_co_u32_e64 v0, s[8:9], v0, v2
	v_addc_co_u32_e64 v1, s[8:9], v1, v3, s[8:9]
	global_load_dword v2, v[0:1], off
	s_waitcnt vmcnt(0)
	v_fmac_f32_e32 v2, s31, v21
	global_store_dword v[0:1], v2, off
	s_branch .LBB17_3
.LBB17_63:
	s_endpgm
	.section	.rodata,"a",@progbits
	.p2align	6, 0x0
	.amdhsa_kernel _ZL30rocblas_trmm_outofplace_kernelIfLi32ELi2ELb0ELb0ELb1ELb0EfKffEv17rocblas_diagonal_iiT6_lPT7_lllS4_lllPT8_llli
		.amdhsa_group_segment_fixed_size 8192
		.amdhsa_private_segment_fixed_size 0
		.amdhsa_kernarg_size 384
		.amdhsa_user_sgpr_count 6
		.amdhsa_user_sgpr_private_segment_buffer 1
		.amdhsa_user_sgpr_dispatch_ptr 0
		.amdhsa_user_sgpr_queue_ptr 0
		.amdhsa_user_sgpr_kernarg_segment_ptr 1
		.amdhsa_user_sgpr_dispatch_id 0
		.amdhsa_user_sgpr_flat_scratch_init 0
		.amdhsa_user_sgpr_kernarg_preload_length 0
		.amdhsa_user_sgpr_kernarg_preload_offset 0
		.amdhsa_user_sgpr_private_segment_size 0
		.amdhsa_uses_dynamic_stack 0
		.amdhsa_system_sgpr_private_segment_wavefront_offset 0
		.amdhsa_system_sgpr_workgroup_id_x 1
		.amdhsa_system_sgpr_workgroup_id_y 1
		.amdhsa_system_sgpr_workgroup_id_z 1
		.amdhsa_system_sgpr_workgroup_info 0
		.amdhsa_system_vgpr_workitem_id 1
		.amdhsa_next_free_vgpr 70
		.amdhsa_next_free_sgpr 50
		.amdhsa_accum_offset 72
		.amdhsa_reserve_vcc 1
		.amdhsa_reserve_flat_scratch 0
		.amdhsa_float_round_mode_32 0
		.amdhsa_float_round_mode_16_64 0
		.amdhsa_float_denorm_mode_32 3
		.amdhsa_float_denorm_mode_16_64 3
		.amdhsa_dx10_clamp 1
		.amdhsa_ieee_mode 1
		.amdhsa_fp16_overflow 0
		.amdhsa_tg_split 0
		.amdhsa_exception_fp_ieee_invalid_op 0
		.amdhsa_exception_fp_denorm_src 0
		.amdhsa_exception_fp_ieee_div_zero 0
		.amdhsa_exception_fp_ieee_overflow 0
		.amdhsa_exception_fp_ieee_underflow 0
		.amdhsa_exception_fp_ieee_inexact 0
		.amdhsa_exception_int_div_zero 0
	.end_amdhsa_kernel
	.section	.text._ZL30rocblas_trmm_outofplace_kernelIfLi32ELi2ELb0ELb0ELb1ELb0EfKffEv17rocblas_diagonal_iiT6_lPT7_lllS4_lllPT8_llli,"axG",@progbits,_ZL30rocblas_trmm_outofplace_kernelIfLi32ELi2ELb0ELb0ELb1ELb0EfKffEv17rocblas_diagonal_iiT6_lPT7_lllS4_lllPT8_llli,comdat
.Lfunc_end17:
	.size	_ZL30rocblas_trmm_outofplace_kernelIfLi32ELi2ELb0ELb0ELb1ELb0EfKffEv17rocblas_diagonal_iiT6_lPT7_lllS4_lllPT8_llli, .Lfunc_end17-_ZL30rocblas_trmm_outofplace_kernelIfLi32ELi2ELb0ELb0ELb1ELb0EfKffEv17rocblas_diagonal_iiT6_lPT7_lllS4_lllPT8_llli
                                        ; -- End function
	.section	.AMDGPU.csdata,"",@progbits
; Kernel info:
; codeLenInByte = 3232
; NumSgprs: 54
; NumVgprs: 70
; NumAgprs: 0
; TotalNumVgprs: 70
; ScratchSize: 0
; MemoryBound: 0
; FloatMode: 240
; IeeeMode: 1
; LDSByteSize: 8192 bytes/workgroup (compile time only)
; SGPRBlocks: 6
; VGPRBlocks: 8
; NumSGPRsForWavesPerEU: 54
; NumVGPRsForWavesPerEU: 70
; AccumOffset: 72
; Occupancy: 7
; WaveLimiterHint : 0
; COMPUTE_PGM_RSRC2:SCRATCH_EN: 0
; COMPUTE_PGM_RSRC2:USER_SGPR: 6
; COMPUTE_PGM_RSRC2:TRAP_HANDLER: 0
; COMPUTE_PGM_RSRC2:TGID_X_EN: 1
; COMPUTE_PGM_RSRC2:TGID_Y_EN: 1
; COMPUTE_PGM_RSRC2:TGID_Z_EN: 1
; COMPUTE_PGM_RSRC2:TIDIG_COMP_CNT: 1
; COMPUTE_PGM_RSRC3_GFX90A:ACCUM_OFFSET: 17
; COMPUTE_PGM_RSRC3_GFX90A:TG_SPLIT: 0
	.section	.text._ZL30rocblas_trmm_outofplace_kernelIfLi32ELi2ELb0ELb1ELb1ELb0EPKfS0_fEv17rocblas_diagonal_iiT6_lPT7_lllS5_lllPT8_llli,"axG",@progbits,_ZL30rocblas_trmm_outofplace_kernelIfLi32ELi2ELb0ELb1ELb1ELb0EPKfS0_fEv17rocblas_diagonal_iiT6_lPT7_lllS5_lllPT8_llli,comdat
	.globl	_ZL30rocblas_trmm_outofplace_kernelIfLi32ELi2ELb0ELb1ELb1ELb0EPKfS0_fEv17rocblas_diagonal_iiT6_lPT7_lllS5_lllPT8_llli ; -- Begin function _ZL30rocblas_trmm_outofplace_kernelIfLi32ELi2ELb0ELb1ELb1ELb0EPKfS0_fEv17rocblas_diagonal_iiT6_lPT7_lllS5_lllPT8_llli
	.p2align	8
	.type	_ZL30rocblas_trmm_outofplace_kernelIfLi32ELi2ELb0ELb1ELb1ELb0EPKfS0_fEv17rocblas_diagonal_iiT6_lPT7_lllS5_lllPT8_llli,@function
_ZL30rocblas_trmm_outofplace_kernelIfLi32ELi2ELb0ELb1ELb1ELb0EPKfS0_fEv17rocblas_diagonal_iiT6_lPT7_lllS5_lllPT8_llli: ; @_ZL30rocblas_trmm_outofplace_kernelIfLi32ELi2ELb0ELb1ELb1ELb0EPKfS0_fEv17rocblas_diagonal_iiT6_lPT7_lllS5_lllPT8_llli
; %bb.0:
	s_load_dwordx16 s[12:27], s[4:5], 0x10
	s_waitcnt lgkmcnt(0)
	s_mul_i32 s0, s8, s15
	s_mul_hi_u32 s1, s8, s14
	s_add_i32 s1, s1, s0
	s_mul_i32 s0, s8, s14
	s_lshl_b64 s[0:1], s[0:1], 2
	s_add_u32 s0, s12, s0
	s_addc_u32 s1, s13, s1
	s_load_dword s33, s[0:1], 0x0
	s_waitcnt lgkmcnt(0)
	v_cmp_eq_f32_e64 s[0:1], s33, 0
	s_and_b64 vcc, exec, s[0:1]
	s_cbranch_vccnz .LBB18_63
; %bb.1:
	s_load_dwordx4 s[28:31], s[4:5], 0x0
	s_waitcnt lgkmcnt(0)
	s_add_i32 s0, s30, -1
	s_ashr_i32 s1, s0, 31
	s_lshr_b32 s1, s1, 27
	s_add_i32 s0, s0, s1
	s_ashr_i32 s54, s0, 5
	s_cmp_gt_i32 s7, s54
	s_cbranch_scc1 .LBB18_63
; %bb.2:
	s_load_dwordx8 s[36:43], s[4:5], 0x50
	s_load_dwordx4 s[44:47], s[4:5], 0x70
	s_load_dword s55, s[4:5], 0x8c
	v_and_b32_e32 v4, 0x3ff, v0
	v_bfe_u32 v44, v0, 10, 10
	s_waitcnt lgkmcnt(0)
	s_mul_i32 s1, s8, s39
	s_mul_hi_u32 s2, s8, s38
	s_mul_i32 s0, s8, s38
	s_add_i32 s1, s2, s1
	s_lshl_b64 s[0:1], s[0:1], 2
	s_add_u32 s2, s24, s0
	s_addc_u32 s3, s25, s1
	s_lshl_b64 s[0:1], s[26:27], 2
	s_add_u32 s2, s2, s0
	s_addc_u32 s3, s3, s1
	s_mul_i32 s0, s8, s47
	s_mul_hi_u32 s1, s8, s46
	s_add_i32 s1, s1, s0
	s_mul_i32 s0, s8, s46
	s_lshl_b64 s[0:1], s[0:1], 2
	s_add_u32 s4, s40, s0
	s_addc_u32 s5, s41, s1
	s_lshl_b64 s[0:1], s[42:43], 2
	s_add_u32 s56, s4, s0
	s_addc_u32 s57, s5, s1
	s_cmpk_eq_i32 s28, 0x84
	v_lshl_add_u32 v0, s6, 5, v4
	s_cselect_b64 s[24:25], -1, 0
	s_ashr_i32 s31, s30, 31
	s_ashr_i32 s0, s29, 31
	s_lshl_b64 s[26:27], s[20:21], 7
	s_lshl_b64 s[34:35], s[36:37], 7
	v_ashrrev_i32_e32 v1, 31, v0
	s_add_u32 s38, s30, -16
	v_lshlrev_b64 v[12:13], 2, v[0:1]
	s_addc_u32 s39, s31, -1
	s_lshl_b32 s9, s7, 5
	v_mov_b32_e32 v2, s3
	v_add_co_u32_e32 v14, vcc, s2, v12
	v_add_u32_e32 v18, s9, v4
	v_add_u32_e32 v20, s9, v44
	s_mul_i32 s9, s23, s8
	s_mul_hi_u32 s10, s22, s8
	v_addc_co_u32_e32 v15, vcc, v2, v13, vcc
	v_add_u32_e32 v16, 16, v0
	s_add_i32 s9, s10, s9
	s_mul_i32 s8, s22, s8
	v_sub_co_u32_e32 v2, vcc, s29, v0
	v_cmp_gt_i32_e64 s[2:3], s29, v0
	v_cmp_gt_i32_e64 s[4:5], s29, v16
	s_lshl_b32 s6, s55, 5
	s_lshl_b64 s[28:29], s[36:37], 2
	s_lshl_b64 s[8:9], s[8:9], 2
	;; [unrolled: 1-line block ×3, first 2 shown]
	v_mov_b32_e32 v3, s0
	s_add_u32 s8, s8, s10
	v_subb_co_u32_e32 v3, vcc, v3, v1, vcc
	v_lshlrev_b32_e32 v1, 2, v4
	s_addc_u32 s9, s9, s11
	v_lshlrev_b32_e32 v45, 7, v44
	v_or_b32_e32 v47, 0x1000, v1
	s_add_u32 s22, s16, s8
	v_add_u32_e32 v46, v45, v1
	v_cmp_gt_i64_e32 vcc, 1, v[2:3]
	v_add_u32_e32 v48, v47, v45
	v_cmp_gt_i64_e64 s[0:1], 17, v[2:3]
	v_ashrrev_i32_e32 v17, 31, v16
	s_addc_u32 s23, s17, s9
	s_lshl_b64 s[40:41], s[20:21], 2
	v_mov_b32_e32 v49, 0
	v_mov_b32_e32 v50, 1.0
	s_branch .LBB18_4
.LBB18_3:                               ;   in Loop: Header=BB18_4 Depth=1
	s_or_b64 exec, exec, s[10:11]
	s_add_i32 s7, s55, s7
	v_add_u32_e32 v18, s6, v18
	s_cmp_le_i32 s7, s54
	v_add_u32_e32 v20, s6, v20
	s_cbranch_scc0 .LBB18_63
.LBB18_4:                               ; =>This Loop Header: Depth=1
                                        ;     Child Loop BB18_7 Depth 2
	s_lshl_b32 s8, s7, 5
	v_add_u32_e32 v22, s8, v44
	s_sub_i32 s58, s30, s8
	v_ashrrev_i32_e32 v19, 31, v18
	v_ashrrev_i32_e32 v21, 31, v20
	;; [unrolled: 1-line block ×3, first 2 shown]
	s_cmp_lt_i32 s58, 1
	v_mov_b32_e32 v54, 0
	v_mov_b32_e32 v53, 0
	;; [unrolled: 1-line block ×4, first 2 shown]
	s_cbranch_scc1 .LBB18_55
; %bb.5:                                ;   in Loop: Header=BB18_4 Depth=1
	v_sub_co_u32_e64 v24, s[8:9], v20, v18
	v_subb_co_u32_e64 v25, s[8:9], v21, v19, s[8:9]
	v_mad_u64_u32 v[26:27], s[8:9], s28, v20, 64
	v_mul_lo_u32 v0, s28, v21
	v_mul_lo_u32 v1, s29, v20
	v_add3_u32 v27, v1, v27, v0
	v_lshlrev_b64 v[0:1], 2, v[18:19]
	v_add_co_u32_e64 v2, s[8:9], 64, v0
	v_addc_co_u32_e64 v0, s[8:9], 0, v1, s[8:9]
	v_mul_lo_u32 v3, s20, v0
	v_pk_mov_b32 v[0:1], s[22:23], s[22:23] op_sel:[0,1]
	v_lshlrev_b64 v[28:29], 2, v[20:21]
	v_mad_u64_u32 v[30:31], s[8:9], s20, v2, v[0:1]
	v_mad_u64_u32 v[32:33], s[8:9], s40, v18, v[0:1]
	v_mul_lo_u32 v0, s40, v19
	v_mul_lo_u32 v1, s41, v18
	v_add3_u32 v33, v1, v33, v0
	v_add_co_u32_e64 v0, s[8:9], 64, v28
	v_addc_co_u32_e64 v1, s[8:9], 0, v29, s[8:9]
	v_mad_u64_u32 v[34:35], s[8:9], s36, v0, 64
	v_add_co_u32_e64 v38, s[10:11], 16, v24
	v_add_co_u32_e64 v36, s[8:9], 16, v22
	v_addc_co_u32_e64 v39, s[10:11], 0, v25, s[10:11]
	v_mul_lo_u32 v4, s21, v2
	v_mul_lo_u32 v1, s36, v1
	;; [unrolled: 1-line block ×3, first 2 shown]
	v_addc_co_u32_e64 v37, s[8:9], 0, v23, s[8:9]
	v_add_co_u32_e64 v40, s[10:11], -16, v24
	v_add3_u32 v31, v4, v31, v3
	v_add3_u32 v35, v2, v35, v1
	v_cmp_le_i32_e64 s[16:17], s30, v22
	v_cmp_le_i64_e64 s[8:9], s[30:31], v[36:37]
	v_addc_co_u32_e64 v41, s[10:11], -1, v25, s[10:11]
	s_mov_b64 s[42:43], 0
	v_mov_b32_e32 v51, 0
	v_pk_mov_b32 v[42:43], v[14:15], v[14:15] op_sel:[0,1]
	v_mov_b32_e32 v52, 0
	v_mov_b32_e32 v53, 0
	;; [unrolled: 1-line block ×3, first 2 shown]
	s_branch .LBB18_7
.LBB18_6:                               ;   in Loop: Header=BB18_7 Depth=2
	s_or_b64 exec, exec, s[10:11]
	s_waitcnt lgkmcnt(0)
	s_barrier
	ds_read_b128 v[56:59], v45
	ds_read_b128 v[8:11], v45 offset:16
	ds_read_b128 v[4:7], v45 offset:32
	;; [unrolled: 1-line block ×3, first 2 shown]
	ds_read2_b32 v[64:65], v47 offset1:16
	ds_read_b128 v[60:63], v45 offset:2048
	v_add_u32_e32 v55, 0x400, v47
	v_add_co_u32_e64 v42, s[10:11], s34, v42
	s_waitcnt lgkmcnt(1)
	v_fmac_f32_e32 v54, v64, v56
	v_fmac_f32_e32 v53, v65, v56
	s_waitcnt lgkmcnt(0)
	v_fmac_f32_e32 v52, v64, v60
	v_fmac_f32_e32 v51, v65, v60
	ds_read2_b32 v[64:65], v47 offset0:32 offset1:48
	s_add_u32 s42, s42, 32
	s_addc_u32 s43, s43, 0
	s_cmp_ge_i32 s42, s58
	s_waitcnt lgkmcnt(0)
	v_fmac_f32_e32 v54, v64, v57
	v_fmac_f32_e32 v53, v65, v57
	ds_read2_b32 v[56:57], v47 offset0:64 offset1:80
	v_fmac_f32_e32 v52, v64, v61
	v_fmac_f32_e32 v51, v65, v61
	ds_read2_b32 v[60:61], v47 offset0:128 offset1:144
	s_waitcnt lgkmcnt(1)
	v_fmac_f32_e32 v54, v56, v58
	v_fmac_f32_e32 v53, v57, v58
	;; [unrolled: 1-line block ×4, first 2 shown]
	ds_read2_b32 v[56:57], v47 offset0:96 offset1:112
	s_waitcnt lgkmcnt(0)
	v_fmac_f32_e32 v54, v56, v59
	v_fmac_f32_e32 v53, v57, v59
	v_fmac_f32_e32 v52, v56, v63
	v_fmac_f32_e32 v51, v57, v63
	ds_read_b128 v[56:59], v45 offset:2064
	v_fmac_f32_e32 v54, v60, v8
	v_fmac_f32_e32 v53, v61, v8
	s_waitcnt lgkmcnt(0)
	v_fmac_f32_e32 v52, v60, v56
	v_fmac_f32_e32 v51, v61, v56
	ds_read2_b32 v[60:61], v47 offset0:160 offset1:176
	s_waitcnt lgkmcnt(0)
	v_fmac_f32_e32 v54, v60, v9
	v_fmac_f32_e32 v53, v61, v9
	ds_read2_b32 v[8:9], v47 offset0:192 offset1:208
	v_fmac_f32_e32 v52, v60, v57
	v_fmac_f32_e32 v51, v61, v57
	ds_read2_b32 v[56:57], v55 offset1:16
	s_waitcnt lgkmcnt(1)
	v_fmac_f32_e32 v54, v8, v10
	v_fmac_f32_e32 v53, v9, v10
	;; [unrolled: 1-line block ×4, first 2 shown]
	ds_read2_b32 v[8:9], v47 offset0:224 offset1:240
	s_waitcnt lgkmcnt(0)
	v_fmac_f32_e32 v54, v8, v11
	v_fmac_f32_e32 v53, v9, v11
	;; [unrolled: 1-line block ×4, first 2 shown]
	ds_read_b128 v[8:11], v45 offset:2080
	v_fmac_f32_e32 v54, v56, v4
	v_fmac_f32_e32 v53, v57, v4
	s_waitcnt lgkmcnt(0)
	v_fmac_f32_e32 v52, v56, v8
	v_fmac_f32_e32 v51, v57, v8
	ds_read2_b32 v[56:57], v55 offset0:32 offset1:48
	s_waitcnt lgkmcnt(0)
	v_fmac_f32_e32 v54, v56, v5
	v_fmac_f32_e32 v53, v57, v5
	ds_read2_b32 v[4:5], v55 offset0:64 offset1:80
	v_fmac_f32_e32 v52, v56, v9
	v_fmac_f32_e32 v51, v57, v9
	ds_read2_b32 v[8:9], v55 offset0:128 offset1:144
	s_waitcnt lgkmcnt(1)
	v_fmac_f32_e32 v54, v4, v6
	v_fmac_f32_e32 v53, v5, v6
	;; [unrolled: 1-line block ×4, first 2 shown]
	ds_read2_b32 v[4:5], v55 offset0:96 offset1:112
	v_add_u32_e32 v10, 0x800, v47
	s_waitcnt lgkmcnt(0)
	v_fmac_f32_e32 v54, v4, v7
	v_fmac_f32_e32 v53, v5, v7
	;; [unrolled: 1-line block ×4, first 2 shown]
	ds_read_b128 v[4:7], v45 offset:2096
	v_fmac_f32_e32 v54, v8, v0
	v_fmac_f32_e32 v53, v9, v0
	s_waitcnt lgkmcnt(0)
	v_fmac_f32_e32 v52, v8, v4
	v_fmac_f32_e32 v51, v9, v4
	ds_read2_b32 v[8:9], v55 offset0:160 offset1:176
	s_waitcnt lgkmcnt(0)
	v_fmac_f32_e32 v54, v8, v1
	v_fmac_f32_e32 v53, v9, v1
	ds_read2_b32 v[0:1], v55 offset0:192 offset1:208
	v_fmac_f32_e32 v52, v8, v5
	v_fmac_f32_e32 v51, v9, v5
	ds_read2_b32 v[8:9], v10 offset1:16
	s_waitcnt lgkmcnt(1)
	v_fmac_f32_e32 v54, v0, v2
	v_fmac_f32_e32 v53, v1, v2
	;; [unrolled: 1-line block ×4, first 2 shown]
	ds_read2_b32 v[0:1], v55 offset0:224 offset1:240
	s_waitcnt lgkmcnt(0)
	v_fmac_f32_e32 v54, v0, v3
	v_fmac_f32_e32 v53, v1, v3
	;; [unrolled: 1-line block ×4, first 2 shown]
	ds_read_b128 v[0:3], v45 offset:64
	ds_read_b128 v[4:7], v45 offset:2112
	s_waitcnt lgkmcnt(1)
	v_fmac_f32_e32 v54, v8, v0
	v_fmac_f32_e32 v53, v9, v0
	s_waitcnt lgkmcnt(0)
	v_fmac_f32_e32 v52, v8, v4
	v_fmac_f32_e32 v51, v9, v4
	ds_read2_b32 v[8:9], v10 offset0:32 offset1:48
	s_waitcnt lgkmcnt(0)
	v_fmac_f32_e32 v54, v8, v1
	v_fmac_f32_e32 v53, v9, v1
	ds_read2_b32 v[0:1], v10 offset0:64 offset1:80
	v_fmac_f32_e32 v52, v8, v5
	v_fmac_f32_e32 v51, v9, v5
	s_waitcnt lgkmcnt(0)
	v_fmac_f32_e32 v54, v0, v2
	v_fmac_f32_e32 v53, v1, v2
	v_fmac_f32_e32 v52, v0, v6
	v_fmac_f32_e32 v51, v1, v6
	ds_read2_b32 v[0:1], v10 offset0:96 offset1:112
	s_waitcnt lgkmcnt(0)
	v_fmac_f32_e32 v54, v0, v3
	v_fmac_f32_e32 v53, v1, v3
	;; [unrolled: 1-line block ×4, first 2 shown]
	ds_read_b128 v[0:3], v45 offset:80
	ds_read2_b32 v[8:9], v10 offset0:128 offset1:144
	ds_read_b128 v[4:7], v45 offset:2128
	s_waitcnt lgkmcnt(1)
	v_fmac_f32_e32 v54, v8, v0
	v_fmac_f32_e32 v53, v9, v0
	s_waitcnt lgkmcnt(0)
	v_fmac_f32_e32 v52, v8, v4
	v_fmac_f32_e32 v51, v9, v4
	ds_read2_b32 v[8:9], v10 offset0:160 offset1:176
	s_waitcnt lgkmcnt(0)
	v_fmac_f32_e32 v54, v8, v1
	v_fmac_f32_e32 v53, v9, v1
	ds_read2_b32 v[0:1], v10 offset0:192 offset1:208
	v_fmac_f32_e32 v52, v8, v5
	v_fmac_f32_e32 v51, v9, v5
	s_waitcnt lgkmcnt(0)
	v_fmac_f32_e32 v54, v0, v2
	v_fmac_f32_e32 v53, v1, v2
	;; [unrolled: 1-line block ×4, first 2 shown]
	ds_read2_b32 v[0:1], v10 offset0:224 offset1:240
	v_add_u32_e32 v10, 0xc00, v47
	ds_read2_b32 v[8:9], v10 offset1:16
	s_waitcnt lgkmcnt(1)
	v_fmac_f32_e32 v54, v0, v3
	v_fmac_f32_e32 v53, v1, v3
	;; [unrolled: 1-line block ×4, first 2 shown]
	ds_read_b128 v[0:3], v45 offset:96
	ds_read_b128 v[4:7], v45 offset:2144
	s_waitcnt lgkmcnt(1)
	v_fmac_f32_e32 v54, v8, v0
	v_fmac_f32_e32 v53, v9, v0
	s_waitcnt lgkmcnt(0)
	v_fmac_f32_e32 v52, v8, v4
	v_fmac_f32_e32 v51, v9, v4
	ds_read2_b32 v[8:9], v10 offset0:32 offset1:48
	s_waitcnt lgkmcnt(0)
	v_fmac_f32_e32 v54, v8, v1
	v_fmac_f32_e32 v53, v9, v1
	ds_read2_b32 v[0:1], v10 offset0:64 offset1:80
	v_fmac_f32_e32 v52, v8, v5
	v_fmac_f32_e32 v51, v9, v5
	s_waitcnt lgkmcnt(0)
	v_fmac_f32_e32 v54, v0, v2
	v_fmac_f32_e32 v53, v1, v2
	;; [unrolled: 1-line block ×4, first 2 shown]
	ds_read2_b32 v[0:1], v10 offset0:96 offset1:112
	s_waitcnt lgkmcnt(0)
	v_fmac_f32_e32 v54, v0, v3
	v_fmac_f32_e32 v53, v1, v3
	;; [unrolled: 1-line block ×4, first 2 shown]
	ds_read_b128 v[0:3], v45 offset:112
	ds_read2_b32 v[8:9], v10 offset0:128 offset1:144
	ds_read_b128 v[4:7], v45 offset:2160
	s_waitcnt lgkmcnt(1)
	v_fmac_f32_e32 v54, v8, v0
	v_fmac_f32_e32 v53, v9, v0
	s_waitcnt lgkmcnt(0)
	v_fmac_f32_e32 v52, v8, v4
	v_fmac_f32_e32 v51, v9, v4
	ds_read2_b32 v[8:9], v10 offset0:160 offset1:176
	s_waitcnt lgkmcnt(0)
	v_fmac_f32_e32 v54, v8, v1
	v_fmac_f32_e32 v53, v9, v1
	ds_read2_b32 v[0:1], v10 offset0:192 offset1:208
	v_fmac_f32_e32 v52, v8, v5
	v_fmac_f32_e32 v51, v9, v5
	s_waitcnt lgkmcnt(0)
	v_fmac_f32_e32 v54, v0, v2
	v_fmac_f32_e32 v53, v1, v2
	;; [unrolled: 1-line block ×4, first 2 shown]
	ds_read2_b32 v[0:1], v10 offset0:224 offset1:240
	s_waitcnt lgkmcnt(0)
	s_barrier
	v_fmac_f32_e32 v54, v0, v3
	v_fmac_f32_e32 v52, v0, v7
	v_mov_b32_e32 v0, s35
	v_addc_co_u32_e64 v43, s[10:11], v43, v0, s[10:11]
	v_add_co_u32_e64 v30, s[10:11], s26, v30
	v_mov_b32_e32 v0, s27
	v_addc_co_u32_e64 v31, s[10:11], v31, v0, s[10:11]
	v_add_co_u32_e64 v32, s[10:11], s26, v32
	v_fmac_f32_e32 v53, v1, v3
	v_fmac_f32_e32 v51, v1, v7
	v_addc_co_u32_e64 v33, s[10:11], v33, v0, s[10:11]
	s_cbranch_scc1 .LBB18_55
.LBB18_7:                               ;   Parent Loop BB18_4 Depth=1
                                        ; =>  This Inner Loop Header: Depth=2
	v_mov_b32_e32 v0, s43
	v_add_co_u32_e64 v2, s[10:11], s42, v18
	v_addc_co_u32_e64 v3, s[10:11], v19, v0, s[10:11]
	v_add_co_u32_e64 v0, s[10:11], v32, v28
	v_addc_co_u32_e64 v1, s[10:11], v33, v29, s[10:11]
	v_cmp_eq_u64_e64 s[10:11], s[42:43], v[24:25]
	s_and_b64 s[48:49], s[24:25], s[10:11]
	v_cmp_lt_i64_e64 s[10:11], v[2:3], v[22:23]
	v_cmp_le_i64_e64 s[12:13], s[30:31], v[2:3]
	s_or_b64 s[14:15], s[16:17], s[10:11]
	s_or_b64 s[14:15], s[12:13], s[14:15]
	;; [unrolled: 1-line block ×3, first 2 shown]
	s_xor_b64 s[14:15], s[14:15], -1
	s_and_saveexec_b64 s[18:19], s[14:15]
	s_xor_b64 s[14:15], exec, s[18:19]
	s_cbranch_execz .LBB18_9
; %bb.8:                                ;   in Loop: Header=BB18_7 Depth=2
	global_load_dword v4, v[0:1], off
	s_waitcnt vmcnt(0)
	ds_write_b32 v46, v4
.LBB18_9:                               ;   in Loop: Header=BB18_7 Depth=2
	s_or_saveexec_b64 s[14:15], s[14:15]
	s_xor_b64 s[46:47], s[48:49], -1
	s_xor_b64 exec, exec, s[14:15]
	s_cbranch_execz .LBB18_15
; %bb.10:                               ;   in Loop: Header=BB18_7 Depth=2
	s_and_saveexec_b64 s[18:19], s[46:47]
	s_xor_b64 s[18:19], exec, s[18:19]
	s_cbranch_execz .LBB18_12
; %bb.11:                               ;   in Loop: Header=BB18_7 Depth=2
	ds_write_b32 v46, v49
.LBB18_12:                              ;   in Loop: Header=BB18_7 Depth=2
	s_andn2_saveexec_b64 s[18:19], s[18:19]
	s_cbranch_execz .LBB18_14
; %bb.13:                               ;   in Loop: Header=BB18_7 Depth=2
	ds_write_b32 v46, v50
.LBB18_14:                              ;   in Loop: Header=BB18_7 Depth=2
	s_or_b64 exec, exec, s[18:19]
.LBB18_15:                              ;   in Loop: Header=BB18_7 Depth=2
	s_or_b64 exec, exec, s[14:15]
	v_add_co_u32_e64 v4, s[14:15], 16, v2
	v_addc_co_u32_e64 v5, s[14:15], 0, v3, s[14:15]
	v_cmp_eq_u64_e64 s[14:15], s[42:43], v[40:41]
	v_cmp_lt_i64_e64 s[18:19], v[4:5], v[22:23]
	s_and_b64 s[50:51], s[24:25], s[14:15]
	v_cmp_le_i64_e64 s[14:15], s[30:31], v[4:5]
	s_or_b64 s[18:19], s[16:17], s[18:19]
	s_or_b64 s[18:19], s[14:15], s[18:19]
	;; [unrolled: 1-line block ×3, first 2 shown]
	s_xor_b64 s[18:19], s[18:19], -1
	s_and_saveexec_b64 s[52:53], s[18:19]
	s_xor_b64 s[52:53], exec, s[52:53]
	s_cbranch_execz .LBB18_17
; %bb.16:                               ;   in Loop: Header=BB18_7 Depth=2
	v_add_co_u32_e64 v4, s[18:19], v30, v28
	v_addc_co_u32_e64 v5, s[18:19], v31, v29, s[18:19]
	global_load_dword v4, v[4:5], off
	s_waitcnt vmcnt(0)
	ds_write_b32 v46, v4 offset:64
.LBB18_17:                              ;   in Loop: Header=BB18_7 Depth=2
	s_andn2_saveexec_b64 s[18:19], s[52:53]
	s_cbranch_execz .LBB18_23
; %bb.18:                               ;   in Loop: Header=BB18_7 Depth=2
	s_xor_b64 s[50:51], s[50:51], -1
	s_and_saveexec_b64 s[52:53], s[50:51]
	s_xor_b64 s[50:51], exec, s[52:53]
	s_cbranch_execz .LBB18_20
; %bb.19:                               ;   in Loop: Header=BB18_7 Depth=2
	ds_write_b32 v46, v49 offset:64
.LBB18_20:                              ;   in Loop: Header=BB18_7 Depth=2
	s_andn2_saveexec_b64 s[50:51], s[50:51]
	s_cbranch_execz .LBB18_22
; %bb.21:                               ;   in Loop: Header=BB18_7 Depth=2
	ds_write_b32 v46, v50 offset:64
.LBB18_22:                              ;   in Loop: Header=BB18_7 Depth=2
	s_or_b64 exec, exec, s[50:51]
.LBB18_23:                              ;   in Loop: Header=BB18_7 Depth=2
	s_or_b64 exec, exec, s[18:19]
	v_cmp_eq_u64_e64 s[18:19], s[42:43], v[38:39]
	s_and_b64 s[50:51], s[24:25], s[18:19]
	v_cmp_lt_i64_e64 s[18:19], v[2:3], v[36:37]
	s_or_b64 s[18:19], s[8:9], s[18:19]
	s_or_b64 s[18:19], s[18:19], s[50:51]
	;; [unrolled: 1-line block ×3, first 2 shown]
	s_xor_b64 s[12:13], s[12:13], -1
	s_and_saveexec_b64 s[18:19], s[12:13]
	s_xor_b64 s[12:13], exec, s[18:19]
	s_cbranch_execz .LBB18_25
; %bb.24:                               ;   in Loop: Header=BB18_7 Depth=2
	global_load_dword v0, v[0:1], off offset:64
	s_waitcnt vmcnt(0)
	ds_write_b32 v46, v0 offset:2048
.LBB18_25:                              ;   in Loop: Header=BB18_7 Depth=2
	s_andn2_saveexec_b64 s[12:13], s[12:13]
	s_cbranch_execz .LBB18_31
; %bb.26:                               ;   in Loop: Header=BB18_7 Depth=2
	s_xor_b64 s[18:19], s[50:51], -1
	s_and_saveexec_b64 s[50:51], s[18:19]
	s_xor_b64 s[18:19], exec, s[50:51]
	s_cbranch_execz .LBB18_28
; %bb.27:                               ;   in Loop: Header=BB18_7 Depth=2
	ds_write_b32 v46, v49 offset:2048
.LBB18_28:                              ;   in Loop: Header=BB18_7 Depth=2
	s_andn2_saveexec_b64 s[18:19], s[18:19]
	s_cbranch_execz .LBB18_30
; %bb.29:                               ;   in Loop: Header=BB18_7 Depth=2
	ds_write_b32 v46, v50 offset:2048
.LBB18_30:                              ;   in Loop: Header=BB18_7 Depth=2
	s_or_b64 exec, exec, s[18:19]
.LBB18_31:                              ;   in Loop: Header=BB18_7 Depth=2
	s_or_b64 exec, exec, s[12:13]
	s_or_b64 s[10:11], s[8:9], s[10:11]
	s_or_b64 s[10:11], s[14:15], s[10:11]
	;; [unrolled: 1-line block ×3, first 2 shown]
	s_xor_b64 s[10:11], s[10:11], -1
	s_and_saveexec_b64 s[12:13], s[10:11]
	s_xor_b64 s[12:13], exec, s[12:13]
	s_cbranch_execz .LBB18_33
; %bb.32:                               ;   in Loop: Header=BB18_7 Depth=2
	v_add_co_u32_e64 v0, s[10:11], v30, v28
	v_addc_co_u32_e64 v1, s[10:11], v31, v29, s[10:11]
	global_load_dword v0, v[0:1], off offset:64
	s_waitcnt vmcnt(0)
	ds_write_b32 v46, v0 offset:2112
.LBB18_33:                              ;   in Loop: Header=BB18_7 Depth=2
	s_andn2_saveexec_b64 s[10:11], s[12:13]
	s_cbranch_execz .LBB18_39
; %bb.34:                               ;   in Loop: Header=BB18_7 Depth=2
	s_and_saveexec_b64 s[12:13], s[46:47]
	s_xor_b64 s[12:13], exec, s[12:13]
	s_cbranch_execz .LBB18_36
; %bb.35:                               ;   in Loop: Header=BB18_7 Depth=2
	ds_write_b32 v46, v49 offset:2112
.LBB18_36:                              ;   in Loop: Header=BB18_7 Depth=2
	s_andn2_saveexec_b64 s[12:13], s[12:13]
	s_cbranch_execz .LBB18_38
; %bb.37:                               ;   in Loop: Header=BB18_7 Depth=2
	ds_write_b32 v46, v50 offset:2112
.LBB18_38:                              ;   in Loop: Header=BB18_7 Depth=2
	s_or_b64 exec, exec, s[12:13]
.LBB18_39:                              ;   in Loop: Header=BB18_7 Depth=2
	s_or_b64 exec, exec, s[10:11]
	v_mov_b32_e32 v1, s43
	v_add_co_u32_e64 v0, s[10:11], s42, v20
	v_addc_co_u32_e64 v1, s[10:11], v21, v1, s[10:11]
	v_add_co_u32_e64 v2, s[10:11], v42, v26
	v_addc_co_u32_e64 v3, s[10:11], v43, v27, s[10:11]
	v_cmp_le_i64_e64 s[10:11], s[30:31], v[0:1]
	s_or_b64 s[12:13], s[10:11], vcc
	s_xor_b64 s[12:13], s[12:13], -1
	s_and_saveexec_b64 s[14:15], s[12:13]
	s_xor_b64 s[12:13], exec, s[14:15]
	s_cbranch_execz .LBB18_41
; %bb.40:                               ;   in Loop: Header=BB18_7 Depth=2
	global_load_dword v4, v[2:3], off offset:-64
	s_waitcnt vmcnt(0)
	ds_write_b32 v48, v4
.LBB18_41:                              ;   in Loop: Header=BB18_7 Depth=2
	s_andn2_saveexec_b64 s[12:13], s[12:13]
	s_cbranch_execz .LBB18_43
; %bb.42:                               ;   in Loop: Header=BB18_7 Depth=2
	ds_write_b32 v48, v49
.LBB18_43:                              ;   in Loop: Header=BB18_7 Depth=2
	s_or_b64 exec, exec, s[12:13]
	s_or_b64 s[10:11], s[10:11], s[0:1]
	s_xor_b64 s[10:11], s[10:11], -1
	s_and_saveexec_b64 s[12:13], s[10:11]
	s_xor_b64 s[10:11], exec, s[12:13]
	s_cbranch_execz .LBB18_45
; %bb.44:                               ;   in Loop: Header=BB18_7 Depth=2
	global_load_dword v2, v[2:3], off
	s_waitcnt vmcnt(0)
	ds_write_b32 v48, v2 offset:64
.LBB18_45:                              ;   in Loop: Header=BB18_7 Depth=2
	s_andn2_saveexec_b64 s[10:11], s[10:11]
	s_cbranch_execz .LBB18_47
; %bb.46:                               ;   in Loop: Header=BB18_7 Depth=2
	ds_write_b32 v48, v49 offset:64
.LBB18_47:                              ;   in Loop: Header=BB18_7 Depth=2
	s_or_b64 exec, exec, s[10:11]
	v_cmp_le_i64_e64 s[10:11], s[38:39], v[0:1]
	s_or_b64 s[12:13], s[10:11], vcc
	s_xor_b64 s[12:13], s[12:13], -1
	s_and_saveexec_b64 s[14:15], s[12:13]
	s_xor_b64 s[14:15], exec, s[14:15]
	s_cbranch_execz .LBB18_49
; %bb.48:                               ;   in Loop: Header=BB18_7 Depth=2
	v_add_co_u32_e64 v0, s[12:13], v42, v34
	v_addc_co_u32_e64 v1, s[12:13], v43, v35, s[12:13]
	global_load_dword v0, v[0:1], off offset:-64
	s_waitcnt vmcnt(0)
	ds_write_b32 v48, v0 offset:2048
.LBB18_49:                              ;   in Loop: Header=BB18_7 Depth=2
	s_andn2_saveexec_b64 s[12:13], s[14:15]
	s_cbranch_execz .LBB18_51
; %bb.50:                               ;   in Loop: Header=BB18_7 Depth=2
	ds_write_b32 v48, v49 offset:2048
.LBB18_51:                              ;   in Loop: Header=BB18_7 Depth=2
	s_or_b64 exec, exec, s[12:13]
	s_or_b64 s[10:11], s[10:11], s[0:1]
	s_xor_b64 s[10:11], s[10:11], -1
	s_and_saveexec_b64 s[12:13], s[10:11]
	s_xor_b64 s[12:13], exec, s[12:13]
	s_cbranch_execz .LBB18_53
; %bb.52:                               ;   in Loop: Header=BB18_7 Depth=2
	v_add_co_u32_e64 v0, s[10:11], v42, v34
	v_addc_co_u32_e64 v1, s[10:11], v43, v35, s[10:11]
	global_load_dword v0, v[0:1], off
	s_waitcnt vmcnt(0)
	ds_write_b32 v48, v0 offset:2112
.LBB18_53:                              ;   in Loop: Header=BB18_7 Depth=2
	s_andn2_saveexec_b64 s[10:11], s[12:13]
	s_cbranch_execz .LBB18_6
; %bb.54:                               ;   in Loop: Header=BB18_7 Depth=2
	ds_write_b32 v48, v49 offset:2112
	s_branch .LBB18_6
.LBB18_55:                              ;   in Loop: Header=BB18_4 Depth=1
	v_mul_lo_u32 v2, v23, s44
	v_mul_lo_u32 v3, v22, s45
	v_mad_u64_u32 v[0:1], s[10:11], v22, s44, 0
	v_add3_u32 v1, v1, v3, v2
	v_lshlrev_b64 v[0:1], 2, v[0:1]
	v_mov_b32_e32 v2, s57
	v_add_co_u32_e64 v0, s[10:11], s56, v0
	v_cmp_gt_i32_e64 s[8:9], s30, v22
	v_addc_co_u32_e64 v1, s[10:11], v2, v1, s[10:11]
	s_and_b64 s[10:11], s[2:3], s[8:9]
	s_and_saveexec_b64 s[12:13], s[10:11]
	s_cbranch_execz .LBB18_57
; %bb.56:                               ;   in Loop: Header=BB18_4 Depth=1
	v_add_co_u32_e64 v2, s[10:11], v0, v12
	v_addc_co_u32_e64 v3, s[10:11], v1, v13, s[10:11]
	global_load_dword v4, v[2:3], off
	s_waitcnt vmcnt(0)
	v_fmac_f32_e32 v4, s33, v54
	global_store_dword v[2:3], v4, off
.LBB18_57:                              ;   in Loop: Header=BB18_4 Depth=1
	s_or_b64 exec, exec, s[12:13]
	s_and_b64 s[8:9], s[4:5], s[8:9]
	s_and_saveexec_b64 s[10:11], s[8:9]
	s_cbranch_execz .LBB18_59
; %bb.58:                               ;   in Loop: Header=BB18_4 Depth=1
	v_lshlrev_b64 v[2:3], 2, v[16:17]
	v_add_co_u32_e64 v0, s[8:9], v0, v2
	v_addc_co_u32_e64 v1, s[8:9], v1, v3, s[8:9]
	global_load_dword v2, v[0:1], off
	s_waitcnt vmcnt(0)
	v_fmac_f32_e32 v2, s33, v53
	global_store_dword v[0:1], v2, off
.LBB18_59:                              ;   in Loop: Header=BB18_4 Depth=1
	s_or_b64 exec, exec, s[10:11]
	v_add_u32_e32 v0, 16, v22
	v_ashrrev_i32_e32 v1, 31, v0
	v_cmp_gt_i32_e64 s[8:9], s30, v0
	v_mul_lo_u32 v2, v1, s44
	v_mul_lo_u32 v3, v0, s45
	v_mad_u64_u32 v[0:1], s[10:11], v0, s44, 0
	v_add3_u32 v1, v1, v3, v2
	v_lshlrev_b64 v[0:1], 2, v[0:1]
	v_mov_b32_e32 v2, s57
	v_add_co_u32_e64 v0, s[10:11], s56, v0
	v_addc_co_u32_e64 v1, s[10:11], v2, v1, s[10:11]
	s_and_b64 s[10:11], s[2:3], s[8:9]
	s_and_saveexec_b64 s[12:13], s[10:11]
	s_cbranch_execz .LBB18_61
; %bb.60:                               ;   in Loop: Header=BB18_4 Depth=1
	v_add_co_u32_e64 v2, s[10:11], v0, v12
	v_addc_co_u32_e64 v3, s[10:11], v1, v13, s[10:11]
	global_load_dword v4, v[2:3], off
	s_waitcnt vmcnt(0)
	v_fmac_f32_e32 v4, s33, v52
	global_store_dword v[2:3], v4, off
.LBB18_61:                              ;   in Loop: Header=BB18_4 Depth=1
	s_or_b64 exec, exec, s[12:13]
	s_and_b64 s[8:9], s[4:5], s[8:9]
	s_and_saveexec_b64 s[10:11], s[8:9]
	s_cbranch_execz .LBB18_3
; %bb.62:                               ;   in Loop: Header=BB18_4 Depth=1
	v_lshlrev_b64 v[2:3], 2, v[16:17]
	v_add_co_u32_e64 v0, s[8:9], v0, v2
	v_addc_co_u32_e64 v1, s[8:9], v1, v3, s[8:9]
	global_load_dword v2, v[0:1], off
	s_waitcnt vmcnt(0)
	v_fmac_f32_e32 v2, s33, v51
	global_store_dword v[0:1], v2, off
	s_branch .LBB18_3
.LBB18_63:
	s_endpgm
	.section	.rodata,"a",@progbits
	.p2align	6, 0x0
	.amdhsa_kernel _ZL30rocblas_trmm_outofplace_kernelIfLi32ELi2ELb0ELb1ELb1ELb0EPKfS0_fEv17rocblas_diagonal_iiT6_lPT7_lllS5_lllPT8_llli
		.amdhsa_group_segment_fixed_size 8192
		.amdhsa_private_segment_fixed_size 0
		.amdhsa_kernarg_size 392
		.amdhsa_user_sgpr_count 6
		.amdhsa_user_sgpr_private_segment_buffer 1
		.amdhsa_user_sgpr_dispatch_ptr 0
		.amdhsa_user_sgpr_queue_ptr 0
		.amdhsa_user_sgpr_kernarg_segment_ptr 1
		.amdhsa_user_sgpr_dispatch_id 0
		.amdhsa_user_sgpr_flat_scratch_init 0
		.amdhsa_user_sgpr_kernarg_preload_length 0
		.amdhsa_user_sgpr_kernarg_preload_offset 0
		.amdhsa_user_sgpr_private_segment_size 0
		.amdhsa_uses_dynamic_stack 0
		.amdhsa_system_sgpr_private_segment_wavefront_offset 0
		.amdhsa_system_sgpr_workgroup_id_x 1
		.amdhsa_system_sgpr_workgroup_id_y 1
		.amdhsa_system_sgpr_workgroup_id_z 1
		.amdhsa_system_sgpr_workgroup_info 0
		.amdhsa_system_vgpr_workitem_id 1
		.amdhsa_next_free_vgpr 66
		.amdhsa_next_free_sgpr 59
		.amdhsa_accum_offset 68
		.amdhsa_reserve_vcc 1
		.amdhsa_reserve_flat_scratch 0
		.amdhsa_float_round_mode_32 0
		.amdhsa_float_round_mode_16_64 0
		.amdhsa_float_denorm_mode_32 3
		.amdhsa_float_denorm_mode_16_64 3
		.amdhsa_dx10_clamp 1
		.amdhsa_ieee_mode 1
		.amdhsa_fp16_overflow 0
		.amdhsa_tg_split 0
		.amdhsa_exception_fp_ieee_invalid_op 0
		.amdhsa_exception_fp_denorm_src 0
		.amdhsa_exception_fp_ieee_div_zero 0
		.amdhsa_exception_fp_ieee_overflow 0
		.amdhsa_exception_fp_ieee_underflow 0
		.amdhsa_exception_fp_ieee_inexact 0
		.amdhsa_exception_int_div_zero 0
	.end_amdhsa_kernel
	.section	.text._ZL30rocblas_trmm_outofplace_kernelIfLi32ELi2ELb0ELb1ELb1ELb0EPKfS0_fEv17rocblas_diagonal_iiT6_lPT7_lllS5_lllPT8_llli,"axG",@progbits,_ZL30rocblas_trmm_outofplace_kernelIfLi32ELi2ELb0ELb1ELb1ELb0EPKfS0_fEv17rocblas_diagonal_iiT6_lPT7_lllS5_lllPT8_llli,comdat
.Lfunc_end18:
	.size	_ZL30rocblas_trmm_outofplace_kernelIfLi32ELi2ELb0ELb1ELb1ELb0EPKfS0_fEv17rocblas_diagonal_iiT6_lPT7_lllS5_lllPT8_llli, .Lfunc_end18-_ZL30rocblas_trmm_outofplace_kernelIfLi32ELi2ELb0ELb1ELb1ELb0EPKfS0_fEv17rocblas_diagonal_iiT6_lPT7_lllS5_lllPT8_llli
                                        ; -- End function
	.section	.AMDGPU.csdata,"",@progbits
; Kernel info:
; codeLenInByte = 3256
; NumSgprs: 63
; NumVgprs: 66
; NumAgprs: 0
; TotalNumVgprs: 66
; ScratchSize: 0
; MemoryBound: 0
; FloatMode: 240
; IeeeMode: 1
; LDSByteSize: 8192 bytes/workgroup (compile time only)
; SGPRBlocks: 7
; VGPRBlocks: 8
; NumSGPRsForWavesPerEU: 63
; NumVGPRsForWavesPerEU: 66
; AccumOffset: 68
; Occupancy: 7
; WaveLimiterHint : 0
; COMPUTE_PGM_RSRC2:SCRATCH_EN: 0
; COMPUTE_PGM_RSRC2:USER_SGPR: 6
; COMPUTE_PGM_RSRC2:TRAP_HANDLER: 0
; COMPUTE_PGM_RSRC2:TGID_X_EN: 1
; COMPUTE_PGM_RSRC2:TGID_Y_EN: 1
; COMPUTE_PGM_RSRC2:TGID_Z_EN: 1
; COMPUTE_PGM_RSRC2:TIDIG_COMP_CNT: 1
; COMPUTE_PGM_RSRC3_GFX90A:ACCUM_OFFSET: 16
; COMPUTE_PGM_RSRC3_GFX90A:TG_SPLIT: 0
	.section	.text._ZL30rocblas_trmm_outofplace_kernelIfLi32ELi2ELb0ELb1ELb1ELb0EfKffEv17rocblas_diagonal_iiT6_lPT7_lllS4_lllPT8_llli,"axG",@progbits,_ZL30rocblas_trmm_outofplace_kernelIfLi32ELi2ELb0ELb1ELb1ELb0EfKffEv17rocblas_diagonal_iiT6_lPT7_lllS4_lllPT8_llli,comdat
	.globl	_ZL30rocblas_trmm_outofplace_kernelIfLi32ELi2ELb0ELb1ELb1ELb0EfKffEv17rocblas_diagonal_iiT6_lPT7_lllS4_lllPT8_llli ; -- Begin function _ZL30rocblas_trmm_outofplace_kernelIfLi32ELi2ELb0ELb1ELb1ELb0EfKffEv17rocblas_diagonal_iiT6_lPT7_lllS4_lllPT8_llli
	.p2align	8
	.type	_ZL30rocblas_trmm_outofplace_kernelIfLi32ELi2ELb0ELb1ELb1ELb0EfKffEv17rocblas_diagonal_iiT6_lPT7_lllS4_lllPT8_llli,@function
_ZL30rocblas_trmm_outofplace_kernelIfLi32ELi2ELb0ELb1ELb1ELb0EfKffEv17rocblas_diagonal_iiT6_lPT7_lllS4_lllPT8_llli: ; @_ZL30rocblas_trmm_outofplace_kernelIfLi32ELi2ELb0ELb1ELb1ELb0EfKffEv17rocblas_diagonal_iiT6_lPT7_lllS4_lllPT8_llli
; %bb.0:
	s_load_dwordx4 s[44:47], s[4:5], 0x0
	s_waitcnt lgkmcnt(0)
	v_cmp_eq_f32_e64 s[0:1], s47, 0
	s_and_b64 vcc, exec, s[0:1]
	s_cbranch_vccnz .LBB19_63
; %bb.1:
	s_add_i32 s0, s46, -1
	s_ashr_i32 s1, s0, 31
	s_lshr_b32 s1, s1, 27
	s_add_i32 s0, s0, s1
	s_ashr_i32 s33, s0, 5
	s_cmp_gt_i32 s7, s33
	s_cbranch_scc1 .LBB19_63
; %bb.2:
	s_load_dwordx16 s[16:31], s[4:5], 0x18
	s_load_dwordx8 s[36:43], s[4:5], 0x58
	v_and_b32_e32 v4, 0x3ff, v0
	v_bfe_u32 v44, v0, 10, 10
	v_lshl_add_u32 v0, s6, 5, v4
	s_waitcnt lgkmcnt(0)
	s_mul_i32 s1, s8, s31
	s_mul_hi_u32 s2, s8, s30
	s_mul_i32 s0, s8, s30
	s_add_i32 s1, s2, s1
	s_lshl_b64 s[0:1], s[0:1], 2
	s_add_u32 s2, s24, s0
	s_addc_u32 s3, s25, s1
	s_lshl_b64 s[0:1], s[26:27], 2
	s_add_u32 s2, s2, s0
	s_addc_u32 s3, s3, s1
	s_mul_i32 s0, s8, s43
	s_mul_hi_u32 s1, s8, s42
	s_add_i32 s1, s1, s0
	s_mul_i32 s0, s8, s42
	s_lshl_b64 s[0:1], s[0:1], 2
	s_add_u32 s9, s36, s0
	s_addc_u32 s10, s37, s1
	s_lshl_b64 s[0:1], s[38:39], 2
	s_add_u32 s56, s9, s0
	s_addc_u32 s57, s10, s1
	s_cmpk_eq_i32 s44, 0x84
	s_cselect_b64 s[24:25], -1, 0
	s_ashr_i32 s27, s46, 31
	s_ashr_i32 s0, s45, 31
	s_lshl_b64 s[30:31], s[20:21], 7
	s_lshl_b64 s[34:35], s[28:29], 7
	s_load_dword s6, s[4:5], 0x84
	s_add_u32 s36, s46, -16
	v_ashrrev_i32_e32 v1, 31, v0
	s_addc_u32 s37, s27, -1
	s_lshl_b32 s9, s7, 5
	v_lshlrev_b64 v[12:13], 2, v[0:1]
	v_add_u32_e32 v18, s9, v4
	v_add_u32_e32 v20, s9, v44
	s_mul_i32 s9, s23, s8
	s_mul_hi_u32 s10, s22, s8
	v_mov_b32_e32 v2, s3
	v_add_co_u32_e32 v14, vcc, s2, v12
	s_add_i32 s9, s10, s9
	s_mul_i32 s8, s22, s8
	v_addc_co_u32_e32 v15, vcc, v2, v13, vcc
	s_waitcnt lgkmcnt(0)
	s_lshl_b32 s58, s6, 5
	s_lshl_b64 s[38:39], s[28:29], 2
	s_lshl_b64 s[8:9], s[8:9], 2
	;; [unrolled: 1-line block ×3, first 2 shown]
	v_mov_b32_e32 v3, s0
	v_sub_co_u32_e32 v2, vcc, s45, v0
	s_add_u32 s8, s8, s10
	v_subb_co_u32_e32 v3, vcc, v3, v1, vcc
	v_lshlrev_b32_e32 v1, 2, v4
	s_addc_u32 s9, s9, s11
	v_lshlrev_b32_e32 v45, 7, v44
	v_or_b32_e32 v47, 0x1000, v1
	v_add_u32_e32 v16, 16, v0
	s_add_u32 s22, s16, s8
	s_mov_b32 s26, s46
	v_add_u32_e32 v46, v45, v1
	v_cmp_gt_i64_e32 vcc, 1, v[2:3]
	v_add_u32_e32 v48, v47, v45
	v_cmp_gt_i64_e64 s[0:1], 17, v[2:3]
	v_cmp_gt_i32_e64 s[2:3], s45, v0
	v_cmp_gt_i32_e64 s[4:5], s45, v16
	v_ashrrev_i32_e32 v17, 31, v16
	s_addc_u32 s23, s17, s9
	s_lshl_b64 s[42:43], s[20:21], 2
	v_mov_b32_e32 v49, 0
	v_mov_b32_e32 v50, 1.0
	s_branch .LBB19_4
.LBB19_3:                               ;   in Loop: Header=BB19_4 Depth=1
	s_or_b64 exec, exec, s[10:11]
	s_add_i32 s7, s6, s7
	v_add_u32_e32 v18, s58, v18
	s_cmp_le_i32 s7, s33
	v_add_u32_e32 v20, s58, v20
	s_cbranch_scc0 .LBB19_63
.LBB19_4:                               ; =>This Loop Header: Depth=1
                                        ;     Child Loop BB19_7 Depth 2
	s_lshl_b32 s8, s7, 5
	v_add_u32_e32 v22, s8, v44
	s_sub_i32 s59, s46, s8
	v_ashrrev_i32_e32 v19, 31, v18
	v_ashrrev_i32_e32 v21, 31, v20
	v_ashrrev_i32_e32 v23, 31, v22
	s_cmp_lt_i32 s59, 1
	v_mov_b32_e32 v54, 0
	v_mov_b32_e32 v53, 0
	;; [unrolled: 1-line block ×4, first 2 shown]
	s_cbranch_scc1 .LBB19_55
; %bb.5:                                ;   in Loop: Header=BB19_4 Depth=1
	v_sub_co_u32_e64 v24, s[8:9], v20, v18
	v_subb_co_u32_e64 v25, s[8:9], v21, v19, s[8:9]
	v_mad_u64_u32 v[26:27], s[8:9], s38, v20, 64
	v_mul_lo_u32 v0, s38, v21
	v_mul_lo_u32 v1, s39, v20
	v_add3_u32 v27, v1, v27, v0
	v_lshlrev_b64 v[0:1], 2, v[18:19]
	v_add_co_u32_e64 v2, s[8:9], 64, v0
	v_addc_co_u32_e64 v0, s[8:9], 0, v1, s[8:9]
	v_mul_lo_u32 v3, s20, v0
	v_pk_mov_b32 v[0:1], s[22:23], s[22:23] op_sel:[0,1]
	v_lshlrev_b64 v[28:29], 2, v[20:21]
	v_mad_u64_u32 v[30:31], s[8:9], s20, v2, v[0:1]
	v_mad_u64_u32 v[32:33], s[8:9], s42, v18, v[0:1]
	v_mul_lo_u32 v0, s42, v19
	v_mul_lo_u32 v1, s43, v18
	v_add3_u32 v33, v1, v33, v0
	v_add_co_u32_e64 v0, s[8:9], 64, v28
	v_addc_co_u32_e64 v1, s[8:9], 0, v29, s[8:9]
	v_mad_u64_u32 v[34:35], s[8:9], s28, v0, 64
	v_add_co_u32_e64 v38, s[10:11], 16, v24
	v_add_co_u32_e64 v36, s[8:9], 16, v22
	v_addc_co_u32_e64 v39, s[10:11], 0, v25, s[10:11]
	v_mul_lo_u32 v4, s21, v2
	v_mul_lo_u32 v1, s28, v1
	v_mul_lo_u32 v2, s29, v0
	v_addc_co_u32_e64 v37, s[8:9], 0, v23, s[8:9]
	v_add_co_u32_e64 v40, s[10:11], -16, v24
	v_add3_u32 v31, v4, v31, v3
	v_add3_u32 v35, v2, v35, v1
	v_cmp_le_i32_e64 s[16:17], s46, v22
	v_cmp_le_i64_e64 s[8:9], s[26:27], v[36:37]
	v_addc_co_u32_e64 v41, s[10:11], -1, v25, s[10:11]
	s_mov_b64 s[44:45], 0
	v_mov_b32_e32 v51, 0
	v_pk_mov_b32 v[42:43], v[14:15], v[14:15] op_sel:[0,1]
	v_mov_b32_e32 v52, 0
	v_mov_b32_e32 v53, 0
	;; [unrolled: 1-line block ×3, first 2 shown]
	s_branch .LBB19_7
.LBB19_6:                               ;   in Loop: Header=BB19_7 Depth=2
	s_or_b64 exec, exec, s[10:11]
	s_waitcnt lgkmcnt(0)
	s_barrier
	ds_read_b128 v[56:59], v45
	ds_read_b128 v[8:11], v45 offset:16
	ds_read_b128 v[4:7], v45 offset:32
	;; [unrolled: 1-line block ×3, first 2 shown]
	ds_read2_b32 v[64:65], v47 offset1:16
	ds_read_b128 v[60:63], v45 offset:2048
	v_add_u32_e32 v55, 0x400, v47
	v_add_co_u32_e64 v42, s[10:11], s34, v42
	s_waitcnt lgkmcnt(1)
	v_fmac_f32_e32 v54, v64, v56
	v_fmac_f32_e32 v53, v65, v56
	s_waitcnt lgkmcnt(0)
	v_fmac_f32_e32 v52, v64, v60
	v_fmac_f32_e32 v51, v65, v60
	ds_read2_b32 v[64:65], v47 offset0:32 offset1:48
	s_add_u32 s44, s44, 32
	s_addc_u32 s45, s45, 0
	s_cmp_ge_i32 s44, s59
	s_waitcnt lgkmcnt(0)
	v_fmac_f32_e32 v54, v64, v57
	v_fmac_f32_e32 v53, v65, v57
	ds_read2_b32 v[56:57], v47 offset0:64 offset1:80
	v_fmac_f32_e32 v52, v64, v61
	v_fmac_f32_e32 v51, v65, v61
	ds_read2_b32 v[60:61], v47 offset0:128 offset1:144
	s_waitcnt lgkmcnt(1)
	v_fmac_f32_e32 v54, v56, v58
	v_fmac_f32_e32 v53, v57, v58
	;; [unrolled: 1-line block ×4, first 2 shown]
	ds_read2_b32 v[56:57], v47 offset0:96 offset1:112
	s_waitcnt lgkmcnt(0)
	v_fmac_f32_e32 v54, v56, v59
	v_fmac_f32_e32 v53, v57, v59
	;; [unrolled: 1-line block ×4, first 2 shown]
	ds_read_b128 v[56:59], v45 offset:2064
	v_fmac_f32_e32 v54, v60, v8
	v_fmac_f32_e32 v53, v61, v8
	s_waitcnt lgkmcnt(0)
	v_fmac_f32_e32 v52, v60, v56
	v_fmac_f32_e32 v51, v61, v56
	ds_read2_b32 v[60:61], v47 offset0:160 offset1:176
	s_waitcnt lgkmcnt(0)
	v_fmac_f32_e32 v54, v60, v9
	v_fmac_f32_e32 v53, v61, v9
	ds_read2_b32 v[8:9], v47 offset0:192 offset1:208
	v_fmac_f32_e32 v52, v60, v57
	v_fmac_f32_e32 v51, v61, v57
	ds_read2_b32 v[56:57], v55 offset1:16
	s_waitcnt lgkmcnt(1)
	v_fmac_f32_e32 v54, v8, v10
	v_fmac_f32_e32 v53, v9, v10
	;; [unrolled: 1-line block ×4, first 2 shown]
	ds_read2_b32 v[8:9], v47 offset0:224 offset1:240
	s_waitcnt lgkmcnt(0)
	v_fmac_f32_e32 v54, v8, v11
	v_fmac_f32_e32 v53, v9, v11
	;; [unrolled: 1-line block ×4, first 2 shown]
	ds_read_b128 v[8:11], v45 offset:2080
	v_fmac_f32_e32 v54, v56, v4
	v_fmac_f32_e32 v53, v57, v4
	s_waitcnt lgkmcnt(0)
	v_fmac_f32_e32 v52, v56, v8
	v_fmac_f32_e32 v51, v57, v8
	ds_read2_b32 v[56:57], v55 offset0:32 offset1:48
	s_waitcnt lgkmcnt(0)
	v_fmac_f32_e32 v54, v56, v5
	v_fmac_f32_e32 v53, v57, v5
	ds_read2_b32 v[4:5], v55 offset0:64 offset1:80
	v_fmac_f32_e32 v52, v56, v9
	v_fmac_f32_e32 v51, v57, v9
	ds_read2_b32 v[8:9], v55 offset0:128 offset1:144
	s_waitcnt lgkmcnt(1)
	v_fmac_f32_e32 v54, v4, v6
	v_fmac_f32_e32 v53, v5, v6
	;; [unrolled: 1-line block ×4, first 2 shown]
	ds_read2_b32 v[4:5], v55 offset0:96 offset1:112
	v_add_u32_e32 v10, 0x800, v47
	s_waitcnt lgkmcnt(0)
	v_fmac_f32_e32 v54, v4, v7
	v_fmac_f32_e32 v53, v5, v7
	;; [unrolled: 1-line block ×4, first 2 shown]
	ds_read_b128 v[4:7], v45 offset:2096
	v_fmac_f32_e32 v54, v8, v0
	v_fmac_f32_e32 v53, v9, v0
	s_waitcnt lgkmcnt(0)
	v_fmac_f32_e32 v52, v8, v4
	v_fmac_f32_e32 v51, v9, v4
	ds_read2_b32 v[8:9], v55 offset0:160 offset1:176
	s_waitcnt lgkmcnt(0)
	v_fmac_f32_e32 v54, v8, v1
	v_fmac_f32_e32 v53, v9, v1
	ds_read2_b32 v[0:1], v55 offset0:192 offset1:208
	v_fmac_f32_e32 v52, v8, v5
	v_fmac_f32_e32 v51, v9, v5
	ds_read2_b32 v[8:9], v10 offset1:16
	s_waitcnt lgkmcnt(1)
	v_fmac_f32_e32 v54, v0, v2
	v_fmac_f32_e32 v53, v1, v2
	;; [unrolled: 1-line block ×4, first 2 shown]
	ds_read2_b32 v[0:1], v55 offset0:224 offset1:240
	s_waitcnt lgkmcnt(0)
	v_fmac_f32_e32 v54, v0, v3
	v_fmac_f32_e32 v53, v1, v3
	;; [unrolled: 1-line block ×4, first 2 shown]
	ds_read_b128 v[0:3], v45 offset:64
	ds_read_b128 v[4:7], v45 offset:2112
	s_waitcnt lgkmcnt(1)
	v_fmac_f32_e32 v54, v8, v0
	v_fmac_f32_e32 v53, v9, v0
	s_waitcnt lgkmcnt(0)
	v_fmac_f32_e32 v52, v8, v4
	v_fmac_f32_e32 v51, v9, v4
	ds_read2_b32 v[8:9], v10 offset0:32 offset1:48
	s_waitcnt lgkmcnt(0)
	v_fmac_f32_e32 v54, v8, v1
	v_fmac_f32_e32 v53, v9, v1
	ds_read2_b32 v[0:1], v10 offset0:64 offset1:80
	v_fmac_f32_e32 v52, v8, v5
	v_fmac_f32_e32 v51, v9, v5
	s_waitcnt lgkmcnt(0)
	v_fmac_f32_e32 v54, v0, v2
	v_fmac_f32_e32 v53, v1, v2
	;; [unrolled: 1-line block ×4, first 2 shown]
	ds_read2_b32 v[0:1], v10 offset0:96 offset1:112
	s_waitcnt lgkmcnt(0)
	v_fmac_f32_e32 v54, v0, v3
	v_fmac_f32_e32 v53, v1, v3
	;; [unrolled: 1-line block ×4, first 2 shown]
	ds_read_b128 v[0:3], v45 offset:80
	ds_read2_b32 v[8:9], v10 offset0:128 offset1:144
	ds_read_b128 v[4:7], v45 offset:2128
	s_waitcnt lgkmcnt(1)
	v_fmac_f32_e32 v54, v8, v0
	v_fmac_f32_e32 v53, v9, v0
	s_waitcnt lgkmcnt(0)
	v_fmac_f32_e32 v52, v8, v4
	v_fmac_f32_e32 v51, v9, v4
	ds_read2_b32 v[8:9], v10 offset0:160 offset1:176
	s_waitcnt lgkmcnt(0)
	v_fmac_f32_e32 v54, v8, v1
	v_fmac_f32_e32 v53, v9, v1
	ds_read2_b32 v[0:1], v10 offset0:192 offset1:208
	v_fmac_f32_e32 v52, v8, v5
	v_fmac_f32_e32 v51, v9, v5
	s_waitcnt lgkmcnt(0)
	v_fmac_f32_e32 v54, v0, v2
	v_fmac_f32_e32 v53, v1, v2
	;; [unrolled: 1-line block ×4, first 2 shown]
	ds_read2_b32 v[0:1], v10 offset0:224 offset1:240
	v_add_u32_e32 v10, 0xc00, v47
	ds_read2_b32 v[8:9], v10 offset1:16
	s_waitcnt lgkmcnt(1)
	v_fmac_f32_e32 v54, v0, v3
	v_fmac_f32_e32 v53, v1, v3
	;; [unrolled: 1-line block ×4, first 2 shown]
	ds_read_b128 v[0:3], v45 offset:96
	ds_read_b128 v[4:7], v45 offset:2144
	s_waitcnt lgkmcnt(1)
	v_fmac_f32_e32 v54, v8, v0
	v_fmac_f32_e32 v53, v9, v0
	s_waitcnt lgkmcnt(0)
	v_fmac_f32_e32 v52, v8, v4
	v_fmac_f32_e32 v51, v9, v4
	ds_read2_b32 v[8:9], v10 offset0:32 offset1:48
	s_waitcnt lgkmcnt(0)
	v_fmac_f32_e32 v54, v8, v1
	v_fmac_f32_e32 v53, v9, v1
	ds_read2_b32 v[0:1], v10 offset0:64 offset1:80
	v_fmac_f32_e32 v52, v8, v5
	v_fmac_f32_e32 v51, v9, v5
	s_waitcnt lgkmcnt(0)
	v_fmac_f32_e32 v54, v0, v2
	v_fmac_f32_e32 v53, v1, v2
	;; [unrolled: 1-line block ×4, first 2 shown]
	ds_read2_b32 v[0:1], v10 offset0:96 offset1:112
	s_waitcnt lgkmcnt(0)
	v_fmac_f32_e32 v54, v0, v3
	v_fmac_f32_e32 v53, v1, v3
	;; [unrolled: 1-line block ×4, first 2 shown]
	ds_read_b128 v[0:3], v45 offset:112
	ds_read2_b32 v[8:9], v10 offset0:128 offset1:144
	ds_read_b128 v[4:7], v45 offset:2160
	s_waitcnt lgkmcnt(1)
	v_fmac_f32_e32 v54, v8, v0
	v_fmac_f32_e32 v53, v9, v0
	s_waitcnt lgkmcnt(0)
	v_fmac_f32_e32 v52, v8, v4
	v_fmac_f32_e32 v51, v9, v4
	ds_read2_b32 v[8:9], v10 offset0:160 offset1:176
	s_waitcnt lgkmcnt(0)
	v_fmac_f32_e32 v54, v8, v1
	v_fmac_f32_e32 v53, v9, v1
	ds_read2_b32 v[0:1], v10 offset0:192 offset1:208
	v_fmac_f32_e32 v52, v8, v5
	v_fmac_f32_e32 v51, v9, v5
	s_waitcnt lgkmcnt(0)
	v_fmac_f32_e32 v54, v0, v2
	v_fmac_f32_e32 v53, v1, v2
	;; [unrolled: 1-line block ×4, first 2 shown]
	ds_read2_b32 v[0:1], v10 offset0:224 offset1:240
	s_waitcnt lgkmcnt(0)
	s_barrier
	v_fmac_f32_e32 v54, v0, v3
	v_fmac_f32_e32 v52, v0, v7
	v_mov_b32_e32 v0, s35
	v_addc_co_u32_e64 v43, s[10:11], v43, v0, s[10:11]
	v_add_co_u32_e64 v30, s[10:11], s30, v30
	v_mov_b32_e32 v0, s31
	v_addc_co_u32_e64 v31, s[10:11], v31, v0, s[10:11]
	v_add_co_u32_e64 v32, s[10:11], s30, v32
	v_fmac_f32_e32 v53, v1, v3
	v_fmac_f32_e32 v51, v1, v7
	v_addc_co_u32_e64 v33, s[10:11], v33, v0, s[10:11]
	s_cbranch_scc1 .LBB19_55
.LBB19_7:                               ;   Parent Loop BB19_4 Depth=1
                                        ; =>  This Inner Loop Header: Depth=2
	v_mov_b32_e32 v0, s45
	v_add_co_u32_e64 v2, s[10:11], s44, v18
	v_addc_co_u32_e64 v3, s[10:11], v19, v0, s[10:11]
	v_add_co_u32_e64 v0, s[10:11], v32, v28
	v_addc_co_u32_e64 v1, s[10:11], v33, v29, s[10:11]
	v_cmp_eq_u64_e64 s[10:11], s[44:45], v[24:25]
	s_and_b64 s[50:51], s[24:25], s[10:11]
	v_cmp_lt_i64_e64 s[10:11], v[2:3], v[22:23]
	v_cmp_le_i64_e64 s[12:13], s[26:27], v[2:3]
	s_or_b64 s[14:15], s[16:17], s[10:11]
	s_or_b64 s[14:15], s[12:13], s[14:15]
	;; [unrolled: 1-line block ×3, first 2 shown]
	s_xor_b64 s[14:15], s[14:15], -1
	s_and_saveexec_b64 s[18:19], s[14:15]
	s_xor_b64 s[14:15], exec, s[18:19]
	s_cbranch_execz .LBB19_9
; %bb.8:                                ;   in Loop: Header=BB19_7 Depth=2
	global_load_dword v4, v[0:1], off
	s_waitcnt vmcnt(0)
	ds_write_b32 v46, v4
.LBB19_9:                               ;   in Loop: Header=BB19_7 Depth=2
	s_or_saveexec_b64 s[14:15], s[14:15]
	s_xor_b64 s[48:49], s[50:51], -1
	s_xor_b64 exec, exec, s[14:15]
	s_cbranch_execz .LBB19_15
; %bb.10:                               ;   in Loop: Header=BB19_7 Depth=2
	s_and_saveexec_b64 s[18:19], s[48:49]
	s_xor_b64 s[18:19], exec, s[18:19]
	s_cbranch_execz .LBB19_12
; %bb.11:                               ;   in Loop: Header=BB19_7 Depth=2
	ds_write_b32 v46, v49
.LBB19_12:                              ;   in Loop: Header=BB19_7 Depth=2
	s_andn2_saveexec_b64 s[18:19], s[18:19]
	s_cbranch_execz .LBB19_14
; %bb.13:                               ;   in Loop: Header=BB19_7 Depth=2
	ds_write_b32 v46, v50
.LBB19_14:                              ;   in Loop: Header=BB19_7 Depth=2
	s_or_b64 exec, exec, s[18:19]
.LBB19_15:                              ;   in Loop: Header=BB19_7 Depth=2
	s_or_b64 exec, exec, s[14:15]
	v_add_co_u32_e64 v4, s[14:15], 16, v2
	v_addc_co_u32_e64 v5, s[14:15], 0, v3, s[14:15]
	v_cmp_eq_u64_e64 s[14:15], s[44:45], v[40:41]
	v_cmp_lt_i64_e64 s[18:19], v[4:5], v[22:23]
	s_and_b64 s[52:53], s[24:25], s[14:15]
	v_cmp_le_i64_e64 s[14:15], s[26:27], v[4:5]
	s_or_b64 s[18:19], s[16:17], s[18:19]
	s_or_b64 s[18:19], s[14:15], s[18:19]
	;; [unrolled: 1-line block ×3, first 2 shown]
	s_xor_b64 s[18:19], s[18:19], -1
	s_and_saveexec_b64 s[54:55], s[18:19]
	s_xor_b64 s[54:55], exec, s[54:55]
	s_cbranch_execz .LBB19_17
; %bb.16:                               ;   in Loop: Header=BB19_7 Depth=2
	v_add_co_u32_e64 v4, s[18:19], v30, v28
	v_addc_co_u32_e64 v5, s[18:19], v31, v29, s[18:19]
	global_load_dword v4, v[4:5], off
	s_waitcnt vmcnt(0)
	ds_write_b32 v46, v4 offset:64
.LBB19_17:                              ;   in Loop: Header=BB19_7 Depth=2
	s_andn2_saveexec_b64 s[18:19], s[54:55]
	s_cbranch_execz .LBB19_23
; %bb.18:                               ;   in Loop: Header=BB19_7 Depth=2
	s_xor_b64 s[52:53], s[52:53], -1
	s_and_saveexec_b64 s[54:55], s[52:53]
	s_xor_b64 s[52:53], exec, s[54:55]
	s_cbranch_execz .LBB19_20
; %bb.19:                               ;   in Loop: Header=BB19_7 Depth=2
	ds_write_b32 v46, v49 offset:64
.LBB19_20:                              ;   in Loop: Header=BB19_7 Depth=2
	s_andn2_saveexec_b64 s[52:53], s[52:53]
	s_cbranch_execz .LBB19_22
; %bb.21:                               ;   in Loop: Header=BB19_7 Depth=2
	ds_write_b32 v46, v50 offset:64
.LBB19_22:                              ;   in Loop: Header=BB19_7 Depth=2
	s_or_b64 exec, exec, s[52:53]
.LBB19_23:                              ;   in Loop: Header=BB19_7 Depth=2
	s_or_b64 exec, exec, s[18:19]
	v_cmp_eq_u64_e64 s[18:19], s[44:45], v[38:39]
	s_and_b64 s[52:53], s[24:25], s[18:19]
	v_cmp_lt_i64_e64 s[18:19], v[2:3], v[36:37]
	s_or_b64 s[18:19], s[8:9], s[18:19]
	s_or_b64 s[18:19], s[18:19], s[52:53]
	;; [unrolled: 1-line block ×3, first 2 shown]
	s_xor_b64 s[12:13], s[12:13], -1
	s_and_saveexec_b64 s[18:19], s[12:13]
	s_xor_b64 s[12:13], exec, s[18:19]
	s_cbranch_execz .LBB19_25
; %bb.24:                               ;   in Loop: Header=BB19_7 Depth=2
	global_load_dword v0, v[0:1], off offset:64
	s_waitcnt vmcnt(0)
	ds_write_b32 v46, v0 offset:2048
.LBB19_25:                              ;   in Loop: Header=BB19_7 Depth=2
	s_andn2_saveexec_b64 s[12:13], s[12:13]
	s_cbranch_execz .LBB19_31
; %bb.26:                               ;   in Loop: Header=BB19_7 Depth=2
	s_xor_b64 s[18:19], s[52:53], -1
	s_and_saveexec_b64 s[52:53], s[18:19]
	s_xor_b64 s[18:19], exec, s[52:53]
	s_cbranch_execz .LBB19_28
; %bb.27:                               ;   in Loop: Header=BB19_7 Depth=2
	ds_write_b32 v46, v49 offset:2048
.LBB19_28:                              ;   in Loop: Header=BB19_7 Depth=2
	s_andn2_saveexec_b64 s[18:19], s[18:19]
	s_cbranch_execz .LBB19_30
; %bb.29:                               ;   in Loop: Header=BB19_7 Depth=2
	ds_write_b32 v46, v50 offset:2048
.LBB19_30:                              ;   in Loop: Header=BB19_7 Depth=2
	s_or_b64 exec, exec, s[18:19]
.LBB19_31:                              ;   in Loop: Header=BB19_7 Depth=2
	s_or_b64 exec, exec, s[12:13]
	s_or_b64 s[10:11], s[8:9], s[10:11]
	s_or_b64 s[10:11], s[14:15], s[10:11]
	;; [unrolled: 1-line block ×3, first 2 shown]
	s_xor_b64 s[10:11], s[10:11], -1
	s_and_saveexec_b64 s[12:13], s[10:11]
	s_xor_b64 s[12:13], exec, s[12:13]
	s_cbranch_execz .LBB19_33
; %bb.32:                               ;   in Loop: Header=BB19_7 Depth=2
	v_add_co_u32_e64 v0, s[10:11], v30, v28
	v_addc_co_u32_e64 v1, s[10:11], v31, v29, s[10:11]
	global_load_dword v0, v[0:1], off offset:64
	s_waitcnt vmcnt(0)
	ds_write_b32 v46, v0 offset:2112
.LBB19_33:                              ;   in Loop: Header=BB19_7 Depth=2
	s_andn2_saveexec_b64 s[10:11], s[12:13]
	s_cbranch_execz .LBB19_39
; %bb.34:                               ;   in Loop: Header=BB19_7 Depth=2
	s_and_saveexec_b64 s[12:13], s[48:49]
	s_xor_b64 s[12:13], exec, s[12:13]
	s_cbranch_execz .LBB19_36
; %bb.35:                               ;   in Loop: Header=BB19_7 Depth=2
	ds_write_b32 v46, v49 offset:2112
.LBB19_36:                              ;   in Loop: Header=BB19_7 Depth=2
	s_andn2_saveexec_b64 s[12:13], s[12:13]
	s_cbranch_execz .LBB19_38
; %bb.37:                               ;   in Loop: Header=BB19_7 Depth=2
	ds_write_b32 v46, v50 offset:2112
.LBB19_38:                              ;   in Loop: Header=BB19_7 Depth=2
	s_or_b64 exec, exec, s[12:13]
.LBB19_39:                              ;   in Loop: Header=BB19_7 Depth=2
	s_or_b64 exec, exec, s[10:11]
	v_mov_b32_e32 v1, s45
	v_add_co_u32_e64 v0, s[10:11], s44, v20
	v_addc_co_u32_e64 v1, s[10:11], v21, v1, s[10:11]
	v_add_co_u32_e64 v2, s[10:11], v42, v26
	v_addc_co_u32_e64 v3, s[10:11], v43, v27, s[10:11]
	v_cmp_le_i64_e64 s[10:11], s[26:27], v[0:1]
	s_or_b64 s[12:13], s[10:11], vcc
	s_xor_b64 s[12:13], s[12:13], -1
	s_and_saveexec_b64 s[14:15], s[12:13]
	s_xor_b64 s[12:13], exec, s[14:15]
	s_cbranch_execz .LBB19_41
; %bb.40:                               ;   in Loop: Header=BB19_7 Depth=2
	global_load_dword v4, v[2:3], off offset:-64
	s_waitcnt vmcnt(0)
	ds_write_b32 v48, v4
.LBB19_41:                              ;   in Loop: Header=BB19_7 Depth=2
	s_andn2_saveexec_b64 s[12:13], s[12:13]
	s_cbranch_execz .LBB19_43
; %bb.42:                               ;   in Loop: Header=BB19_7 Depth=2
	ds_write_b32 v48, v49
.LBB19_43:                              ;   in Loop: Header=BB19_7 Depth=2
	s_or_b64 exec, exec, s[12:13]
	s_or_b64 s[10:11], s[10:11], s[0:1]
	s_xor_b64 s[10:11], s[10:11], -1
	s_and_saveexec_b64 s[12:13], s[10:11]
	s_xor_b64 s[10:11], exec, s[12:13]
	s_cbranch_execz .LBB19_45
; %bb.44:                               ;   in Loop: Header=BB19_7 Depth=2
	global_load_dword v2, v[2:3], off
	s_waitcnt vmcnt(0)
	ds_write_b32 v48, v2 offset:64
.LBB19_45:                              ;   in Loop: Header=BB19_7 Depth=2
	s_andn2_saveexec_b64 s[10:11], s[10:11]
	s_cbranch_execz .LBB19_47
; %bb.46:                               ;   in Loop: Header=BB19_7 Depth=2
	ds_write_b32 v48, v49 offset:64
.LBB19_47:                              ;   in Loop: Header=BB19_7 Depth=2
	s_or_b64 exec, exec, s[10:11]
	v_cmp_le_i64_e64 s[10:11], s[36:37], v[0:1]
	s_or_b64 s[12:13], s[10:11], vcc
	s_xor_b64 s[12:13], s[12:13], -1
	s_and_saveexec_b64 s[14:15], s[12:13]
	s_xor_b64 s[14:15], exec, s[14:15]
	s_cbranch_execz .LBB19_49
; %bb.48:                               ;   in Loop: Header=BB19_7 Depth=2
	v_add_co_u32_e64 v0, s[12:13], v42, v34
	v_addc_co_u32_e64 v1, s[12:13], v43, v35, s[12:13]
	global_load_dword v0, v[0:1], off offset:-64
	s_waitcnt vmcnt(0)
	ds_write_b32 v48, v0 offset:2048
.LBB19_49:                              ;   in Loop: Header=BB19_7 Depth=2
	s_andn2_saveexec_b64 s[12:13], s[14:15]
	s_cbranch_execz .LBB19_51
; %bb.50:                               ;   in Loop: Header=BB19_7 Depth=2
	ds_write_b32 v48, v49 offset:2048
.LBB19_51:                              ;   in Loop: Header=BB19_7 Depth=2
	s_or_b64 exec, exec, s[12:13]
	s_or_b64 s[10:11], s[10:11], s[0:1]
	s_xor_b64 s[10:11], s[10:11], -1
	s_and_saveexec_b64 s[12:13], s[10:11]
	s_xor_b64 s[12:13], exec, s[12:13]
	s_cbranch_execz .LBB19_53
; %bb.52:                               ;   in Loop: Header=BB19_7 Depth=2
	v_add_co_u32_e64 v0, s[10:11], v42, v34
	v_addc_co_u32_e64 v1, s[10:11], v43, v35, s[10:11]
	global_load_dword v0, v[0:1], off
	s_waitcnt vmcnt(0)
	ds_write_b32 v48, v0 offset:2112
.LBB19_53:                              ;   in Loop: Header=BB19_7 Depth=2
	s_andn2_saveexec_b64 s[10:11], s[12:13]
	s_cbranch_execz .LBB19_6
; %bb.54:                               ;   in Loop: Header=BB19_7 Depth=2
	ds_write_b32 v48, v49 offset:2112
	s_branch .LBB19_6
.LBB19_55:                              ;   in Loop: Header=BB19_4 Depth=1
	v_mul_lo_u32 v2, v23, s40
	v_mul_lo_u32 v3, v22, s41
	v_mad_u64_u32 v[0:1], s[10:11], v22, s40, 0
	v_add3_u32 v1, v1, v3, v2
	v_lshlrev_b64 v[0:1], 2, v[0:1]
	v_mov_b32_e32 v2, s57
	v_add_co_u32_e64 v0, s[10:11], s56, v0
	v_cmp_gt_i32_e64 s[8:9], s46, v22
	v_addc_co_u32_e64 v1, s[10:11], v2, v1, s[10:11]
	s_and_b64 s[10:11], s[2:3], s[8:9]
	s_and_saveexec_b64 s[12:13], s[10:11]
	s_cbranch_execz .LBB19_57
; %bb.56:                               ;   in Loop: Header=BB19_4 Depth=1
	v_add_co_u32_e64 v2, s[10:11], v0, v12
	v_addc_co_u32_e64 v3, s[10:11], v1, v13, s[10:11]
	global_load_dword v4, v[2:3], off
	s_waitcnt vmcnt(0)
	v_fmac_f32_e32 v4, s47, v54
	global_store_dword v[2:3], v4, off
.LBB19_57:                              ;   in Loop: Header=BB19_4 Depth=1
	s_or_b64 exec, exec, s[12:13]
	s_and_b64 s[8:9], s[4:5], s[8:9]
	s_and_saveexec_b64 s[10:11], s[8:9]
	s_cbranch_execz .LBB19_59
; %bb.58:                               ;   in Loop: Header=BB19_4 Depth=1
	v_lshlrev_b64 v[2:3], 2, v[16:17]
	v_add_co_u32_e64 v0, s[8:9], v0, v2
	v_addc_co_u32_e64 v1, s[8:9], v1, v3, s[8:9]
	global_load_dword v2, v[0:1], off
	s_waitcnt vmcnt(0)
	v_fmac_f32_e32 v2, s47, v53
	global_store_dword v[0:1], v2, off
.LBB19_59:                              ;   in Loop: Header=BB19_4 Depth=1
	s_or_b64 exec, exec, s[10:11]
	v_add_u32_e32 v0, 16, v22
	v_ashrrev_i32_e32 v1, 31, v0
	v_cmp_gt_i32_e64 s[8:9], s46, v0
	v_mul_lo_u32 v2, v1, s40
	v_mul_lo_u32 v3, v0, s41
	v_mad_u64_u32 v[0:1], s[10:11], v0, s40, 0
	v_add3_u32 v1, v1, v3, v2
	v_lshlrev_b64 v[0:1], 2, v[0:1]
	v_mov_b32_e32 v2, s57
	v_add_co_u32_e64 v0, s[10:11], s56, v0
	v_addc_co_u32_e64 v1, s[10:11], v2, v1, s[10:11]
	s_and_b64 s[10:11], s[2:3], s[8:9]
	s_and_saveexec_b64 s[12:13], s[10:11]
	s_cbranch_execz .LBB19_61
; %bb.60:                               ;   in Loop: Header=BB19_4 Depth=1
	v_add_co_u32_e64 v2, s[10:11], v0, v12
	v_addc_co_u32_e64 v3, s[10:11], v1, v13, s[10:11]
	global_load_dword v4, v[2:3], off
	s_waitcnt vmcnt(0)
	v_fmac_f32_e32 v4, s47, v52
	global_store_dword v[2:3], v4, off
.LBB19_61:                              ;   in Loop: Header=BB19_4 Depth=1
	s_or_b64 exec, exec, s[12:13]
	s_and_b64 s[8:9], s[4:5], s[8:9]
	s_and_saveexec_b64 s[10:11], s[8:9]
	s_cbranch_execz .LBB19_3
; %bb.62:                               ;   in Loop: Header=BB19_4 Depth=1
	v_lshlrev_b64 v[2:3], 2, v[16:17]
	v_add_co_u32_e64 v0, s[8:9], v0, v2
	v_addc_co_u32_e64 v1, s[8:9], v1, v3, s[8:9]
	global_load_dword v2, v[0:1], off
	s_waitcnt vmcnt(0)
	v_fmac_f32_e32 v2, s47, v51
	global_store_dword v[0:1], v2, off
	s_branch .LBB19_3
.LBB19_63:
	s_endpgm
	.section	.rodata,"a",@progbits
	.p2align	6, 0x0
	.amdhsa_kernel _ZL30rocblas_trmm_outofplace_kernelIfLi32ELi2ELb0ELb1ELb1ELb0EfKffEv17rocblas_diagonal_iiT6_lPT7_lllS4_lllPT8_llli
		.amdhsa_group_segment_fixed_size 8192
		.amdhsa_private_segment_fixed_size 0
		.amdhsa_kernarg_size 384
		.amdhsa_user_sgpr_count 6
		.amdhsa_user_sgpr_private_segment_buffer 1
		.amdhsa_user_sgpr_dispatch_ptr 0
		.amdhsa_user_sgpr_queue_ptr 0
		.amdhsa_user_sgpr_kernarg_segment_ptr 1
		.amdhsa_user_sgpr_dispatch_id 0
		.amdhsa_user_sgpr_flat_scratch_init 0
		.amdhsa_user_sgpr_kernarg_preload_length 0
		.amdhsa_user_sgpr_kernarg_preload_offset 0
		.amdhsa_user_sgpr_private_segment_size 0
		.amdhsa_uses_dynamic_stack 0
		.amdhsa_system_sgpr_private_segment_wavefront_offset 0
		.amdhsa_system_sgpr_workgroup_id_x 1
		.amdhsa_system_sgpr_workgroup_id_y 1
		.amdhsa_system_sgpr_workgroup_id_z 1
		.amdhsa_system_sgpr_workgroup_info 0
		.amdhsa_system_vgpr_workitem_id 1
		.amdhsa_next_free_vgpr 66
		.amdhsa_next_free_sgpr 60
		.amdhsa_accum_offset 68
		.amdhsa_reserve_vcc 1
		.amdhsa_reserve_flat_scratch 0
		.amdhsa_float_round_mode_32 0
		.amdhsa_float_round_mode_16_64 0
		.amdhsa_float_denorm_mode_32 3
		.amdhsa_float_denorm_mode_16_64 3
		.amdhsa_dx10_clamp 1
		.amdhsa_ieee_mode 1
		.amdhsa_fp16_overflow 0
		.amdhsa_tg_split 0
		.amdhsa_exception_fp_ieee_invalid_op 0
		.amdhsa_exception_fp_denorm_src 0
		.amdhsa_exception_fp_ieee_div_zero 0
		.amdhsa_exception_fp_ieee_overflow 0
		.amdhsa_exception_fp_ieee_underflow 0
		.amdhsa_exception_fp_ieee_inexact 0
		.amdhsa_exception_int_div_zero 0
	.end_amdhsa_kernel
	.section	.text._ZL30rocblas_trmm_outofplace_kernelIfLi32ELi2ELb0ELb1ELb1ELb0EfKffEv17rocblas_diagonal_iiT6_lPT7_lllS4_lllPT8_llli,"axG",@progbits,_ZL30rocblas_trmm_outofplace_kernelIfLi32ELi2ELb0ELb1ELb1ELb0EfKffEv17rocblas_diagonal_iiT6_lPT7_lllS4_lllPT8_llli,comdat
.Lfunc_end19:
	.size	_ZL30rocblas_trmm_outofplace_kernelIfLi32ELi2ELb0ELb1ELb1ELb0EfKffEv17rocblas_diagonal_iiT6_lPT7_lllS4_lllPT8_llli, .Lfunc_end19-_ZL30rocblas_trmm_outofplace_kernelIfLi32ELi2ELb0ELb1ELb1ELb0EfKffEv17rocblas_diagonal_iiT6_lPT7_lllS4_lllPT8_llli
                                        ; -- End function
	.section	.AMDGPU.csdata,"",@progbits
; Kernel info:
; codeLenInByte = 3212
; NumSgprs: 64
; NumVgprs: 66
; NumAgprs: 0
; TotalNumVgprs: 66
; ScratchSize: 0
; MemoryBound: 0
; FloatMode: 240
; IeeeMode: 1
; LDSByteSize: 8192 bytes/workgroup (compile time only)
; SGPRBlocks: 7
; VGPRBlocks: 8
; NumSGPRsForWavesPerEU: 64
; NumVGPRsForWavesPerEU: 66
; AccumOffset: 68
; Occupancy: 7
; WaveLimiterHint : 0
; COMPUTE_PGM_RSRC2:SCRATCH_EN: 0
; COMPUTE_PGM_RSRC2:USER_SGPR: 6
; COMPUTE_PGM_RSRC2:TRAP_HANDLER: 0
; COMPUTE_PGM_RSRC2:TGID_X_EN: 1
; COMPUTE_PGM_RSRC2:TGID_Y_EN: 1
; COMPUTE_PGM_RSRC2:TGID_Z_EN: 1
; COMPUTE_PGM_RSRC2:TIDIG_COMP_CNT: 1
; COMPUTE_PGM_RSRC3_GFX90A:ACCUM_OFFSET: 16
; COMPUTE_PGM_RSRC3_GFX90A:TG_SPLIT: 0
	.section	.text._ZL30rocblas_trmm_outofplace_kernelIfLi32ELi2ELb0ELb0ELb1ELb1EPKfS0_fEv17rocblas_diagonal_iiT6_lPT7_lllS5_lllPT8_llli,"axG",@progbits,_ZL30rocblas_trmm_outofplace_kernelIfLi32ELi2ELb0ELb0ELb1ELb1EPKfS0_fEv17rocblas_diagonal_iiT6_lPT7_lllS5_lllPT8_llli,comdat
	.globl	_ZL30rocblas_trmm_outofplace_kernelIfLi32ELi2ELb0ELb0ELb1ELb1EPKfS0_fEv17rocblas_diagonal_iiT6_lPT7_lllS5_lllPT8_llli ; -- Begin function _ZL30rocblas_trmm_outofplace_kernelIfLi32ELi2ELb0ELb0ELb1ELb1EPKfS0_fEv17rocblas_diagonal_iiT6_lPT7_lllS5_lllPT8_llli
	.p2align	8
	.type	_ZL30rocblas_trmm_outofplace_kernelIfLi32ELi2ELb0ELb0ELb1ELb1EPKfS0_fEv17rocblas_diagonal_iiT6_lPT7_lllS5_lllPT8_llli,@function
_ZL30rocblas_trmm_outofplace_kernelIfLi32ELi2ELb0ELb0ELb1ELb1EPKfS0_fEv17rocblas_diagonal_iiT6_lPT7_lllS5_lllPT8_llli: ; @_ZL30rocblas_trmm_outofplace_kernelIfLi32ELi2ELb0ELb0ELb1ELb1EPKfS0_fEv17rocblas_diagonal_iiT6_lPT7_lllS5_lllPT8_llli
; %bb.0:
	s_load_dwordx16 s[12:27], s[4:5], 0x10
	s_waitcnt lgkmcnt(0)
	s_mul_i32 s0, s8, s15
	s_mul_hi_u32 s1, s8, s14
	s_add_i32 s1, s1, s0
	s_mul_i32 s0, s8, s14
	s_lshl_b64 s[0:1], s[0:1], 2
	s_add_u32 s0, s12, s0
	s_addc_u32 s1, s13, s1
	s_load_dword s33, s[0:1], 0x0
	s_waitcnt lgkmcnt(0)
	v_cmp_eq_f32_e64 s[0:1], s33, 0
	s_and_b64 vcc, exec, s[0:1]
	s_cbranch_vccnz .LBB20_63
; %bb.1:
	s_load_dwordx4 s[28:31], s[4:5], 0x0
	s_waitcnt lgkmcnt(0)
	s_add_i32 s0, s30, -1
	s_ashr_i32 s1, s0, 31
	s_lshr_b32 s1, s1, 27
	s_add_i32 s0, s0, s1
	s_ashr_i32 s48, s0, 5
	s_cmp_gt_i32 s7, s48
	s_cbranch_scc1 .LBB20_63
; %bb.2:
	s_mul_i32 s0, s8, s23
	s_mul_hi_u32 s1, s8, s22
	s_add_i32 s1, s1, s0
	s_mul_i32 s0, s8, s22
	s_load_dwordx4 s[44:47], s[4:5], 0x70
	s_load_dword s49, s[4:5], 0x8c
	s_lshl_b64 s[12:13], s[0:1], 2
	s_add_u32 s0, s16, s12
	s_load_dwordx8 s[36:43], s[4:5], 0x50
	s_addc_u32 s1, s17, s13
	s_lshl_b64 s[14:15], s[18:19], 2
	s_add_u32 s2, s0, s14
	s_addc_u32 s3, s1, s15
	s_waitcnt lgkmcnt(0)
	s_mul_i32 s0, s8, s47
	s_mul_hi_u32 s1, s8, s46
	s_add_i32 s1, s1, s0
	s_mul_i32 s0, s8, s46
	s_lshl_b64 s[0:1], s[0:1], 2
	s_add_u32 s4, s40, s0
	s_addc_u32 s5, s41, s1
	s_lshl_b64 s[0:1], s[42:43], 2
	s_add_u32 s46, s4, s0
	v_and_b32_e32 v14, 0x3ff, v0
	s_addc_u32 s47, s5, s1
	v_mad_u64_u32 v[2:3], s[0:1], v14, s20, 0
	v_mov_b32_e32 v4, v3
	v_mad_u64_u32 v[4:5], s[0:1], v14, s21, v[4:5]
	v_mov_b32_e32 v3, v4
	v_lshlrev_b64 v[2:3], 2, v[2:3]
	v_mov_b32_e32 v4, s3
	v_add_co_u32_e32 v16, vcc, s2, v2
	s_cmpk_eq_i32 s28, 0x84
	v_bfe_u32 v12, v0, 10, 10
	v_lshl_add_u32 v0, s6, 5, v14
	v_addc_co_u32_e32 v17, vcc, v4, v3, vcc
	s_cselect_b64 s[22:23], -1, 0
	s_ashr_i32 s0, s29, 31
	v_ashrrev_i32_e32 v1, 31, v0
	v_mov_b32_e32 v3, s0
	v_sub_co_u32_e32 v2, vcc, s29, v0
	v_subb_co_u32_e32 v3, vcc, v3, v1, vcc
	v_sub_co_u32_e64 v54, s[10:11], 0, v14
	v_cmp_gt_i64_e32 vcc, 1, v[2:3]
	v_cmp_gt_i64_e64 s[0:1], 17, v[2:3]
	v_subb_co_u32_e64 v55, s[10:11], 0, 0, s[10:11]
	v_mad_u64_u32 v[2:3], s[10:11], s36, v12, 0
	v_mov_b32_e32 v4, v3
	s_ashr_i32 s31, s30, 31
	s_lshl_b64 s[34:35], s[20:21], 7
	s_lshl_b64 s[40:41], s[36:37], 7
	v_mad_u64_u32 v[4:5], s[10:11], s37, v12, v[4:5]
	s_add_u32 s42, s30, -16
	s_mul_i32 s9, s39, s8
	s_mul_hi_u32 s10, s38, s8
	s_addc_u32 s43, s31, -1
	s_add_i32 s9, s10, s9
	s_mul_i32 s8, s38, s8
	s_lshl_b32 s6, s49, 5
	s_lshl_b64 s[8:9], s[8:9], 2
	s_lshl_b64 s[10:11], s[26:27], 2
	s_add_u32 s8, s8, s10
	s_addc_u32 s9, s9, s11
	s_add_u32 s8, s24, s8
	v_lshlrev_b64 v[24:25], 2, v[0:1]
	s_addc_u32 s9, s25, s9
	v_cmp_gt_i32_e64 s[2:3], s29, v0
	v_add_u32_e32 v18, 16, v0
	v_mov_b32_e32 v0, s9
	v_add_co_u32_e64 v1, s[8:9], s8, v24
	v_addc_co_u32_e64 v0, s[8:9], v0, v25, s[8:9]
	v_add_co_u32_e64 v26, s[8:9], 64, v1
	v_addc_co_u32_e64 v27, s[8:9], 0, v0, s[8:9]
	s_add_u32 s8, s16, s14
	s_addc_u32 s9, s17, s15
	s_add_u32 s8, s8, s12
	v_lshlrev_b32_e32 v6, 2, v14
	v_mov_b32_e32 v3, v4
	s_addc_u32 s9, s9, s13
	v_lshlrev_b64 v[22:23], 2, v[2:3]
	v_add_u32_e32 v2, 64, v6
	v_pk_mov_b32 v[0:1], s[8:9], s[8:9] op_sel:[0,1]
	v_mad_u64_u32 v[28:29], s[8:9], s20, v2, v[0:1]
	v_mov_b32_e32 v0, v29
	v_mad_u64_u32 v[0:1], s[8:9], s21, v2, v[0:1]
	v_lshl_add_u32 v1, v12, 2, 64
	v_mad_u64_u32 v[30:31], s[8:9], s36, v1, 0
	v_mov_b32_e32 v29, v0
	v_mov_b32_e32 v0, v31
	v_lshlrev_b32_e32 v50, 7, v12
	v_or_b32_e32 v52, 0x1000, v6
	v_mad_u64_u32 v[0:1], s[8:9], s37, v1, v[0:1]
	v_mov_b32_e32 v15, 0
	v_add_u32_e32 v51, v50, v6
	v_add_u32_e32 v53, v52, v50
	v_cmp_gt_i32_e64 s[4:5], s29, v18
	v_ashrrev_i32_e32 v19, 31, v18
	v_lshl_add_u32 v20, s7, 5, v12
	v_mov_b32_e32 v13, v0
	v_mov_b32_e32 v31, 1.0
	s_branch .LBB20_4
.LBB20_3:                               ;   in Loop: Header=BB20_4 Depth=1
	s_or_b64 exec, exec, s[10:11]
	s_add_i32 s7, s49, s7
	s_cmp_le_i32 s7, s48
	v_add_u32_e32 v20, s6, v20
	s_cbranch_scc0 .LBB20_63
.LBB20_4:                               ; =>This Loop Header: Depth=1
                                        ;     Child Loop BB20_7 Depth 2
	s_lshl_b32 s38, s7, 5
	v_add_u32_e32 v32, s38, v12
	v_ashrrev_i32_e32 v33, 31, v32
	s_cmp_lt_i32 s7, 0
	v_mov_b32_e32 v58, 0
	v_mov_b32_e32 v57, 0
	;; [unrolled: 1-line block ×4, first 2 shown]
	s_cbranch_scc1 .LBB20_55
; %bb.5:                                ;   in Loop: Header=BB20_4 Depth=1
	v_ashrrev_i32_e32 v21, 31, v20
	v_add_co_u32_e64 v34, s[8:9], v54, v20
	v_addc_co_u32_e64 v35, s[8:9], v55, v21, s[8:9]
	v_add_co_u32_e64 v40, s[10:11], 16, v34
	v_add_co_u32_e64 v38, s[8:9], 16, v32
	v_addc_co_u32_e64 v41, s[10:11], 0, v35, s[10:11]
	v_addc_co_u32_e64 v39, s[8:9], 0, v33, s[8:9]
	v_add_co_u32_e64 v42, s[10:11], -16, v34
	v_lshlrev_b64 v[36:37], 2, v[20:21]
	v_cmp_le_i32_e64 s[16:17], s30, v32
	v_cmp_le_i64_e64 s[8:9], s[30:31], v[38:39]
	v_addc_co_u32_e64 v43, s[10:11], -1, v35, s[10:11]
	s_mov_b64 s[20:21], 0
	v_mov_b32_e32 v21, 0
	v_pk_mov_b32 v[44:45], v[16:17], v[16:17] op_sel:[0,1]
	v_pk_mov_b32 v[46:47], v[28:29], v[28:29] op_sel:[0,1]
	;; [unrolled: 1-line block ×3, first 2 shown]
	v_mov_b32_e32 v56, 0
	v_mov_b32_e32 v57, 0
	;; [unrolled: 1-line block ×3, first 2 shown]
	s_branch .LBB20_7
.LBB20_6:                               ;   in Loop: Header=BB20_7 Depth=2
	s_or_b64 exec, exec, s[10:11]
	s_waitcnt lgkmcnt(0)
	s_barrier
	ds_read_b128 v[60:63], v50
	ds_read_b128 v[8:11], v50 offset:16
	ds_read_b128 v[4:7], v50 offset:32
	;; [unrolled: 1-line block ×3, first 2 shown]
	ds_read2_b32 v[68:69], v52 offset1:16
	ds_read_b128 v[64:67], v50 offset:2048
	v_add_u32_e32 v59, 0x400, v52
	v_add_co_u32_e64 v48, s[10:11], s40, v48
	s_waitcnt lgkmcnt(1)
	v_fmac_f32_e32 v58, v68, v60
	v_fmac_f32_e32 v57, v69, v60
	s_waitcnt lgkmcnt(0)
	v_fmac_f32_e32 v56, v68, v64
	v_fmac_f32_e32 v21, v69, v64
	ds_read2_b32 v[68:69], v52 offset0:32 offset1:48
	s_add_u32 s20, s20, 32
	s_addc_u32 s21, s21, 0
	s_sub_i32 s12, s20, 32
	s_cmp_ge_i32 s12, s38
	s_waitcnt lgkmcnt(0)
	v_fmac_f32_e32 v58, v68, v61
	v_fmac_f32_e32 v57, v69, v61
	ds_read2_b32 v[60:61], v52 offset0:64 offset1:80
	v_fmac_f32_e32 v56, v68, v65
	v_fmac_f32_e32 v21, v69, v65
	ds_read2_b32 v[64:65], v52 offset0:128 offset1:144
	s_waitcnt lgkmcnt(1)
	v_fmac_f32_e32 v58, v60, v62
	v_fmac_f32_e32 v57, v61, v62
	;; [unrolled: 1-line block ×4, first 2 shown]
	ds_read2_b32 v[60:61], v52 offset0:96 offset1:112
	s_waitcnt lgkmcnt(0)
	v_fmac_f32_e32 v58, v60, v63
	v_fmac_f32_e32 v57, v61, v63
	;; [unrolled: 1-line block ×4, first 2 shown]
	ds_read_b128 v[60:63], v50 offset:2064
	v_fmac_f32_e32 v58, v64, v8
	v_fmac_f32_e32 v57, v65, v8
	s_waitcnt lgkmcnt(0)
	v_fmac_f32_e32 v56, v64, v60
	v_fmac_f32_e32 v21, v65, v60
	ds_read2_b32 v[64:65], v52 offset0:160 offset1:176
	s_waitcnt lgkmcnt(0)
	v_fmac_f32_e32 v58, v64, v9
	v_fmac_f32_e32 v57, v65, v9
	ds_read2_b32 v[8:9], v52 offset0:192 offset1:208
	v_fmac_f32_e32 v56, v64, v61
	v_fmac_f32_e32 v21, v65, v61
	ds_read2_b32 v[60:61], v59 offset1:16
	s_waitcnt lgkmcnt(1)
	v_fmac_f32_e32 v58, v8, v10
	v_fmac_f32_e32 v57, v9, v10
	;; [unrolled: 1-line block ×4, first 2 shown]
	ds_read2_b32 v[8:9], v52 offset0:224 offset1:240
	s_waitcnt lgkmcnt(0)
	v_fmac_f32_e32 v58, v8, v11
	v_fmac_f32_e32 v57, v9, v11
	;; [unrolled: 1-line block ×4, first 2 shown]
	ds_read_b128 v[8:11], v50 offset:2080
	v_fmac_f32_e32 v58, v60, v4
	v_fmac_f32_e32 v57, v61, v4
	s_waitcnt lgkmcnt(0)
	v_fmac_f32_e32 v56, v60, v8
	v_fmac_f32_e32 v21, v61, v8
	ds_read2_b32 v[60:61], v59 offset0:32 offset1:48
	s_waitcnt lgkmcnt(0)
	v_fmac_f32_e32 v58, v60, v5
	v_fmac_f32_e32 v57, v61, v5
	ds_read2_b32 v[4:5], v59 offset0:64 offset1:80
	v_fmac_f32_e32 v56, v60, v9
	v_fmac_f32_e32 v21, v61, v9
	ds_read2_b32 v[8:9], v59 offset0:128 offset1:144
	s_waitcnt lgkmcnt(1)
	v_fmac_f32_e32 v58, v4, v6
	v_fmac_f32_e32 v57, v5, v6
	;; [unrolled: 1-line block ×4, first 2 shown]
	ds_read2_b32 v[4:5], v59 offset0:96 offset1:112
	v_add_u32_e32 v10, 0x800, v52
	s_waitcnt lgkmcnt(0)
	v_fmac_f32_e32 v58, v4, v7
	v_fmac_f32_e32 v57, v5, v7
	v_fmac_f32_e32 v56, v4, v11
	v_fmac_f32_e32 v21, v5, v11
	ds_read_b128 v[4:7], v50 offset:2096
	v_fmac_f32_e32 v58, v8, v0
	v_fmac_f32_e32 v57, v9, v0
	s_waitcnt lgkmcnt(0)
	v_fmac_f32_e32 v56, v8, v4
	v_fmac_f32_e32 v21, v9, v4
	ds_read2_b32 v[8:9], v59 offset0:160 offset1:176
	s_waitcnt lgkmcnt(0)
	v_fmac_f32_e32 v58, v8, v1
	v_fmac_f32_e32 v57, v9, v1
	ds_read2_b32 v[0:1], v59 offset0:192 offset1:208
	v_fmac_f32_e32 v56, v8, v5
	v_fmac_f32_e32 v21, v9, v5
	ds_read2_b32 v[8:9], v10 offset1:16
	s_waitcnt lgkmcnt(1)
	v_fmac_f32_e32 v58, v0, v2
	v_fmac_f32_e32 v57, v1, v2
	;; [unrolled: 1-line block ×4, first 2 shown]
	ds_read2_b32 v[0:1], v59 offset0:224 offset1:240
	s_waitcnt lgkmcnt(0)
	v_fmac_f32_e32 v58, v0, v3
	v_fmac_f32_e32 v57, v1, v3
	;; [unrolled: 1-line block ×4, first 2 shown]
	ds_read_b128 v[0:3], v50 offset:64
	ds_read_b128 v[4:7], v50 offset:2112
	s_waitcnt lgkmcnt(1)
	v_fmac_f32_e32 v58, v8, v0
	v_fmac_f32_e32 v57, v9, v0
	s_waitcnt lgkmcnt(0)
	v_fmac_f32_e32 v56, v8, v4
	v_fmac_f32_e32 v21, v9, v4
	ds_read2_b32 v[8:9], v10 offset0:32 offset1:48
	s_waitcnt lgkmcnt(0)
	v_fmac_f32_e32 v58, v8, v1
	v_fmac_f32_e32 v57, v9, v1
	ds_read2_b32 v[0:1], v10 offset0:64 offset1:80
	v_fmac_f32_e32 v56, v8, v5
	v_fmac_f32_e32 v21, v9, v5
	s_waitcnt lgkmcnt(0)
	v_fmac_f32_e32 v58, v0, v2
	v_fmac_f32_e32 v57, v1, v2
	;; [unrolled: 1-line block ×4, first 2 shown]
	ds_read2_b32 v[0:1], v10 offset0:96 offset1:112
	s_waitcnt lgkmcnt(0)
	v_fmac_f32_e32 v58, v0, v3
	v_fmac_f32_e32 v57, v1, v3
	;; [unrolled: 1-line block ×4, first 2 shown]
	ds_read_b128 v[0:3], v50 offset:80
	ds_read2_b32 v[8:9], v10 offset0:128 offset1:144
	ds_read_b128 v[4:7], v50 offset:2128
	s_waitcnt lgkmcnt(1)
	v_fmac_f32_e32 v58, v8, v0
	v_fmac_f32_e32 v57, v9, v0
	s_waitcnt lgkmcnt(0)
	v_fmac_f32_e32 v56, v8, v4
	v_fmac_f32_e32 v21, v9, v4
	ds_read2_b32 v[8:9], v10 offset0:160 offset1:176
	s_waitcnt lgkmcnt(0)
	v_fmac_f32_e32 v58, v8, v1
	v_fmac_f32_e32 v57, v9, v1
	ds_read2_b32 v[0:1], v10 offset0:192 offset1:208
	v_fmac_f32_e32 v56, v8, v5
	v_fmac_f32_e32 v21, v9, v5
	s_waitcnt lgkmcnt(0)
	v_fmac_f32_e32 v58, v0, v2
	v_fmac_f32_e32 v57, v1, v2
	;; [unrolled: 1-line block ×4, first 2 shown]
	ds_read2_b32 v[0:1], v10 offset0:224 offset1:240
	v_add_u32_e32 v10, 0xc00, v52
	ds_read2_b32 v[8:9], v10 offset1:16
	s_waitcnt lgkmcnt(1)
	v_fmac_f32_e32 v58, v0, v3
	v_fmac_f32_e32 v57, v1, v3
	v_fmac_f32_e32 v56, v0, v7
	v_fmac_f32_e32 v21, v1, v7
	ds_read_b128 v[0:3], v50 offset:96
	ds_read_b128 v[4:7], v50 offset:2144
	s_waitcnt lgkmcnt(1)
	v_fmac_f32_e32 v58, v8, v0
	v_fmac_f32_e32 v57, v9, v0
	s_waitcnt lgkmcnt(0)
	v_fmac_f32_e32 v56, v8, v4
	v_fmac_f32_e32 v21, v9, v4
	ds_read2_b32 v[8:9], v10 offset0:32 offset1:48
	s_waitcnt lgkmcnt(0)
	v_fmac_f32_e32 v58, v8, v1
	v_fmac_f32_e32 v57, v9, v1
	ds_read2_b32 v[0:1], v10 offset0:64 offset1:80
	v_fmac_f32_e32 v56, v8, v5
	v_fmac_f32_e32 v21, v9, v5
	s_waitcnt lgkmcnt(0)
	v_fmac_f32_e32 v58, v0, v2
	v_fmac_f32_e32 v57, v1, v2
	v_fmac_f32_e32 v56, v0, v6
	v_fmac_f32_e32 v21, v1, v6
	ds_read2_b32 v[0:1], v10 offset0:96 offset1:112
	s_waitcnt lgkmcnt(0)
	v_fmac_f32_e32 v58, v0, v3
	v_fmac_f32_e32 v57, v1, v3
	;; [unrolled: 1-line block ×4, first 2 shown]
	ds_read_b128 v[0:3], v50 offset:112
	ds_read2_b32 v[8:9], v10 offset0:128 offset1:144
	ds_read_b128 v[4:7], v50 offset:2160
	s_waitcnt lgkmcnt(1)
	v_fmac_f32_e32 v58, v8, v0
	v_fmac_f32_e32 v57, v9, v0
	s_waitcnt lgkmcnt(0)
	v_fmac_f32_e32 v56, v8, v4
	v_fmac_f32_e32 v21, v9, v4
	ds_read2_b32 v[8:9], v10 offset0:160 offset1:176
	s_waitcnt lgkmcnt(0)
	v_fmac_f32_e32 v58, v8, v1
	v_fmac_f32_e32 v57, v9, v1
	ds_read2_b32 v[0:1], v10 offset0:192 offset1:208
	v_fmac_f32_e32 v56, v8, v5
	v_fmac_f32_e32 v21, v9, v5
	s_waitcnt lgkmcnt(0)
	v_fmac_f32_e32 v58, v0, v2
	v_fmac_f32_e32 v57, v1, v2
	;; [unrolled: 1-line block ×4, first 2 shown]
	ds_read2_b32 v[0:1], v10 offset0:224 offset1:240
	s_waitcnt lgkmcnt(0)
	s_barrier
	v_fmac_f32_e32 v58, v0, v3
	v_fmac_f32_e32 v56, v0, v7
	v_mov_b32_e32 v0, s41
	v_addc_co_u32_e64 v49, s[10:11], v49, v0, s[10:11]
	v_add_co_u32_e64 v46, s[10:11], s34, v46
	v_mov_b32_e32 v0, s35
	v_addc_co_u32_e64 v47, s[10:11], v47, v0, s[10:11]
	v_add_co_u32_e64 v44, s[10:11], s34, v44
	v_fmac_f32_e32 v57, v1, v3
	v_fmac_f32_e32 v21, v1, v7
	v_addc_co_u32_e64 v45, s[10:11], v45, v0, s[10:11]
	s_cbranch_scc1 .LBB20_55
.LBB20_7:                               ;   Parent Loop BB20_4 Depth=1
                                        ; =>  This Inner Loop Header: Depth=2
	v_mov_b32_e32 v0, s21
	v_add_co_u32_e64 v2, s[10:11], s20, v14
	v_addc_co_u32_e64 v3, s[10:11], 0, v0, s[10:11]
	v_add_co_u32_e64 v0, s[10:11], v44, v36
	v_addc_co_u32_e64 v1, s[10:11], v45, v37, s[10:11]
	v_cmp_eq_u64_e64 s[10:11], s[20:21], v[34:35]
	s_and_b64 s[26:27], s[22:23], s[10:11]
	v_cmp_gt_i64_e64 s[10:11], v[2:3], v[32:33]
	s_or_b64 s[14:15], s[16:17], s[10:11]
	v_cmp_le_i64_e64 s[12:13], s[30:31], v[2:3]
	s_or_b64 s[14:15], s[14:15], s[26:27]
	s_or_b64 s[14:15], s[12:13], s[14:15]
	s_xor_b64 s[14:15], s[14:15], -1
	s_and_saveexec_b64 s[18:19], s[14:15]
	s_xor_b64 s[14:15], exec, s[18:19]
	s_cbranch_execz .LBB20_9
; %bb.8:                                ;   in Loop: Header=BB20_7 Depth=2
	global_load_dword v4, v[0:1], off
	s_waitcnt vmcnt(0)
	ds_write_b32 v51, v4
.LBB20_9:                               ;   in Loop: Header=BB20_7 Depth=2
	s_or_saveexec_b64 s[14:15], s[14:15]
	s_xor_b64 s[24:25], s[26:27], -1
	s_xor_b64 exec, exec, s[14:15]
	s_cbranch_execz .LBB20_15
; %bb.10:                               ;   in Loop: Header=BB20_7 Depth=2
	s_and_saveexec_b64 s[18:19], s[24:25]
	s_xor_b64 s[18:19], exec, s[18:19]
	s_cbranch_execz .LBB20_12
; %bb.11:                               ;   in Loop: Header=BB20_7 Depth=2
	ds_write_b32 v51, v15
.LBB20_12:                              ;   in Loop: Header=BB20_7 Depth=2
	s_andn2_saveexec_b64 s[18:19], s[18:19]
	s_cbranch_execz .LBB20_14
; %bb.13:                               ;   in Loop: Header=BB20_7 Depth=2
	ds_write_b32 v51, v31
.LBB20_14:                              ;   in Loop: Header=BB20_7 Depth=2
	s_or_b64 exec, exec, s[18:19]
.LBB20_15:                              ;   in Loop: Header=BB20_7 Depth=2
	s_or_b64 exec, exec, s[14:15]
	v_add_co_u32_e64 v4, s[14:15], 16, v2
	v_addc_co_u32_e64 v5, s[14:15], 0, v3, s[14:15]
	v_cmp_eq_u64_e64 s[14:15], s[20:21], v[42:43]
	v_cmp_gt_i64_e64 s[18:19], v[4:5], v[32:33]
	s_and_b64 s[28:29], s[22:23], s[14:15]
	s_or_b64 s[18:19], s[16:17], s[18:19]
	v_cmp_le_i64_e64 s[14:15], s[30:31], v[4:5]
	s_or_b64 s[18:19], s[18:19], s[28:29]
	s_or_b64 s[18:19], s[14:15], s[18:19]
	s_xor_b64 s[18:19], s[18:19], -1
	s_and_saveexec_b64 s[36:37], s[18:19]
	s_xor_b64 s[36:37], exec, s[36:37]
	s_cbranch_execz .LBB20_17
; %bb.16:                               ;   in Loop: Header=BB20_7 Depth=2
	v_add_co_u32_e64 v4, s[18:19], v46, v36
	v_addc_co_u32_e64 v5, s[18:19], v47, v37, s[18:19]
	global_load_dword v4, v[4:5], off
	s_waitcnt vmcnt(0)
	ds_write_b32 v51, v4 offset:64
.LBB20_17:                              ;   in Loop: Header=BB20_7 Depth=2
	s_andn2_saveexec_b64 s[18:19], s[36:37]
	s_cbranch_execz .LBB20_23
; %bb.18:                               ;   in Loop: Header=BB20_7 Depth=2
	s_xor_b64 s[28:29], s[28:29], -1
	s_and_saveexec_b64 s[36:37], s[28:29]
	s_xor_b64 s[28:29], exec, s[36:37]
	s_cbranch_execz .LBB20_20
; %bb.19:                               ;   in Loop: Header=BB20_7 Depth=2
	ds_write_b32 v51, v15 offset:64
.LBB20_20:                              ;   in Loop: Header=BB20_7 Depth=2
	s_andn2_saveexec_b64 s[28:29], s[28:29]
	s_cbranch_execz .LBB20_22
; %bb.21:                               ;   in Loop: Header=BB20_7 Depth=2
	ds_write_b32 v51, v31 offset:64
.LBB20_22:                              ;   in Loop: Header=BB20_7 Depth=2
	s_or_b64 exec, exec, s[28:29]
.LBB20_23:                              ;   in Loop: Header=BB20_7 Depth=2
	s_or_b64 exec, exec, s[18:19]
	v_cmp_eq_u64_e64 s[18:19], s[20:21], v[40:41]
	s_and_b64 s[28:29], s[22:23], s[18:19]
	v_cmp_gt_i64_e64 s[18:19], v[2:3], v[38:39]
	s_or_b64 s[18:19], s[8:9], s[18:19]
	s_or_b64 s[18:19], s[18:19], s[28:29]
	;; [unrolled: 1-line block ×3, first 2 shown]
	s_xor_b64 s[12:13], s[12:13], -1
	s_and_saveexec_b64 s[18:19], s[12:13]
	s_xor_b64 s[12:13], exec, s[18:19]
	s_cbranch_execz .LBB20_25
; %bb.24:                               ;   in Loop: Header=BB20_7 Depth=2
	global_load_dword v0, v[0:1], off offset:64
	s_waitcnt vmcnt(0)
	ds_write_b32 v51, v0 offset:2048
.LBB20_25:                              ;   in Loop: Header=BB20_7 Depth=2
	s_andn2_saveexec_b64 s[12:13], s[12:13]
	s_cbranch_execz .LBB20_31
; %bb.26:                               ;   in Loop: Header=BB20_7 Depth=2
	s_xor_b64 s[18:19], s[28:29], -1
	s_and_saveexec_b64 s[28:29], s[18:19]
	s_xor_b64 s[18:19], exec, s[28:29]
	s_cbranch_execz .LBB20_28
; %bb.27:                               ;   in Loop: Header=BB20_7 Depth=2
	ds_write_b32 v51, v15 offset:2048
.LBB20_28:                              ;   in Loop: Header=BB20_7 Depth=2
	s_andn2_saveexec_b64 s[18:19], s[18:19]
	s_cbranch_execz .LBB20_30
; %bb.29:                               ;   in Loop: Header=BB20_7 Depth=2
	ds_write_b32 v51, v31 offset:2048
.LBB20_30:                              ;   in Loop: Header=BB20_7 Depth=2
	s_or_b64 exec, exec, s[18:19]
.LBB20_31:                              ;   in Loop: Header=BB20_7 Depth=2
	s_or_b64 exec, exec, s[12:13]
	s_or_b64 s[10:11], s[8:9], s[10:11]
	s_or_b64 s[10:11], s[10:11], s[26:27]
	;; [unrolled: 1-line block ×3, first 2 shown]
	s_xor_b64 s[10:11], s[10:11], -1
	s_and_saveexec_b64 s[12:13], s[10:11]
	s_xor_b64 s[12:13], exec, s[12:13]
	s_cbranch_execz .LBB20_33
; %bb.32:                               ;   in Loop: Header=BB20_7 Depth=2
	v_add_co_u32_e64 v0, s[10:11], v46, v36
	v_addc_co_u32_e64 v1, s[10:11], v47, v37, s[10:11]
	global_load_dword v0, v[0:1], off offset:64
	s_waitcnt vmcnt(0)
	ds_write_b32 v51, v0 offset:2112
.LBB20_33:                              ;   in Loop: Header=BB20_7 Depth=2
	s_andn2_saveexec_b64 s[10:11], s[12:13]
	s_cbranch_execz .LBB20_39
; %bb.34:                               ;   in Loop: Header=BB20_7 Depth=2
	s_and_saveexec_b64 s[12:13], s[24:25]
	s_xor_b64 s[12:13], exec, s[12:13]
	s_cbranch_execz .LBB20_36
; %bb.35:                               ;   in Loop: Header=BB20_7 Depth=2
	ds_write_b32 v51, v15 offset:2112
.LBB20_36:                              ;   in Loop: Header=BB20_7 Depth=2
	s_andn2_saveexec_b64 s[12:13], s[12:13]
	s_cbranch_execz .LBB20_38
; %bb.37:                               ;   in Loop: Header=BB20_7 Depth=2
	ds_write_b32 v51, v31 offset:2112
.LBB20_38:                              ;   in Loop: Header=BB20_7 Depth=2
	s_or_b64 exec, exec, s[12:13]
.LBB20_39:                              ;   in Loop: Header=BB20_7 Depth=2
	s_or_b64 exec, exec, s[10:11]
	v_mov_b32_e32 v1, s21
	v_add_co_u32_e64 v0, s[10:11], s20, v12
	v_addc_co_u32_e64 v1, s[10:11], 0, v1, s[10:11]
	v_add_co_u32_e64 v2, s[10:11], v48, v22
	v_addc_co_u32_e64 v3, s[10:11], v49, v23, s[10:11]
	v_cmp_le_i64_e64 s[10:11], s[30:31], v[0:1]
	s_or_b64 s[12:13], s[10:11], vcc
	s_xor_b64 s[12:13], s[12:13], -1
	s_and_saveexec_b64 s[14:15], s[12:13]
	s_xor_b64 s[12:13], exec, s[14:15]
	s_cbranch_execz .LBB20_41
; %bb.40:                               ;   in Loop: Header=BB20_7 Depth=2
	global_load_dword v4, v[2:3], off offset:-64
	s_waitcnt vmcnt(0)
	ds_write_b32 v53, v4
.LBB20_41:                              ;   in Loop: Header=BB20_7 Depth=2
	s_andn2_saveexec_b64 s[12:13], s[12:13]
	s_cbranch_execz .LBB20_43
; %bb.42:                               ;   in Loop: Header=BB20_7 Depth=2
	ds_write_b32 v53, v15
.LBB20_43:                              ;   in Loop: Header=BB20_7 Depth=2
	s_or_b64 exec, exec, s[12:13]
	s_or_b64 s[10:11], s[10:11], s[0:1]
	s_xor_b64 s[10:11], s[10:11], -1
	s_and_saveexec_b64 s[12:13], s[10:11]
	s_xor_b64 s[10:11], exec, s[12:13]
	s_cbranch_execz .LBB20_45
; %bb.44:                               ;   in Loop: Header=BB20_7 Depth=2
	global_load_dword v2, v[2:3], off
	s_waitcnt vmcnt(0)
	ds_write_b32 v53, v2 offset:64
.LBB20_45:                              ;   in Loop: Header=BB20_7 Depth=2
	s_andn2_saveexec_b64 s[10:11], s[10:11]
	s_cbranch_execz .LBB20_47
; %bb.46:                               ;   in Loop: Header=BB20_7 Depth=2
	ds_write_b32 v53, v15 offset:64
.LBB20_47:                              ;   in Loop: Header=BB20_7 Depth=2
	s_or_b64 exec, exec, s[10:11]
	v_cmp_le_i64_e64 s[10:11], s[42:43], v[0:1]
	s_or_b64 s[12:13], s[10:11], vcc
	s_xor_b64 s[12:13], s[12:13], -1
	s_and_saveexec_b64 s[14:15], s[12:13]
	s_xor_b64 s[14:15], exec, s[14:15]
	s_cbranch_execz .LBB20_49
; %bb.48:                               ;   in Loop: Header=BB20_7 Depth=2
	v_add_co_u32_e64 v0, s[12:13], v48, v30
	v_addc_co_u32_e64 v1, s[12:13], v49, v13, s[12:13]
	global_load_dword v0, v[0:1], off offset:-64
	s_waitcnt vmcnt(0)
	ds_write_b32 v53, v0 offset:2048
.LBB20_49:                              ;   in Loop: Header=BB20_7 Depth=2
	s_andn2_saveexec_b64 s[12:13], s[14:15]
	s_cbranch_execz .LBB20_51
; %bb.50:                               ;   in Loop: Header=BB20_7 Depth=2
	ds_write_b32 v53, v15 offset:2048
.LBB20_51:                              ;   in Loop: Header=BB20_7 Depth=2
	s_or_b64 exec, exec, s[12:13]
	s_or_b64 s[10:11], s[10:11], s[0:1]
	s_xor_b64 s[10:11], s[10:11], -1
	s_and_saveexec_b64 s[12:13], s[10:11]
	s_xor_b64 s[12:13], exec, s[12:13]
	s_cbranch_execz .LBB20_53
; %bb.52:                               ;   in Loop: Header=BB20_7 Depth=2
	v_add_co_u32_e64 v0, s[10:11], v48, v30
	v_addc_co_u32_e64 v1, s[10:11], v49, v13, s[10:11]
	global_load_dword v0, v[0:1], off
	s_waitcnt vmcnt(0)
	ds_write_b32 v53, v0 offset:2112
.LBB20_53:                              ;   in Loop: Header=BB20_7 Depth=2
	s_andn2_saveexec_b64 s[10:11], s[12:13]
	s_cbranch_execz .LBB20_6
; %bb.54:                               ;   in Loop: Header=BB20_7 Depth=2
	ds_write_b32 v53, v15 offset:2112
	s_branch .LBB20_6
.LBB20_55:                              ;   in Loop: Header=BB20_4 Depth=1
	v_mul_lo_u32 v2, v33, s44
	v_mul_lo_u32 v3, v32, s45
	v_mad_u64_u32 v[0:1], s[10:11], v32, s44, 0
	v_add3_u32 v1, v1, v3, v2
	v_lshlrev_b64 v[0:1], 2, v[0:1]
	v_mov_b32_e32 v2, s47
	v_add_co_u32_e64 v0, s[10:11], s46, v0
	v_cmp_gt_i32_e64 s[8:9], s30, v32
	v_addc_co_u32_e64 v1, s[10:11], v2, v1, s[10:11]
	s_and_b64 s[10:11], s[2:3], s[8:9]
	s_and_saveexec_b64 s[12:13], s[10:11]
	s_cbranch_execz .LBB20_57
; %bb.56:                               ;   in Loop: Header=BB20_4 Depth=1
	v_add_co_u32_e64 v2, s[10:11], v0, v24
	v_addc_co_u32_e64 v3, s[10:11], v1, v25, s[10:11]
	global_load_dword v4, v[2:3], off
	s_waitcnt vmcnt(0)
	v_fmac_f32_e32 v4, s33, v58
	global_store_dword v[2:3], v4, off
.LBB20_57:                              ;   in Loop: Header=BB20_4 Depth=1
	s_or_b64 exec, exec, s[12:13]
	s_and_b64 s[8:9], s[4:5], s[8:9]
	s_and_saveexec_b64 s[10:11], s[8:9]
	s_cbranch_execz .LBB20_59
; %bb.58:                               ;   in Loop: Header=BB20_4 Depth=1
	v_lshlrev_b64 v[2:3], 2, v[18:19]
	v_add_co_u32_e64 v0, s[8:9], v0, v2
	v_addc_co_u32_e64 v1, s[8:9], v1, v3, s[8:9]
	global_load_dword v2, v[0:1], off
	s_waitcnt vmcnt(0)
	v_fmac_f32_e32 v2, s33, v57
	global_store_dword v[0:1], v2, off
.LBB20_59:                              ;   in Loop: Header=BB20_4 Depth=1
	s_or_b64 exec, exec, s[10:11]
	v_add_u32_e32 v0, 16, v32
	v_ashrrev_i32_e32 v1, 31, v0
	v_cmp_gt_i32_e64 s[8:9], s30, v0
	v_mul_lo_u32 v2, v1, s44
	v_mul_lo_u32 v3, v0, s45
	v_mad_u64_u32 v[0:1], s[10:11], v0, s44, 0
	v_add3_u32 v1, v1, v3, v2
	v_lshlrev_b64 v[0:1], 2, v[0:1]
	v_mov_b32_e32 v2, s47
	v_add_co_u32_e64 v0, s[10:11], s46, v0
	v_addc_co_u32_e64 v1, s[10:11], v2, v1, s[10:11]
	s_and_b64 s[10:11], s[2:3], s[8:9]
	s_and_saveexec_b64 s[12:13], s[10:11]
	s_cbranch_execz .LBB20_61
; %bb.60:                               ;   in Loop: Header=BB20_4 Depth=1
	v_add_co_u32_e64 v2, s[10:11], v0, v24
	v_addc_co_u32_e64 v3, s[10:11], v1, v25, s[10:11]
	global_load_dword v4, v[2:3], off
	s_waitcnt vmcnt(0)
	v_fmac_f32_e32 v4, s33, v56
	global_store_dword v[2:3], v4, off
.LBB20_61:                              ;   in Loop: Header=BB20_4 Depth=1
	s_or_b64 exec, exec, s[12:13]
	s_and_b64 s[8:9], s[4:5], s[8:9]
	s_and_saveexec_b64 s[10:11], s[8:9]
	s_cbranch_execz .LBB20_3
; %bb.62:                               ;   in Loop: Header=BB20_4 Depth=1
	v_lshlrev_b64 v[2:3], 2, v[18:19]
	v_add_co_u32_e64 v0, s[8:9], v0, v2
	v_addc_co_u32_e64 v1, s[8:9], v1, v3, s[8:9]
	global_load_dword v2, v[0:1], off
	s_waitcnt vmcnt(0)
	v_fmac_f32_e32 v2, s33, v21
	global_store_dword v[0:1], v2, off
	s_branch .LBB20_3
.LBB20_63:
	s_endpgm
	.section	.rodata,"a",@progbits
	.p2align	6, 0x0
	.amdhsa_kernel _ZL30rocblas_trmm_outofplace_kernelIfLi32ELi2ELb0ELb0ELb1ELb1EPKfS0_fEv17rocblas_diagonal_iiT6_lPT7_lllS5_lllPT8_llli
		.amdhsa_group_segment_fixed_size 8192
		.amdhsa_private_segment_fixed_size 0
		.amdhsa_kernarg_size 392
		.amdhsa_user_sgpr_count 6
		.amdhsa_user_sgpr_private_segment_buffer 1
		.amdhsa_user_sgpr_dispatch_ptr 0
		.amdhsa_user_sgpr_queue_ptr 0
		.amdhsa_user_sgpr_kernarg_segment_ptr 1
		.amdhsa_user_sgpr_dispatch_id 0
		.amdhsa_user_sgpr_flat_scratch_init 0
		.amdhsa_user_sgpr_kernarg_preload_length 0
		.amdhsa_user_sgpr_kernarg_preload_offset 0
		.amdhsa_user_sgpr_private_segment_size 0
		.amdhsa_uses_dynamic_stack 0
		.amdhsa_system_sgpr_private_segment_wavefront_offset 0
		.amdhsa_system_sgpr_workgroup_id_x 1
		.amdhsa_system_sgpr_workgroup_id_y 1
		.amdhsa_system_sgpr_workgroup_id_z 1
		.amdhsa_system_sgpr_workgroup_info 0
		.amdhsa_system_vgpr_workitem_id 1
		.amdhsa_next_free_vgpr 70
		.amdhsa_next_free_sgpr 50
		.amdhsa_accum_offset 72
		.amdhsa_reserve_vcc 1
		.amdhsa_reserve_flat_scratch 0
		.amdhsa_float_round_mode_32 0
		.amdhsa_float_round_mode_16_64 0
		.amdhsa_float_denorm_mode_32 3
		.amdhsa_float_denorm_mode_16_64 3
		.amdhsa_dx10_clamp 1
		.amdhsa_ieee_mode 1
		.amdhsa_fp16_overflow 0
		.amdhsa_tg_split 0
		.amdhsa_exception_fp_ieee_invalid_op 0
		.amdhsa_exception_fp_denorm_src 0
		.amdhsa_exception_fp_ieee_div_zero 0
		.amdhsa_exception_fp_ieee_overflow 0
		.amdhsa_exception_fp_ieee_underflow 0
		.amdhsa_exception_fp_ieee_inexact 0
		.amdhsa_exception_int_div_zero 0
	.end_amdhsa_kernel
	.section	.text._ZL30rocblas_trmm_outofplace_kernelIfLi32ELi2ELb0ELb0ELb1ELb1EPKfS0_fEv17rocblas_diagonal_iiT6_lPT7_lllS5_lllPT8_llli,"axG",@progbits,_ZL30rocblas_trmm_outofplace_kernelIfLi32ELi2ELb0ELb0ELb1ELb1EPKfS0_fEv17rocblas_diagonal_iiT6_lPT7_lllS5_lllPT8_llli,comdat
.Lfunc_end20:
	.size	_ZL30rocblas_trmm_outofplace_kernelIfLi32ELi2ELb0ELb0ELb1ELb1EPKfS0_fEv17rocblas_diagonal_iiT6_lPT7_lllS5_lllPT8_llli, .Lfunc_end20-_ZL30rocblas_trmm_outofplace_kernelIfLi32ELi2ELb0ELb0ELb1ELb1EPKfS0_fEv17rocblas_diagonal_iiT6_lPT7_lllS5_lllPT8_llli
                                        ; -- End function
	.section	.AMDGPU.csdata,"",@progbits
; Kernel info:
; codeLenInByte = 3276
; NumSgprs: 54
; NumVgprs: 70
; NumAgprs: 0
; TotalNumVgprs: 70
; ScratchSize: 0
; MemoryBound: 0
; FloatMode: 240
; IeeeMode: 1
; LDSByteSize: 8192 bytes/workgroup (compile time only)
; SGPRBlocks: 6
; VGPRBlocks: 8
; NumSGPRsForWavesPerEU: 54
; NumVGPRsForWavesPerEU: 70
; AccumOffset: 72
; Occupancy: 7
; WaveLimiterHint : 0
; COMPUTE_PGM_RSRC2:SCRATCH_EN: 0
; COMPUTE_PGM_RSRC2:USER_SGPR: 6
; COMPUTE_PGM_RSRC2:TRAP_HANDLER: 0
; COMPUTE_PGM_RSRC2:TGID_X_EN: 1
; COMPUTE_PGM_RSRC2:TGID_Y_EN: 1
; COMPUTE_PGM_RSRC2:TGID_Z_EN: 1
; COMPUTE_PGM_RSRC2:TIDIG_COMP_CNT: 1
; COMPUTE_PGM_RSRC3_GFX90A:ACCUM_OFFSET: 17
; COMPUTE_PGM_RSRC3_GFX90A:TG_SPLIT: 0
	.section	.text._ZL30rocblas_trmm_outofplace_kernelIfLi32ELi2ELb0ELb0ELb1ELb1EfKffEv17rocblas_diagonal_iiT6_lPT7_lllS4_lllPT8_llli,"axG",@progbits,_ZL30rocblas_trmm_outofplace_kernelIfLi32ELi2ELb0ELb0ELb1ELb1EfKffEv17rocblas_diagonal_iiT6_lPT7_lllS4_lllPT8_llli,comdat
	.globl	_ZL30rocblas_trmm_outofplace_kernelIfLi32ELi2ELb0ELb0ELb1ELb1EfKffEv17rocblas_diagonal_iiT6_lPT7_lllS4_lllPT8_llli ; -- Begin function _ZL30rocblas_trmm_outofplace_kernelIfLi32ELi2ELb0ELb0ELb1ELb1EfKffEv17rocblas_diagonal_iiT6_lPT7_lllS4_lllPT8_llli
	.p2align	8
	.type	_ZL30rocblas_trmm_outofplace_kernelIfLi32ELi2ELb0ELb0ELb1ELb1EfKffEv17rocblas_diagonal_iiT6_lPT7_lllS4_lllPT8_llli,@function
_ZL30rocblas_trmm_outofplace_kernelIfLi32ELi2ELb0ELb0ELb1ELb1EfKffEv17rocblas_diagonal_iiT6_lPT7_lllS4_lllPT8_llli: ; @_ZL30rocblas_trmm_outofplace_kernelIfLi32ELi2ELb0ELb0ELb1ELb1EfKffEv17rocblas_diagonal_iiT6_lPT7_lllS4_lllPT8_llli
; %bb.0:
	s_load_dwordx4 s[28:31], s[4:5], 0x0
	s_waitcnt lgkmcnt(0)
	v_cmp_eq_f32_e64 s[0:1], s31, 0
	s_and_b64 vcc, exec, s[0:1]
	s_cbranch_vccnz .LBB21_63
; %bb.1:
	s_add_i32 s0, s30, -1
	s_ashr_i32 s1, s0, 31
	s_lshr_b32 s1, s1, 27
	s_add_i32 s0, s0, s1
	s_ashr_i32 s33, s0, 5
	s_cmp_gt_i32 s7, s33
	s_cbranch_scc1 .LBB21_63
; %bb.2:
	s_load_dwordx16 s[12:27], s[4:5], 0x18
	s_load_dwordx8 s[36:43], s[4:5], 0x58
	v_and_b32_e32 v14, 0x3ff, v0
	v_bfe_u32 v12, v0, 10, 10
	v_lshl_add_u32 v0, s6, 5, v14
	s_waitcnt lgkmcnt(0)
	s_mul_i32 s1, s8, s19
	s_mul_hi_u32 s2, s8, s18
	s_mul_i32 s0, s8, s18
	s_add_i32 s1, s2, s1
	s_lshl_b64 s[18:19], s[0:1], 2
	s_add_u32 s0, s12, s18
	s_addc_u32 s1, s13, s19
	s_lshl_b64 s[14:15], s[14:15], 2
	s_add_u32 s2, s0, s14
	s_addc_u32 s3, s1, s15
	s_mul_i32 s0, s8, s43
	s_mul_hi_u32 s1, s8, s42
	s_add_i32 s1, s1, s0
	s_mul_i32 s0, s8, s42
	s_lshl_b64 s[0:1], s[0:1], 2
	s_add_u32 s9, s36, s0
	s_addc_u32 s10, s37, s1
	s_lshl_b64 s[0:1], s[38:39], 2
	s_add_u32 s46, s9, s0
	s_addc_u32 s47, s10, s1
	v_mad_u64_u32 v[2:3], s[0:1], v14, s16, 0
	v_mov_b32_e32 v4, v3
	v_mad_u64_u32 v[4:5], s[0:1], v14, s17, v[4:5]
	v_mov_b32_e32 v3, v4
	v_lshlrev_b64 v[2:3], 2, v[2:3]
	v_mov_b32_e32 v4, s3
	v_add_co_u32_e32 v16, vcc, s2, v2
	s_cmpk_eq_i32 s28, 0x84
	v_addc_co_u32_e32 v17, vcc, v4, v3, vcc
	s_cselect_b64 s[34:35], -1, 0
	s_ashr_i32 s0, s29, 31
	v_ashrrev_i32_e32 v1, 31, v0
	v_mov_b32_e32 v3, s0
	v_sub_co_u32_e32 v2, vcc, s29, v0
	v_subb_co_u32_e32 v3, vcc, v3, v1, vcc
	v_sub_co_u32_e64 v54, s[10:11], 0, v14
	s_load_dword s6, s[4:5], 0x84
	v_cmp_gt_i64_e32 vcc, 1, v[2:3]
	v_cmp_gt_i64_e64 s[0:1], 17, v[2:3]
	v_subb_co_u32_e64 v55, s[10:11], 0, 0, s[10:11]
	v_mad_u64_u32 v[2:3], s[10:11], s24, v12, 0
	v_mov_b32_e32 v4, v3
	s_ashr_i32 s37, s30, 31
	s_lshl_b64 s[38:39], s[16:17], 7
	s_lshl_b64 s[42:43], s[24:25], 7
	v_mad_u64_u32 v[4:5], s[10:11], s25, v12, v[4:5]
	s_add_u32 s44, s30, -16
	s_mul_i32 s9, s27, s8
	s_mul_hi_u32 s10, s26, s8
	s_addc_u32 s45, s37, -1
	s_add_i32 s9, s10, s9
	s_mul_i32 s8, s26, s8
	s_waitcnt lgkmcnt(0)
	s_lshl_b32 s48, s6, 5
	s_lshl_b64 s[8:9], s[8:9], 2
	s_lshl_b64 s[10:11], s[22:23], 2
	s_add_u32 s8, s8, s10
	s_addc_u32 s9, s9, s11
	s_add_u32 s8, s20, s8
	v_lshlrev_b64 v[24:25], 2, v[0:1]
	s_addc_u32 s9, s21, s9
	v_cmp_gt_i32_e64 s[2:3], s29, v0
	v_add_u32_e32 v18, 16, v0
	v_mov_b32_e32 v0, s9
	v_add_co_u32_e64 v1, s[8:9], s8, v24
	v_addc_co_u32_e64 v0, s[8:9], v0, v25, s[8:9]
	v_add_co_u32_e64 v26, s[8:9], 64, v1
	v_addc_co_u32_e64 v27, s[8:9], 0, v0, s[8:9]
	s_add_u32 s8, s12, s14
	s_addc_u32 s9, s13, s15
	s_add_u32 s8, s8, s18
	v_lshlrev_b32_e32 v6, 2, v14
	v_mov_b32_e32 v3, v4
	s_addc_u32 s9, s9, s19
	v_lshlrev_b64 v[22:23], 2, v[2:3]
	v_add_u32_e32 v2, 64, v6
	v_pk_mov_b32 v[0:1], s[8:9], s[8:9] op_sel:[0,1]
	v_mad_u64_u32 v[28:29], s[8:9], s16, v2, v[0:1]
	v_mov_b32_e32 v0, v29
	v_mad_u64_u32 v[0:1], s[8:9], s17, v2, v[0:1]
	v_lshl_add_u32 v1, v12, 2, 64
	v_mad_u64_u32 v[30:31], s[8:9], s24, v1, 0
	v_mov_b32_e32 v29, v0
	v_mov_b32_e32 v0, v31
	v_lshlrev_b32_e32 v50, 7, v12
	v_or_b32_e32 v52, 0x1000, v6
	v_mad_u64_u32 v[0:1], s[8:9], s25, v1, v[0:1]
	v_mov_b32_e32 v15, 0
	s_mov_b32 s36, s30
	v_add_u32_e32 v51, v50, v6
	v_add_u32_e32 v53, v52, v50
	v_cmp_gt_i32_e64 s[4:5], s29, v18
	v_ashrrev_i32_e32 v19, 31, v18
	v_lshl_add_u32 v20, s7, 5, v12
	v_mov_b32_e32 v13, v0
	v_mov_b32_e32 v31, 1.0
	s_branch .LBB21_4
.LBB21_3:                               ;   in Loop: Header=BB21_4 Depth=1
	s_or_b64 exec, exec, s[10:11]
	s_add_i32 s7, s6, s7
	s_cmp_le_i32 s7, s33
	v_add_u32_e32 v20, s48, v20
	s_cbranch_scc0 .LBB21_63
.LBB21_4:                               ; =>This Loop Header: Depth=1
                                        ;     Child Loop BB21_7 Depth 2
	s_lshl_b32 s49, s7, 5
	v_add_u32_e32 v32, s49, v12
	v_ashrrev_i32_e32 v33, 31, v32
	s_cmp_lt_i32 s7, 0
	v_mov_b32_e32 v58, 0
	v_mov_b32_e32 v57, 0
	;; [unrolled: 1-line block ×4, first 2 shown]
	s_cbranch_scc1 .LBB21_55
; %bb.5:                                ;   in Loop: Header=BB21_4 Depth=1
	v_ashrrev_i32_e32 v21, 31, v20
	v_add_co_u32_e64 v34, s[8:9], v54, v20
	v_addc_co_u32_e64 v35, s[8:9], v55, v21, s[8:9]
	v_add_co_u32_e64 v40, s[10:11], 16, v34
	v_add_co_u32_e64 v38, s[8:9], 16, v32
	v_addc_co_u32_e64 v41, s[10:11], 0, v35, s[10:11]
	v_addc_co_u32_e64 v39, s[8:9], 0, v33, s[8:9]
	v_add_co_u32_e64 v42, s[10:11], -16, v34
	v_lshlrev_b64 v[36:37], 2, v[20:21]
	v_cmp_le_i32_e64 s[16:17], s30, v32
	v_cmp_le_i64_e64 s[8:9], s[36:37], v[38:39]
	v_addc_co_u32_e64 v43, s[10:11], -1, v35, s[10:11]
	s_mov_b64 s[20:21], 0
	v_mov_b32_e32 v21, 0
	v_pk_mov_b32 v[44:45], v[16:17], v[16:17] op_sel:[0,1]
	v_pk_mov_b32 v[46:47], v[28:29], v[28:29] op_sel:[0,1]
	;; [unrolled: 1-line block ×3, first 2 shown]
	v_mov_b32_e32 v56, 0
	v_mov_b32_e32 v57, 0
	;; [unrolled: 1-line block ×3, first 2 shown]
	s_branch .LBB21_7
.LBB21_6:                               ;   in Loop: Header=BB21_7 Depth=2
	s_or_b64 exec, exec, s[10:11]
	s_waitcnt lgkmcnt(0)
	s_barrier
	ds_read_b128 v[60:63], v50
	ds_read_b128 v[8:11], v50 offset:16
	ds_read_b128 v[4:7], v50 offset:32
	;; [unrolled: 1-line block ×3, first 2 shown]
	ds_read2_b32 v[68:69], v52 offset1:16
	ds_read_b128 v[64:67], v50 offset:2048
	v_add_u32_e32 v59, 0x400, v52
	v_add_co_u32_e64 v48, s[10:11], s42, v48
	s_waitcnt lgkmcnt(1)
	v_fmac_f32_e32 v58, v68, v60
	v_fmac_f32_e32 v57, v69, v60
	s_waitcnt lgkmcnt(0)
	v_fmac_f32_e32 v56, v68, v64
	v_fmac_f32_e32 v21, v69, v64
	ds_read2_b32 v[68:69], v52 offset0:32 offset1:48
	s_add_u32 s20, s20, 32
	s_addc_u32 s21, s21, 0
	s_sub_i32 s12, s20, 32
	s_cmp_ge_i32 s12, s49
	s_waitcnt lgkmcnt(0)
	v_fmac_f32_e32 v58, v68, v61
	v_fmac_f32_e32 v57, v69, v61
	ds_read2_b32 v[60:61], v52 offset0:64 offset1:80
	v_fmac_f32_e32 v56, v68, v65
	v_fmac_f32_e32 v21, v69, v65
	ds_read2_b32 v[64:65], v52 offset0:128 offset1:144
	s_waitcnt lgkmcnt(1)
	v_fmac_f32_e32 v58, v60, v62
	v_fmac_f32_e32 v57, v61, v62
	;; [unrolled: 1-line block ×4, first 2 shown]
	ds_read2_b32 v[60:61], v52 offset0:96 offset1:112
	s_waitcnt lgkmcnt(0)
	v_fmac_f32_e32 v58, v60, v63
	v_fmac_f32_e32 v57, v61, v63
	;; [unrolled: 1-line block ×4, first 2 shown]
	ds_read_b128 v[60:63], v50 offset:2064
	v_fmac_f32_e32 v58, v64, v8
	v_fmac_f32_e32 v57, v65, v8
	s_waitcnt lgkmcnt(0)
	v_fmac_f32_e32 v56, v64, v60
	v_fmac_f32_e32 v21, v65, v60
	ds_read2_b32 v[64:65], v52 offset0:160 offset1:176
	s_waitcnt lgkmcnt(0)
	v_fmac_f32_e32 v58, v64, v9
	v_fmac_f32_e32 v57, v65, v9
	ds_read2_b32 v[8:9], v52 offset0:192 offset1:208
	v_fmac_f32_e32 v56, v64, v61
	v_fmac_f32_e32 v21, v65, v61
	ds_read2_b32 v[60:61], v59 offset1:16
	s_waitcnt lgkmcnt(1)
	v_fmac_f32_e32 v58, v8, v10
	v_fmac_f32_e32 v57, v9, v10
	;; [unrolled: 1-line block ×4, first 2 shown]
	ds_read2_b32 v[8:9], v52 offset0:224 offset1:240
	s_waitcnt lgkmcnt(0)
	v_fmac_f32_e32 v58, v8, v11
	v_fmac_f32_e32 v57, v9, v11
	;; [unrolled: 1-line block ×4, first 2 shown]
	ds_read_b128 v[8:11], v50 offset:2080
	v_fmac_f32_e32 v58, v60, v4
	v_fmac_f32_e32 v57, v61, v4
	s_waitcnt lgkmcnt(0)
	v_fmac_f32_e32 v56, v60, v8
	v_fmac_f32_e32 v21, v61, v8
	ds_read2_b32 v[60:61], v59 offset0:32 offset1:48
	s_waitcnt lgkmcnt(0)
	v_fmac_f32_e32 v58, v60, v5
	v_fmac_f32_e32 v57, v61, v5
	ds_read2_b32 v[4:5], v59 offset0:64 offset1:80
	v_fmac_f32_e32 v56, v60, v9
	v_fmac_f32_e32 v21, v61, v9
	ds_read2_b32 v[8:9], v59 offset0:128 offset1:144
	s_waitcnt lgkmcnt(1)
	v_fmac_f32_e32 v58, v4, v6
	v_fmac_f32_e32 v57, v5, v6
	;; [unrolled: 1-line block ×4, first 2 shown]
	ds_read2_b32 v[4:5], v59 offset0:96 offset1:112
	v_add_u32_e32 v10, 0x800, v52
	s_waitcnt lgkmcnt(0)
	v_fmac_f32_e32 v58, v4, v7
	v_fmac_f32_e32 v57, v5, v7
	;; [unrolled: 1-line block ×4, first 2 shown]
	ds_read_b128 v[4:7], v50 offset:2096
	v_fmac_f32_e32 v58, v8, v0
	v_fmac_f32_e32 v57, v9, v0
	s_waitcnt lgkmcnt(0)
	v_fmac_f32_e32 v56, v8, v4
	v_fmac_f32_e32 v21, v9, v4
	ds_read2_b32 v[8:9], v59 offset0:160 offset1:176
	s_waitcnt lgkmcnt(0)
	v_fmac_f32_e32 v58, v8, v1
	v_fmac_f32_e32 v57, v9, v1
	ds_read2_b32 v[0:1], v59 offset0:192 offset1:208
	v_fmac_f32_e32 v56, v8, v5
	v_fmac_f32_e32 v21, v9, v5
	ds_read2_b32 v[8:9], v10 offset1:16
	s_waitcnt lgkmcnt(1)
	v_fmac_f32_e32 v58, v0, v2
	v_fmac_f32_e32 v57, v1, v2
	;; [unrolled: 1-line block ×4, first 2 shown]
	ds_read2_b32 v[0:1], v59 offset0:224 offset1:240
	s_waitcnt lgkmcnt(0)
	v_fmac_f32_e32 v58, v0, v3
	v_fmac_f32_e32 v57, v1, v3
	;; [unrolled: 1-line block ×4, first 2 shown]
	ds_read_b128 v[0:3], v50 offset:64
	ds_read_b128 v[4:7], v50 offset:2112
	s_waitcnt lgkmcnt(1)
	v_fmac_f32_e32 v58, v8, v0
	v_fmac_f32_e32 v57, v9, v0
	s_waitcnt lgkmcnt(0)
	v_fmac_f32_e32 v56, v8, v4
	v_fmac_f32_e32 v21, v9, v4
	ds_read2_b32 v[8:9], v10 offset0:32 offset1:48
	s_waitcnt lgkmcnt(0)
	v_fmac_f32_e32 v58, v8, v1
	v_fmac_f32_e32 v57, v9, v1
	ds_read2_b32 v[0:1], v10 offset0:64 offset1:80
	v_fmac_f32_e32 v56, v8, v5
	v_fmac_f32_e32 v21, v9, v5
	s_waitcnt lgkmcnt(0)
	v_fmac_f32_e32 v58, v0, v2
	v_fmac_f32_e32 v57, v1, v2
	;; [unrolled: 1-line block ×4, first 2 shown]
	ds_read2_b32 v[0:1], v10 offset0:96 offset1:112
	s_waitcnt lgkmcnt(0)
	v_fmac_f32_e32 v58, v0, v3
	v_fmac_f32_e32 v57, v1, v3
	;; [unrolled: 1-line block ×4, first 2 shown]
	ds_read_b128 v[0:3], v50 offset:80
	ds_read2_b32 v[8:9], v10 offset0:128 offset1:144
	ds_read_b128 v[4:7], v50 offset:2128
	s_waitcnt lgkmcnt(1)
	v_fmac_f32_e32 v58, v8, v0
	v_fmac_f32_e32 v57, v9, v0
	s_waitcnt lgkmcnt(0)
	v_fmac_f32_e32 v56, v8, v4
	v_fmac_f32_e32 v21, v9, v4
	ds_read2_b32 v[8:9], v10 offset0:160 offset1:176
	s_waitcnt lgkmcnt(0)
	v_fmac_f32_e32 v58, v8, v1
	v_fmac_f32_e32 v57, v9, v1
	ds_read2_b32 v[0:1], v10 offset0:192 offset1:208
	v_fmac_f32_e32 v56, v8, v5
	v_fmac_f32_e32 v21, v9, v5
	s_waitcnt lgkmcnt(0)
	v_fmac_f32_e32 v58, v0, v2
	v_fmac_f32_e32 v57, v1, v2
	;; [unrolled: 1-line block ×4, first 2 shown]
	ds_read2_b32 v[0:1], v10 offset0:224 offset1:240
	v_add_u32_e32 v10, 0xc00, v52
	ds_read2_b32 v[8:9], v10 offset1:16
	s_waitcnt lgkmcnt(1)
	v_fmac_f32_e32 v58, v0, v3
	v_fmac_f32_e32 v57, v1, v3
	;; [unrolled: 1-line block ×4, first 2 shown]
	ds_read_b128 v[0:3], v50 offset:96
	ds_read_b128 v[4:7], v50 offset:2144
	s_waitcnt lgkmcnt(1)
	v_fmac_f32_e32 v58, v8, v0
	v_fmac_f32_e32 v57, v9, v0
	s_waitcnt lgkmcnt(0)
	v_fmac_f32_e32 v56, v8, v4
	v_fmac_f32_e32 v21, v9, v4
	ds_read2_b32 v[8:9], v10 offset0:32 offset1:48
	s_waitcnt lgkmcnt(0)
	v_fmac_f32_e32 v58, v8, v1
	v_fmac_f32_e32 v57, v9, v1
	ds_read2_b32 v[0:1], v10 offset0:64 offset1:80
	v_fmac_f32_e32 v56, v8, v5
	v_fmac_f32_e32 v21, v9, v5
	s_waitcnt lgkmcnt(0)
	v_fmac_f32_e32 v58, v0, v2
	v_fmac_f32_e32 v57, v1, v2
	;; [unrolled: 1-line block ×4, first 2 shown]
	ds_read2_b32 v[0:1], v10 offset0:96 offset1:112
	s_waitcnt lgkmcnt(0)
	v_fmac_f32_e32 v58, v0, v3
	v_fmac_f32_e32 v57, v1, v3
	;; [unrolled: 1-line block ×4, first 2 shown]
	ds_read_b128 v[0:3], v50 offset:112
	ds_read2_b32 v[8:9], v10 offset0:128 offset1:144
	ds_read_b128 v[4:7], v50 offset:2160
	s_waitcnt lgkmcnt(1)
	v_fmac_f32_e32 v58, v8, v0
	v_fmac_f32_e32 v57, v9, v0
	s_waitcnt lgkmcnt(0)
	v_fmac_f32_e32 v56, v8, v4
	v_fmac_f32_e32 v21, v9, v4
	ds_read2_b32 v[8:9], v10 offset0:160 offset1:176
	s_waitcnt lgkmcnt(0)
	v_fmac_f32_e32 v58, v8, v1
	v_fmac_f32_e32 v57, v9, v1
	ds_read2_b32 v[0:1], v10 offset0:192 offset1:208
	v_fmac_f32_e32 v56, v8, v5
	v_fmac_f32_e32 v21, v9, v5
	s_waitcnt lgkmcnt(0)
	v_fmac_f32_e32 v58, v0, v2
	v_fmac_f32_e32 v57, v1, v2
	;; [unrolled: 1-line block ×4, first 2 shown]
	ds_read2_b32 v[0:1], v10 offset0:224 offset1:240
	s_waitcnt lgkmcnt(0)
	s_barrier
	v_fmac_f32_e32 v58, v0, v3
	v_fmac_f32_e32 v56, v0, v7
	v_mov_b32_e32 v0, s43
	v_addc_co_u32_e64 v49, s[10:11], v49, v0, s[10:11]
	v_add_co_u32_e64 v46, s[10:11], s38, v46
	v_mov_b32_e32 v0, s39
	v_addc_co_u32_e64 v47, s[10:11], v47, v0, s[10:11]
	v_add_co_u32_e64 v44, s[10:11], s38, v44
	v_fmac_f32_e32 v57, v1, v3
	v_fmac_f32_e32 v21, v1, v7
	v_addc_co_u32_e64 v45, s[10:11], v45, v0, s[10:11]
	s_cbranch_scc1 .LBB21_55
.LBB21_7:                               ;   Parent Loop BB21_4 Depth=1
                                        ; =>  This Inner Loop Header: Depth=2
	v_mov_b32_e32 v0, s21
	v_add_co_u32_e64 v2, s[10:11], s20, v14
	v_addc_co_u32_e64 v3, s[10:11], 0, v0, s[10:11]
	v_add_co_u32_e64 v0, s[10:11], v44, v36
	v_addc_co_u32_e64 v1, s[10:11], v45, v37, s[10:11]
	v_cmp_eq_u64_e64 s[10:11], s[20:21], v[34:35]
	s_and_b64 s[24:25], s[34:35], s[10:11]
	v_cmp_gt_i64_e64 s[10:11], v[2:3], v[32:33]
	s_or_b64 s[14:15], s[16:17], s[10:11]
	v_cmp_le_i64_e64 s[12:13], s[36:37], v[2:3]
	s_or_b64 s[14:15], s[14:15], s[24:25]
	s_or_b64 s[14:15], s[12:13], s[14:15]
	s_xor_b64 s[14:15], s[14:15], -1
	s_and_saveexec_b64 s[18:19], s[14:15]
	s_xor_b64 s[14:15], exec, s[18:19]
	s_cbranch_execz .LBB21_9
; %bb.8:                                ;   in Loop: Header=BB21_7 Depth=2
	global_load_dword v4, v[0:1], off
	s_waitcnt vmcnt(0)
	ds_write_b32 v51, v4
.LBB21_9:                               ;   in Loop: Header=BB21_7 Depth=2
	s_or_saveexec_b64 s[14:15], s[14:15]
	s_xor_b64 s[22:23], s[24:25], -1
	s_xor_b64 exec, exec, s[14:15]
	s_cbranch_execz .LBB21_15
; %bb.10:                               ;   in Loop: Header=BB21_7 Depth=2
	s_and_saveexec_b64 s[18:19], s[22:23]
	s_xor_b64 s[18:19], exec, s[18:19]
	s_cbranch_execz .LBB21_12
; %bb.11:                               ;   in Loop: Header=BB21_7 Depth=2
	ds_write_b32 v51, v15
.LBB21_12:                              ;   in Loop: Header=BB21_7 Depth=2
	s_andn2_saveexec_b64 s[18:19], s[18:19]
	s_cbranch_execz .LBB21_14
; %bb.13:                               ;   in Loop: Header=BB21_7 Depth=2
	ds_write_b32 v51, v31
.LBB21_14:                              ;   in Loop: Header=BB21_7 Depth=2
	s_or_b64 exec, exec, s[18:19]
.LBB21_15:                              ;   in Loop: Header=BB21_7 Depth=2
	s_or_b64 exec, exec, s[14:15]
	v_add_co_u32_e64 v4, s[14:15], 16, v2
	v_addc_co_u32_e64 v5, s[14:15], 0, v3, s[14:15]
	v_cmp_eq_u64_e64 s[14:15], s[20:21], v[42:43]
	v_cmp_gt_i64_e64 s[18:19], v[4:5], v[32:33]
	s_and_b64 s[26:27], s[34:35], s[14:15]
	s_or_b64 s[18:19], s[16:17], s[18:19]
	v_cmp_le_i64_e64 s[14:15], s[36:37], v[4:5]
	s_or_b64 s[18:19], s[18:19], s[26:27]
	s_or_b64 s[18:19], s[14:15], s[18:19]
	s_xor_b64 s[18:19], s[18:19], -1
	s_and_saveexec_b64 s[28:29], s[18:19]
	s_xor_b64 s[28:29], exec, s[28:29]
	s_cbranch_execz .LBB21_17
; %bb.16:                               ;   in Loop: Header=BB21_7 Depth=2
	v_add_co_u32_e64 v4, s[18:19], v46, v36
	v_addc_co_u32_e64 v5, s[18:19], v47, v37, s[18:19]
	global_load_dword v4, v[4:5], off
	s_waitcnt vmcnt(0)
	ds_write_b32 v51, v4 offset:64
.LBB21_17:                              ;   in Loop: Header=BB21_7 Depth=2
	s_andn2_saveexec_b64 s[18:19], s[28:29]
	s_cbranch_execz .LBB21_23
; %bb.18:                               ;   in Loop: Header=BB21_7 Depth=2
	s_xor_b64 s[26:27], s[26:27], -1
	s_and_saveexec_b64 s[28:29], s[26:27]
	s_xor_b64 s[26:27], exec, s[28:29]
	s_cbranch_execz .LBB21_20
; %bb.19:                               ;   in Loop: Header=BB21_7 Depth=2
	ds_write_b32 v51, v15 offset:64
.LBB21_20:                              ;   in Loop: Header=BB21_7 Depth=2
	s_andn2_saveexec_b64 s[26:27], s[26:27]
	s_cbranch_execz .LBB21_22
; %bb.21:                               ;   in Loop: Header=BB21_7 Depth=2
	ds_write_b32 v51, v31 offset:64
.LBB21_22:                              ;   in Loop: Header=BB21_7 Depth=2
	s_or_b64 exec, exec, s[26:27]
.LBB21_23:                              ;   in Loop: Header=BB21_7 Depth=2
	s_or_b64 exec, exec, s[18:19]
	v_cmp_eq_u64_e64 s[18:19], s[20:21], v[40:41]
	s_and_b64 s[26:27], s[34:35], s[18:19]
	v_cmp_gt_i64_e64 s[18:19], v[2:3], v[38:39]
	s_or_b64 s[18:19], s[8:9], s[18:19]
	s_or_b64 s[18:19], s[18:19], s[26:27]
	;; [unrolled: 1-line block ×3, first 2 shown]
	s_xor_b64 s[12:13], s[12:13], -1
	s_and_saveexec_b64 s[18:19], s[12:13]
	s_xor_b64 s[12:13], exec, s[18:19]
	s_cbranch_execz .LBB21_25
; %bb.24:                               ;   in Loop: Header=BB21_7 Depth=2
	global_load_dword v0, v[0:1], off offset:64
	s_waitcnt vmcnt(0)
	ds_write_b32 v51, v0 offset:2048
.LBB21_25:                              ;   in Loop: Header=BB21_7 Depth=2
	s_andn2_saveexec_b64 s[12:13], s[12:13]
	s_cbranch_execz .LBB21_31
; %bb.26:                               ;   in Loop: Header=BB21_7 Depth=2
	s_xor_b64 s[18:19], s[26:27], -1
	s_and_saveexec_b64 s[26:27], s[18:19]
	s_xor_b64 s[18:19], exec, s[26:27]
	s_cbranch_execz .LBB21_28
; %bb.27:                               ;   in Loop: Header=BB21_7 Depth=2
	ds_write_b32 v51, v15 offset:2048
.LBB21_28:                              ;   in Loop: Header=BB21_7 Depth=2
	s_andn2_saveexec_b64 s[18:19], s[18:19]
	s_cbranch_execz .LBB21_30
; %bb.29:                               ;   in Loop: Header=BB21_7 Depth=2
	ds_write_b32 v51, v31 offset:2048
.LBB21_30:                              ;   in Loop: Header=BB21_7 Depth=2
	s_or_b64 exec, exec, s[18:19]
.LBB21_31:                              ;   in Loop: Header=BB21_7 Depth=2
	s_or_b64 exec, exec, s[12:13]
	s_or_b64 s[10:11], s[8:9], s[10:11]
	s_or_b64 s[10:11], s[10:11], s[24:25]
	s_or_b64 s[10:11], s[14:15], s[10:11]
	s_xor_b64 s[10:11], s[10:11], -1
	s_and_saveexec_b64 s[12:13], s[10:11]
	s_xor_b64 s[12:13], exec, s[12:13]
	s_cbranch_execz .LBB21_33
; %bb.32:                               ;   in Loop: Header=BB21_7 Depth=2
	v_add_co_u32_e64 v0, s[10:11], v46, v36
	v_addc_co_u32_e64 v1, s[10:11], v47, v37, s[10:11]
	global_load_dword v0, v[0:1], off offset:64
	s_waitcnt vmcnt(0)
	ds_write_b32 v51, v0 offset:2112
.LBB21_33:                              ;   in Loop: Header=BB21_7 Depth=2
	s_andn2_saveexec_b64 s[10:11], s[12:13]
	s_cbranch_execz .LBB21_39
; %bb.34:                               ;   in Loop: Header=BB21_7 Depth=2
	s_and_saveexec_b64 s[12:13], s[22:23]
	s_xor_b64 s[12:13], exec, s[12:13]
	s_cbranch_execz .LBB21_36
; %bb.35:                               ;   in Loop: Header=BB21_7 Depth=2
	ds_write_b32 v51, v15 offset:2112
.LBB21_36:                              ;   in Loop: Header=BB21_7 Depth=2
	s_andn2_saveexec_b64 s[12:13], s[12:13]
	s_cbranch_execz .LBB21_38
; %bb.37:                               ;   in Loop: Header=BB21_7 Depth=2
	ds_write_b32 v51, v31 offset:2112
.LBB21_38:                              ;   in Loop: Header=BB21_7 Depth=2
	s_or_b64 exec, exec, s[12:13]
.LBB21_39:                              ;   in Loop: Header=BB21_7 Depth=2
	s_or_b64 exec, exec, s[10:11]
	v_mov_b32_e32 v1, s21
	v_add_co_u32_e64 v0, s[10:11], s20, v12
	v_addc_co_u32_e64 v1, s[10:11], 0, v1, s[10:11]
	v_add_co_u32_e64 v2, s[10:11], v48, v22
	v_addc_co_u32_e64 v3, s[10:11], v49, v23, s[10:11]
	v_cmp_le_i64_e64 s[10:11], s[36:37], v[0:1]
	s_or_b64 s[12:13], s[10:11], vcc
	s_xor_b64 s[12:13], s[12:13], -1
	s_and_saveexec_b64 s[14:15], s[12:13]
	s_xor_b64 s[12:13], exec, s[14:15]
	s_cbranch_execz .LBB21_41
; %bb.40:                               ;   in Loop: Header=BB21_7 Depth=2
	global_load_dword v4, v[2:3], off offset:-64
	s_waitcnt vmcnt(0)
	ds_write_b32 v53, v4
.LBB21_41:                              ;   in Loop: Header=BB21_7 Depth=2
	s_andn2_saveexec_b64 s[12:13], s[12:13]
	s_cbranch_execz .LBB21_43
; %bb.42:                               ;   in Loop: Header=BB21_7 Depth=2
	ds_write_b32 v53, v15
.LBB21_43:                              ;   in Loop: Header=BB21_7 Depth=2
	s_or_b64 exec, exec, s[12:13]
	s_or_b64 s[10:11], s[10:11], s[0:1]
	s_xor_b64 s[10:11], s[10:11], -1
	s_and_saveexec_b64 s[12:13], s[10:11]
	s_xor_b64 s[10:11], exec, s[12:13]
	s_cbranch_execz .LBB21_45
; %bb.44:                               ;   in Loop: Header=BB21_7 Depth=2
	global_load_dword v2, v[2:3], off
	s_waitcnt vmcnt(0)
	ds_write_b32 v53, v2 offset:64
.LBB21_45:                              ;   in Loop: Header=BB21_7 Depth=2
	s_andn2_saveexec_b64 s[10:11], s[10:11]
	s_cbranch_execz .LBB21_47
; %bb.46:                               ;   in Loop: Header=BB21_7 Depth=2
	ds_write_b32 v53, v15 offset:64
.LBB21_47:                              ;   in Loop: Header=BB21_7 Depth=2
	s_or_b64 exec, exec, s[10:11]
	v_cmp_le_i64_e64 s[10:11], s[44:45], v[0:1]
	s_or_b64 s[12:13], s[10:11], vcc
	s_xor_b64 s[12:13], s[12:13], -1
	s_and_saveexec_b64 s[14:15], s[12:13]
	s_xor_b64 s[14:15], exec, s[14:15]
	s_cbranch_execz .LBB21_49
; %bb.48:                               ;   in Loop: Header=BB21_7 Depth=2
	v_add_co_u32_e64 v0, s[12:13], v48, v30
	v_addc_co_u32_e64 v1, s[12:13], v49, v13, s[12:13]
	global_load_dword v0, v[0:1], off offset:-64
	s_waitcnt vmcnt(0)
	ds_write_b32 v53, v0 offset:2048
.LBB21_49:                              ;   in Loop: Header=BB21_7 Depth=2
	s_andn2_saveexec_b64 s[12:13], s[14:15]
	s_cbranch_execz .LBB21_51
; %bb.50:                               ;   in Loop: Header=BB21_7 Depth=2
	ds_write_b32 v53, v15 offset:2048
.LBB21_51:                              ;   in Loop: Header=BB21_7 Depth=2
	s_or_b64 exec, exec, s[12:13]
	s_or_b64 s[10:11], s[10:11], s[0:1]
	s_xor_b64 s[10:11], s[10:11], -1
	s_and_saveexec_b64 s[12:13], s[10:11]
	s_xor_b64 s[12:13], exec, s[12:13]
	s_cbranch_execz .LBB21_53
; %bb.52:                               ;   in Loop: Header=BB21_7 Depth=2
	v_add_co_u32_e64 v0, s[10:11], v48, v30
	v_addc_co_u32_e64 v1, s[10:11], v49, v13, s[10:11]
	global_load_dword v0, v[0:1], off
	s_waitcnt vmcnt(0)
	ds_write_b32 v53, v0 offset:2112
.LBB21_53:                              ;   in Loop: Header=BB21_7 Depth=2
	s_andn2_saveexec_b64 s[10:11], s[12:13]
	s_cbranch_execz .LBB21_6
; %bb.54:                               ;   in Loop: Header=BB21_7 Depth=2
	ds_write_b32 v53, v15 offset:2112
	s_branch .LBB21_6
.LBB21_55:                              ;   in Loop: Header=BB21_4 Depth=1
	v_mul_lo_u32 v2, v33, s40
	v_mul_lo_u32 v3, v32, s41
	v_mad_u64_u32 v[0:1], s[10:11], v32, s40, 0
	v_add3_u32 v1, v1, v3, v2
	v_lshlrev_b64 v[0:1], 2, v[0:1]
	v_mov_b32_e32 v2, s47
	v_add_co_u32_e64 v0, s[10:11], s46, v0
	v_cmp_gt_i32_e64 s[8:9], s30, v32
	v_addc_co_u32_e64 v1, s[10:11], v2, v1, s[10:11]
	s_and_b64 s[10:11], s[2:3], s[8:9]
	s_and_saveexec_b64 s[12:13], s[10:11]
	s_cbranch_execz .LBB21_57
; %bb.56:                               ;   in Loop: Header=BB21_4 Depth=1
	v_add_co_u32_e64 v2, s[10:11], v0, v24
	v_addc_co_u32_e64 v3, s[10:11], v1, v25, s[10:11]
	global_load_dword v4, v[2:3], off
	s_waitcnt vmcnt(0)
	v_fmac_f32_e32 v4, s31, v58
	global_store_dword v[2:3], v4, off
.LBB21_57:                              ;   in Loop: Header=BB21_4 Depth=1
	s_or_b64 exec, exec, s[12:13]
	s_and_b64 s[8:9], s[4:5], s[8:9]
	s_and_saveexec_b64 s[10:11], s[8:9]
	s_cbranch_execz .LBB21_59
; %bb.58:                               ;   in Loop: Header=BB21_4 Depth=1
	v_lshlrev_b64 v[2:3], 2, v[18:19]
	v_add_co_u32_e64 v0, s[8:9], v0, v2
	v_addc_co_u32_e64 v1, s[8:9], v1, v3, s[8:9]
	global_load_dword v2, v[0:1], off
	s_waitcnt vmcnt(0)
	v_fmac_f32_e32 v2, s31, v57
	global_store_dword v[0:1], v2, off
.LBB21_59:                              ;   in Loop: Header=BB21_4 Depth=1
	s_or_b64 exec, exec, s[10:11]
	v_add_u32_e32 v0, 16, v32
	v_ashrrev_i32_e32 v1, 31, v0
	v_cmp_gt_i32_e64 s[8:9], s30, v0
	v_mul_lo_u32 v2, v1, s40
	v_mul_lo_u32 v3, v0, s41
	v_mad_u64_u32 v[0:1], s[10:11], v0, s40, 0
	v_add3_u32 v1, v1, v3, v2
	v_lshlrev_b64 v[0:1], 2, v[0:1]
	v_mov_b32_e32 v2, s47
	v_add_co_u32_e64 v0, s[10:11], s46, v0
	v_addc_co_u32_e64 v1, s[10:11], v2, v1, s[10:11]
	s_and_b64 s[10:11], s[2:3], s[8:9]
	s_and_saveexec_b64 s[12:13], s[10:11]
	s_cbranch_execz .LBB21_61
; %bb.60:                               ;   in Loop: Header=BB21_4 Depth=1
	v_add_co_u32_e64 v2, s[10:11], v0, v24
	v_addc_co_u32_e64 v3, s[10:11], v1, v25, s[10:11]
	global_load_dword v4, v[2:3], off
	s_waitcnt vmcnt(0)
	v_fmac_f32_e32 v4, s31, v56
	global_store_dword v[2:3], v4, off
.LBB21_61:                              ;   in Loop: Header=BB21_4 Depth=1
	s_or_b64 exec, exec, s[12:13]
	s_and_b64 s[8:9], s[4:5], s[8:9]
	s_and_saveexec_b64 s[10:11], s[8:9]
	s_cbranch_execz .LBB21_3
; %bb.62:                               ;   in Loop: Header=BB21_4 Depth=1
	v_lshlrev_b64 v[2:3], 2, v[18:19]
	v_add_co_u32_e64 v0, s[8:9], v0, v2
	v_addc_co_u32_e64 v1, s[8:9], v1, v3, s[8:9]
	global_load_dword v2, v[0:1], off
	s_waitcnt vmcnt(0)
	v_fmac_f32_e32 v2, s31, v21
	global_store_dword v[0:1], v2, off
	s_branch .LBB21_3
.LBB21_63:
	s_endpgm
	.section	.rodata,"a",@progbits
	.p2align	6, 0x0
	.amdhsa_kernel _ZL30rocblas_trmm_outofplace_kernelIfLi32ELi2ELb0ELb0ELb1ELb1EfKffEv17rocblas_diagonal_iiT6_lPT7_lllS4_lllPT8_llli
		.amdhsa_group_segment_fixed_size 8192
		.amdhsa_private_segment_fixed_size 0
		.amdhsa_kernarg_size 384
		.amdhsa_user_sgpr_count 6
		.amdhsa_user_sgpr_private_segment_buffer 1
		.amdhsa_user_sgpr_dispatch_ptr 0
		.amdhsa_user_sgpr_queue_ptr 0
		.amdhsa_user_sgpr_kernarg_segment_ptr 1
		.amdhsa_user_sgpr_dispatch_id 0
		.amdhsa_user_sgpr_flat_scratch_init 0
		.amdhsa_user_sgpr_kernarg_preload_length 0
		.amdhsa_user_sgpr_kernarg_preload_offset 0
		.amdhsa_user_sgpr_private_segment_size 0
		.amdhsa_uses_dynamic_stack 0
		.amdhsa_system_sgpr_private_segment_wavefront_offset 0
		.amdhsa_system_sgpr_workgroup_id_x 1
		.amdhsa_system_sgpr_workgroup_id_y 1
		.amdhsa_system_sgpr_workgroup_id_z 1
		.amdhsa_system_sgpr_workgroup_info 0
		.amdhsa_system_vgpr_workitem_id 1
		.amdhsa_next_free_vgpr 70
		.amdhsa_next_free_sgpr 50
		.amdhsa_accum_offset 72
		.amdhsa_reserve_vcc 1
		.amdhsa_reserve_flat_scratch 0
		.amdhsa_float_round_mode_32 0
		.amdhsa_float_round_mode_16_64 0
		.amdhsa_float_denorm_mode_32 3
		.amdhsa_float_denorm_mode_16_64 3
		.amdhsa_dx10_clamp 1
		.amdhsa_ieee_mode 1
		.amdhsa_fp16_overflow 0
		.amdhsa_tg_split 0
		.amdhsa_exception_fp_ieee_invalid_op 0
		.amdhsa_exception_fp_denorm_src 0
		.amdhsa_exception_fp_ieee_div_zero 0
		.amdhsa_exception_fp_ieee_overflow 0
		.amdhsa_exception_fp_ieee_underflow 0
		.amdhsa_exception_fp_ieee_inexact 0
		.amdhsa_exception_int_div_zero 0
	.end_amdhsa_kernel
	.section	.text._ZL30rocblas_trmm_outofplace_kernelIfLi32ELi2ELb0ELb0ELb1ELb1EfKffEv17rocblas_diagonal_iiT6_lPT7_lllS4_lllPT8_llli,"axG",@progbits,_ZL30rocblas_trmm_outofplace_kernelIfLi32ELi2ELb0ELb0ELb1ELb1EfKffEv17rocblas_diagonal_iiT6_lPT7_lllS4_lllPT8_llli,comdat
.Lfunc_end21:
	.size	_ZL30rocblas_trmm_outofplace_kernelIfLi32ELi2ELb0ELb0ELb1ELb1EfKffEv17rocblas_diagonal_iiT6_lPT7_lllS4_lllPT8_llli, .Lfunc_end21-_ZL30rocblas_trmm_outofplace_kernelIfLi32ELi2ELb0ELb0ELb1ELb1EfKffEv17rocblas_diagonal_iiT6_lPT7_lllS4_lllPT8_llli
                                        ; -- End function
	.section	.AMDGPU.csdata,"",@progbits
; Kernel info:
; codeLenInByte = 3232
; NumSgprs: 54
; NumVgprs: 70
; NumAgprs: 0
; TotalNumVgprs: 70
; ScratchSize: 0
; MemoryBound: 0
; FloatMode: 240
; IeeeMode: 1
; LDSByteSize: 8192 bytes/workgroup (compile time only)
; SGPRBlocks: 6
; VGPRBlocks: 8
; NumSGPRsForWavesPerEU: 54
; NumVGPRsForWavesPerEU: 70
; AccumOffset: 72
; Occupancy: 7
; WaveLimiterHint : 0
; COMPUTE_PGM_RSRC2:SCRATCH_EN: 0
; COMPUTE_PGM_RSRC2:USER_SGPR: 6
; COMPUTE_PGM_RSRC2:TRAP_HANDLER: 0
; COMPUTE_PGM_RSRC2:TGID_X_EN: 1
; COMPUTE_PGM_RSRC2:TGID_Y_EN: 1
; COMPUTE_PGM_RSRC2:TGID_Z_EN: 1
; COMPUTE_PGM_RSRC2:TIDIG_COMP_CNT: 1
; COMPUTE_PGM_RSRC3_GFX90A:ACCUM_OFFSET: 17
; COMPUTE_PGM_RSRC3_GFX90A:TG_SPLIT: 0
	.section	.text._ZL30rocblas_trmm_outofplace_kernelIfLi32ELi2ELb0ELb1ELb1ELb1EPKfS0_fEv17rocblas_diagonal_iiT6_lPT7_lllS5_lllPT8_llli,"axG",@progbits,_ZL30rocblas_trmm_outofplace_kernelIfLi32ELi2ELb0ELb1ELb1ELb1EPKfS0_fEv17rocblas_diagonal_iiT6_lPT7_lllS5_lllPT8_llli,comdat
	.globl	_ZL30rocblas_trmm_outofplace_kernelIfLi32ELi2ELb0ELb1ELb1ELb1EPKfS0_fEv17rocblas_diagonal_iiT6_lPT7_lllS5_lllPT8_llli ; -- Begin function _ZL30rocblas_trmm_outofplace_kernelIfLi32ELi2ELb0ELb1ELb1ELb1EPKfS0_fEv17rocblas_diagonal_iiT6_lPT7_lllS5_lllPT8_llli
	.p2align	8
	.type	_ZL30rocblas_trmm_outofplace_kernelIfLi32ELi2ELb0ELb1ELb1ELb1EPKfS0_fEv17rocblas_diagonal_iiT6_lPT7_lllS5_lllPT8_llli,@function
_ZL30rocblas_trmm_outofplace_kernelIfLi32ELi2ELb0ELb1ELb1ELb1EPKfS0_fEv17rocblas_diagonal_iiT6_lPT7_lllS5_lllPT8_llli: ; @_ZL30rocblas_trmm_outofplace_kernelIfLi32ELi2ELb0ELb1ELb1ELb1EPKfS0_fEv17rocblas_diagonal_iiT6_lPT7_lllS5_lllPT8_llli
; %bb.0:
	s_load_dwordx16 s[12:27], s[4:5], 0x10
	s_waitcnt lgkmcnt(0)
	s_mul_i32 s0, s8, s15
	s_mul_hi_u32 s1, s8, s14
	s_add_i32 s1, s1, s0
	s_mul_i32 s0, s8, s14
	s_lshl_b64 s[0:1], s[0:1], 2
	s_add_u32 s0, s12, s0
	s_addc_u32 s1, s13, s1
	s_load_dword s33, s[0:1], 0x0
	s_waitcnt lgkmcnt(0)
	v_cmp_eq_f32_e64 s[0:1], s33, 0
	s_and_b64 vcc, exec, s[0:1]
	s_cbranch_vccnz .LBB22_63
; %bb.1:
	s_load_dwordx4 s[28:31], s[4:5], 0x0
	s_waitcnt lgkmcnt(0)
	s_add_i32 s0, s30, -1
	s_ashr_i32 s1, s0, 31
	s_lshr_b32 s1, s1, 27
	s_add_i32 s0, s0, s1
	s_ashr_i32 s54, s0, 5
	s_cmp_gt_i32 s7, s54
	s_cbranch_scc1 .LBB22_63
; %bb.2:
	s_load_dwordx8 s[36:43], s[4:5], 0x50
	s_load_dwordx4 s[44:47], s[4:5], 0x70
	s_load_dword s55, s[4:5], 0x8c
	v_and_b32_e32 v4, 0x3ff, v0
	v_bfe_u32 v44, v0, 10, 10
	s_waitcnt lgkmcnt(0)
	s_mul_i32 s1, s8, s39
	s_mul_hi_u32 s2, s8, s38
	s_mul_i32 s0, s8, s38
	s_add_i32 s1, s2, s1
	s_lshl_b64 s[0:1], s[0:1], 2
	s_add_u32 s2, s24, s0
	s_addc_u32 s3, s25, s1
	s_lshl_b64 s[0:1], s[26:27], 2
	s_add_u32 s2, s2, s0
	s_addc_u32 s3, s3, s1
	s_mul_i32 s0, s8, s47
	s_mul_hi_u32 s1, s8, s46
	s_add_i32 s1, s1, s0
	s_mul_i32 s0, s8, s46
	s_lshl_b64 s[0:1], s[0:1], 2
	s_add_u32 s4, s40, s0
	s_addc_u32 s5, s41, s1
	s_lshl_b64 s[0:1], s[42:43], 2
	s_add_u32 s56, s4, s0
	s_addc_u32 s57, s5, s1
	s_cmpk_eq_i32 s28, 0x84
	v_lshl_add_u32 v0, s6, 5, v4
	s_cselect_b64 s[24:25], -1, 0
	s_ashr_i32 s31, s30, 31
	s_ashr_i32 s0, s29, 31
	s_lshl_b64 s[26:27], s[20:21], 7
	s_lshl_b64 s[34:35], s[36:37], 7
	v_ashrrev_i32_e32 v1, 31, v0
	s_add_u32 s38, s30, -16
	v_lshlrev_b64 v[12:13], 2, v[0:1]
	s_addc_u32 s39, s31, -1
	s_lshl_b32 s9, s7, 5
	v_mov_b32_e32 v2, s3
	v_add_co_u32_e32 v14, vcc, s2, v12
	v_add_u32_e32 v18, s9, v4
	v_add_u32_e32 v20, s9, v44
	s_mul_i32 s9, s23, s8
	s_mul_hi_u32 s10, s22, s8
	v_addc_co_u32_e32 v15, vcc, v2, v13, vcc
	v_add_u32_e32 v16, 16, v0
	s_add_i32 s9, s10, s9
	s_mul_i32 s8, s22, s8
	v_sub_co_u32_e32 v2, vcc, s29, v0
	v_cmp_gt_i32_e64 s[2:3], s29, v0
	v_cmp_gt_i32_e64 s[4:5], s29, v16
	s_lshl_b32 s6, s55, 5
	s_lshl_b64 s[28:29], s[36:37], 2
	s_lshl_b64 s[8:9], s[8:9], 2
	;; [unrolled: 1-line block ×3, first 2 shown]
	v_mov_b32_e32 v3, s0
	s_add_u32 s8, s8, s10
	v_subb_co_u32_e32 v3, vcc, v3, v1, vcc
	v_lshlrev_b32_e32 v1, 2, v4
	s_addc_u32 s9, s9, s11
	v_lshlrev_b32_e32 v45, 7, v44
	v_or_b32_e32 v47, 0x1000, v1
	s_add_u32 s22, s16, s8
	v_add_u32_e32 v46, v45, v1
	v_cmp_gt_i64_e32 vcc, 1, v[2:3]
	v_add_u32_e32 v48, v47, v45
	v_cmp_gt_i64_e64 s[0:1], 17, v[2:3]
	v_ashrrev_i32_e32 v17, 31, v16
	s_addc_u32 s23, s17, s9
	s_lshl_b64 s[40:41], s[20:21], 2
	v_mov_b32_e32 v49, 0
	v_mov_b32_e32 v50, 1.0
	s_branch .LBB22_4
.LBB22_3:                               ;   in Loop: Header=BB22_4 Depth=1
	s_or_b64 exec, exec, s[10:11]
	s_add_i32 s7, s55, s7
	v_add_u32_e32 v18, s6, v18
	s_cmp_le_i32 s7, s54
	v_add_u32_e32 v20, s6, v20
	s_cbranch_scc0 .LBB22_63
.LBB22_4:                               ; =>This Loop Header: Depth=1
                                        ;     Child Loop BB22_7 Depth 2
	s_lshl_b32 s8, s7, 5
	v_add_u32_e32 v22, s8, v44
	s_sub_i32 s58, s30, s8
	v_ashrrev_i32_e32 v19, 31, v18
	v_ashrrev_i32_e32 v21, 31, v20
	;; [unrolled: 1-line block ×3, first 2 shown]
	s_cmp_lt_i32 s58, 1
	v_mov_b32_e32 v54, 0
	v_mov_b32_e32 v53, 0
	;; [unrolled: 1-line block ×4, first 2 shown]
	s_cbranch_scc1 .LBB22_55
; %bb.5:                                ;   in Loop: Header=BB22_4 Depth=1
	v_sub_co_u32_e64 v24, s[8:9], v20, v18
	v_subb_co_u32_e64 v25, s[8:9], v21, v19, s[8:9]
	v_mad_u64_u32 v[26:27], s[8:9], s28, v20, 64
	v_mul_lo_u32 v0, s28, v21
	v_mul_lo_u32 v1, s29, v20
	v_add3_u32 v27, v1, v27, v0
	v_lshlrev_b64 v[0:1], 2, v[18:19]
	v_add_co_u32_e64 v2, s[8:9], 64, v0
	v_addc_co_u32_e64 v0, s[8:9], 0, v1, s[8:9]
	v_mul_lo_u32 v3, s20, v0
	v_pk_mov_b32 v[0:1], s[22:23], s[22:23] op_sel:[0,1]
	v_lshlrev_b64 v[28:29], 2, v[20:21]
	v_mad_u64_u32 v[30:31], s[8:9], s20, v2, v[0:1]
	v_mad_u64_u32 v[32:33], s[8:9], s40, v18, v[0:1]
	v_mul_lo_u32 v0, s40, v19
	v_mul_lo_u32 v1, s41, v18
	v_add3_u32 v33, v1, v33, v0
	v_add_co_u32_e64 v0, s[8:9], 64, v28
	v_addc_co_u32_e64 v1, s[8:9], 0, v29, s[8:9]
	v_mad_u64_u32 v[34:35], s[8:9], s36, v0, 64
	v_add_co_u32_e64 v38, s[10:11], 16, v24
	v_add_co_u32_e64 v36, s[8:9], 16, v22
	v_addc_co_u32_e64 v39, s[10:11], 0, v25, s[10:11]
	v_mul_lo_u32 v4, s21, v2
	v_mul_lo_u32 v1, s36, v1
	;; [unrolled: 1-line block ×3, first 2 shown]
	v_addc_co_u32_e64 v37, s[8:9], 0, v23, s[8:9]
	v_add_co_u32_e64 v40, s[10:11], -16, v24
	v_add3_u32 v31, v4, v31, v3
	v_add3_u32 v35, v2, v35, v1
	v_cmp_le_i32_e64 s[16:17], s30, v22
	v_cmp_le_i64_e64 s[8:9], s[30:31], v[36:37]
	v_addc_co_u32_e64 v41, s[10:11], -1, v25, s[10:11]
	s_mov_b64 s[42:43], 0
	v_mov_b32_e32 v51, 0
	v_pk_mov_b32 v[42:43], v[14:15], v[14:15] op_sel:[0,1]
	v_mov_b32_e32 v52, 0
	v_mov_b32_e32 v53, 0
	;; [unrolled: 1-line block ×3, first 2 shown]
	s_branch .LBB22_7
.LBB22_6:                               ;   in Loop: Header=BB22_7 Depth=2
	s_or_b64 exec, exec, s[10:11]
	s_waitcnt lgkmcnt(0)
	s_barrier
	ds_read_b128 v[56:59], v45
	ds_read_b128 v[8:11], v45 offset:16
	ds_read_b128 v[4:7], v45 offset:32
	;; [unrolled: 1-line block ×3, first 2 shown]
	ds_read2_b32 v[64:65], v47 offset1:16
	ds_read_b128 v[60:63], v45 offset:2048
	v_add_u32_e32 v55, 0x400, v47
	v_add_co_u32_e64 v42, s[10:11], s34, v42
	s_waitcnt lgkmcnt(1)
	v_fmac_f32_e32 v54, v64, v56
	v_fmac_f32_e32 v53, v65, v56
	s_waitcnt lgkmcnt(0)
	v_fmac_f32_e32 v52, v64, v60
	v_fmac_f32_e32 v51, v65, v60
	ds_read2_b32 v[64:65], v47 offset0:32 offset1:48
	s_add_u32 s42, s42, 32
	s_addc_u32 s43, s43, 0
	s_cmp_ge_i32 s42, s58
	s_waitcnt lgkmcnt(0)
	v_fmac_f32_e32 v54, v64, v57
	v_fmac_f32_e32 v53, v65, v57
	ds_read2_b32 v[56:57], v47 offset0:64 offset1:80
	v_fmac_f32_e32 v52, v64, v61
	v_fmac_f32_e32 v51, v65, v61
	ds_read2_b32 v[60:61], v47 offset0:128 offset1:144
	s_waitcnt lgkmcnt(1)
	v_fmac_f32_e32 v54, v56, v58
	v_fmac_f32_e32 v53, v57, v58
	;; [unrolled: 1-line block ×4, first 2 shown]
	ds_read2_b32 v[56:57], v47 offset0:96 offset1:112
	s_waitcnt lgkmcnt(0)
	v_fmac_f32_e32 v54, v56, v59
	v_fmac_f32_e32 v53, v57, v59
	;; [unrolled: 1-line block ×4, first 2 shown]
	ds_read_b128 v[56:59], v45 offset:2064
	v_fmac_f32_e32 v54, v60, v8
	v_fmac_f32_e32 v53, v61, v8
	s_waitcnt lgkmcnt(0)
	v_fmac_f32_e32 v52, v60, v56
	v_fmac_f32_e32 v51, v61, v56
	ds_read2_b32 v[60:61], v47 offset0:160 offset1:176
	s_waitcnt lgkmcnt(0)
	v_fmac_f32_e32 v54, v60, v9
	v_fmac_f32_e32 v53, v61, v9
	ds_read2_b32 v[8:9], v47 offset0:192 offset1:208
	v_fmac_f32_e32 v52, v60, v57
	v_fmac_f32_e32 v51, v61, v57
	ds_read2_b32 v[56:57], v55 offset1:16
	s_waitcnt lgkmcnt(1)
	v_fmac_f32_e32 v54, v8, v10
	v_fmac_f32_e32 v53, v9, v10
	;; [unrolled: 1-line block ×4, first 2 shown]
	ds_read2_b32 v[8:9], v47 offset0:224 offset1:240
	s_waitcnt lgkmcnt(0)
	v_fmac_f32_e32 v54, v8, v11
	v_fmac_f32_e32 v53, v9, v11
	;; [unrolled: 1-line block ×4, first 2 shown]
	ds_read_b128 v[8:11], v45 offset:2080
	v_fmac_f32_e32 v54, v56, v4
	v_fmac_f32_e32 v53, v57, v4
	s_waitcnt lgkmcnt(0)
	v_fmac_f32_e32 v52, v56, v8
	v_fmac_f32_e32 v51, v57, v8
	ds_read2_b32 v[56:57], v55 offset0:32 offset1:48
	s_waitcnt lgkmcnt(0)
	v_fmac_f32_e32 v54, v56, v5
	v_fmac_f32_e32 v53, v57, v5
	ds_read2_b32 v[4:5], v55 offset0:64 offset1:80
	v_fmac_f32_e32 v52, v56, v9
	v_fmac_f32_e32 v51, v57, v9
	ds_read2_b32 v[8:9], v55 offset0:128 offset1:144
	s_waitcnt lgkmcnt(1)
	v_fmac_f32_e32 v54, v4, v6
	v_fmac_f32_e32 v53, v5, v6
	;; [unrolled: 1-line block ×4, first 2 shown]
	ds_read2_b32 v[4:5], v55 offset0:96 offset1:112
	v_add_u32_e32 v10, 0x800, v47
	s_waitcnt lgkmcnt(0)
	v_fmac_f32_e32 v54, v4, v7
	v_fmac_f32_e32 v53, v5, v7
	;; [unrolled: 1-line block ×4, first 2 shown]
	ds_read_b128 v[4:7], v45 offset:2096
	v_fmac_f32_e32 v54, v8, v0
	v_fmac_f32_e32 v53, v9, v0
	s_waitcnt lgkmcnt(0)
	v_fmac_f32_e32 v52, v8, v4
	v_fmac_f32_e32 v51, v9, v4
	ds_read2_b32 v[8:9], v55 offset0:160 offset1:176
	s_waitcnt lgkmcnt(0)
	v_fmac_f32_e32 v54, v8, v1
	v_fmac_f32_e32 v53, v9, v1
	ds_read2_b32 v[0:1], v55 offset0:192 offset1:208
	v_fmac_f32_e32 v52, v8, v5
	v_fmac_f32_e32 v51, v9, v5
	ds_read2_b32 v[8:9], v10 offset1:16
	s_waitcnt lgkmcnt(1)
	v_fmac_f32_e32 v54, v0, v2
	v_fmac_f32_e32 v53, v1, v2
	;; [unrolled: 1-line block ×4, first 2 shown]
	ds_read2_b32 v[0:1], v55 offset0:224 offset1:240
	s_waitcnt lgkmcnt(0)
	v_fmac_f32_e32 v54, v0, v3
	v_fmac_f32_e32 v53, v1, v3
	;; [unrolled: 1-line block ×4, first 2 shown]
	ds_read_b128 v[0:3], v45 offset:64
	ds_read_b128 v[4:7], v45 offset:2112
	s_waitcnt lgkmcnt(1)
	v_fmac_f32_e32 v54, v8, v0
	v_fmac_f32_e32 v53, v9, v0
	s_waitcnt lgkmcnt(0)
	v_fmac_f32_e32 v52, v8, v4
	v_fmac_f32_e32 v51, v9, v4
	ds_read2_b32 v[8:9], v10 offset0:32 offset1:48
	s_waitcnt lgkmcnt(0)
	v_fmac_f32_e32 v54, v8, v1
	v_fmac_f32_e32 v53, v9, v1
	ds_read2_b32 v[0:1], v10 offset0:64 offset1:80
	v_fmac_f32_e32 v52, v8, v5
	v_fmac_f32_e32 v51, v9, v5
	s_waitcnt lgkmcnt(0)
	v_fmac_f32_e32 v54, v0, v2
	v_fmac_f32_e32 v53, v1, v2
	;; [unrolled: 1-line block ×4, first 2 shown]
	ds_read2_b32 v[0:1], v10 offset0:96 offset1:112
	s_waitcnt lgkmcnt(0)
	v_fmac_f32_e32 v54, v0, v3
	v_fmac_f32_e32 v53, v1, v3
	v_fmac_f32_e32 v52, v0, v7
	v_fmac_f32_e32 v51, v1, v7
	ds_read_b128 v[0:3], v45 offset:80
	ds_read2_b32 v[8:9], v10 offset0:128 offset1:144
	ds_read_b128 v[4:7], v45 offset:2128
	s_waitcnt lgkmcnt(1)
	v_fmac_f32_e32 v54, v8, v0
	v_fmac_f32_e32 v53, v9, v0
	s_waitcnt lgkmcnt(0)
	v_fmac_f32_e32 v52, v8, v4
	v_fmac_f32_e32 v51, v9, v4
	ds_read2_b32 v[8:9], v10 offset0:160 offset1:176
	s_waitcnt lgkmcnt(0)
	v_fmac_f32_e32 v54, v8, v1
	v_fmac_f32_e32 v53, v9, v1
	ds_read2_b32 v[0:1], v10 offset0:192 offset1:208
	v_fmac_f32_e32 v52, v8, v5
	v_fmac_f32_e32 v51, v9, v5
	s_waitcnt lgkmcnt(0)
	v_fmac_f32_e32 v54, v0, v2
	v_fmac_f32_e32 v53, v1, v2
	;; [unrolled: 1-line block ×4, first 2 shown]
	ds_read2_b32 v[0:1], v10 offset0:224 offset1:240
	v_add_u32_e32 v10, 0xc00, v47
	ds_read2_b32 v[8:9], v10 offset1:16
	s_waitcnt lgkmcnt(1)
	v_fmac_f32_e32 v54, v0, v3
	v_fmac_f32_e32 v53, v1, v3
	;; [unrolled: 1-line block ×4, first 2 shown]
	ds_read_b128 v[0:3], v45 offset:96
	ds_read_b128 v[4:7], v45 offset:2144
	s_waitcnt lgkmcnt(1)
	v_fmac_f32_e32 v54, v8, v0
	v_fmac_f32_e32 v53, v9, v0
	s_waitcnt lgkmcnt(0)
	v_fmac_f32_e32 v52, v8, v4
	v_fmac_f32_e32 v51, v9, v4
	ds_read2_b32 v[8:9], v10 offset0:32 offset1:48
	s_waitcnt lgkmcnt(0)
	v_fmac_f32_e32 v54, v8, v1
	v_fmac_f32_e32 v53, v9, v1
	ds_read2_b32 v[0:1], v10 offset0:64 offset1:80
	v_fmac_f32_e32 v52, v8, v5
	v_fmac_f32_e32 v51, v9, v5
	s_waitcnt lgkmcnt(0)
	v_fmac_f32_e32 v54, v0, v2
	v_fmac_f32_e32 v53, v1, v2
	v_fmac_f32_e32 v52, v0, v6
	v_fmac_f32_e32 v51, v1, v6
	ds_read2_b32 v[0:1], v10 offset0:96 offset1:112
	s_waitcnt lgkmcnt(0)
	v_fmac_f32_e32 v54, v0, v3
	v_fmac_f32_e32 v53, v1, v3
	;; [unrolled: 1-line block ×4, first 2 shown]
	ds_read_b128 v[0:3], v45 offset:112
	ds_read2_b32 v[8:9], v10 offset0:128 offset1:144
	ds_read_b128 v[4:7], v45 offset:2160
	s_waitcnt lgkmcnt(1)
	v_fmac_f32_e32 v54, v8, v0
	v_fmac_f32_e32 v53, v9, v0
	s_waitcnt lgkmcnt(0)
	v_fmac_f32_e32 v52, v8, v4
	v_fmac_f32_e32 v51, v9, v4
	ds_read2_b32 v[8:9], v10 offset0:160 offset1:176
	s_waitcnt lgkmcnt(0)
	v_fmac_f32_e32 v54, v8, v1
	v_fmac_f32_e32 v53, v9, v1
	ds_read2_b32 v[0:1], v10 offset0:192 offset1:208
	v_fmac_f32_e32 v52, v8, v5
	v_fmac_f32_e32 v51, v9, v5
	s_waitcnt lgkmcnt(0)
	v_fmac_f32_e32 v54, v0, v2
	v_fmac_f32_e32 v53, v1, v2
	;; [unrolled: 1-line block ×4, first 2 shown]
	ds_read2_b32 v[0:1], v10 offset0:224 offset1:240
	s_waitcnt lgkmcnt(0)
	s_barrier
	v_fmac_f32_e32 v54, v0, v3
	v_fmac_f32_e32 v52, v0, v7
	v_mov_b32_e32 v0, s35
	v_addc_co_u32_e64 v43, s[10:11], v43, v0, s[10:11]
	v_add_co_u32_e64 v30, s[10:11], s26, v30
	v_mov_b32_e32 v0, s27
	v_addc_co_u32_e64 v31, s[10:11], v31, v0, s[10:11]
	v_add_co_u32_e64 v32, s[10:11], s26, v32
	v_fmac_f32_e32 v53, v1, v3
	v_fmac_f32_e32 v51, v1, v7
	v_addc_co_u32_e64 v33, s[10:11], v33, v0, s[10:11]
	s_cbranch_scc1 .LBB22_55
.LBB22_7:                               ;   Parent Loop BB22_4 Depth=1
                                        ; =>  This Inner Loop Header: Depth=2
	v_mov_b32_e32 v0, s43
	v_add_co_u32_e64 v2, s[10:11], s42, v18
	v_addc_co_u32_e64 v3, s[10:11], v19, v0, s[10:11]
	v_add_co_u32_e64 v0, s[10:11], v32, v28
	v_addc_co_u32_e64 v1, s[10:11], v33, v29, s[10:11]
	v_cmp_eq_u64_e64 s[10:11], s[42:43], v[24:25]
	s_and_b64 s[48:49], s[24:25], s[10:11]
	v_cmp_lt_i64_e64 s[10:11], v[2:3], v[22:23]
	v_cmp_le_i64_e64 s[12:13], s[30:31], v[2:3]
	s_or_b64 s[14:15], s[16:17], s[10:11]
	s_or_b64 s[14:15], s[12:13], s[14:15]
	;; [unrolled: 1-line block ×3, first 2 shown]
	s_xor_b64 s[14:15], s[14:15], -1
	s_and_saveexec_b64 s[18:19], s[14:15]
	s_xor_b64 s[14:15], exec, s[18:19]
	s_cbranch_execz .LBB22_9
; %bb.8:                                ;   in Loop: Header=BB22_7 Depth=2
	global_load_dword v4, v[0:1], off
	s_waitcnt vmcnt(0)
	ds_write_b32 v46, v4
.LBB22_9:                               ;   in Loop: Header=BB22_7 Depth=2
	s_or_saveexec_b64 s[14:15], s[14:15]
	s_xor_b64 s[46:47], s[48:49], -1
	s_xor_b64 exec, exec, s[14:15]
	s_cbranch_execz .LBB22_15
; %bb.10:                               ;   in Loop: Header=BB22_7 Depth=2
	s_and_saveexec_b64 s[18:19], s[46:47]
	s_xor_b64 s[18:19], exec, s[18:19]
	s_cbranch_execz .LBB22_12
; %bb.11:                               ;   in Loop: Header=BB22_7 Depth=2
	ds_write_b32 v46, v49
.LBB22_12:                              ;   in Loop: Header=BB22_7 Depth=2
	s_andn2_saveexec_b64 s[18:19], s[18:19]
	s_cbranch_execz .LBB22_14
; %bb.13:                               ;   in Loop: Header=BB22_7 Depth=2
	ds_write_b32 v46, v50
.LBB22_14:                              ;   in Loop: Header=BB22_7 Depth=2
	s_or_b64 exec, exec, s[18:19]
.LBB22_15:                              ;   in Loop: Header=BB22_7 Depth=2
	s_or_b64 exec, exec, s[14:15]
	v_add_co_u32_e64 v4, s[14:15], 16, v2
	v_addc_co_u32_e64 v5, s[14:15], 0, v3, s[14:15]
	v_cmp_eq_u64_e64 s[14:15], s[42:43], v[40:41]
	v_cmp_lt_i64_e64 s[18:19], v[4:5], v[22:23]
	s_and_b64 s[50:51], s[24:25], s[14:15]
	v_cmp_le_i64_e64 s[14:15], s[30:31], v[4:5]
	s_or_b64 s[18:19], s[16:17], s[18:19]
	s_or_b64 s[18:19], s[14:15], s[18:19]
	;; [unrolled: 1-line block ×3, first 2 shown]
	s_xor_b64 s[18:19], s[18:19], -1
	s_and_saveexec_b64 s[52:53], s[18:19]
	s_xor_b64 s[52:53], exec, s[52:53]
	s_cbranch_execz .LBB22_17
; %bb.16:                               ;   in Loop: Header=BB22_7 Depth=2
	v_add_co_u32_e64 v4, s[18:19], v30, v28
	v_addc_co_u32_e64 v5, s[18:19], v31, v29, s[18:19]
	global_load_dword v4, v[4:5], off
	s_waitcnt vmcnt(0)
	ds_write_b32 v46, v4 offset:64
.LBB22_17:                              ;   in Loop: Header=BB22_7 Depth=2
	s_andn2_saveexec_b64 s[18:19], s[52:53]
	s_cbranch_execz .LBB22_23
; %bb.18:                               ;   in Loop: Header=BB22_7 Depth=2
	s_xor_b64 s[50:51], s[50:51], -1
	s_and_saveexec_b64 s[52:53], s[50:51]
	s_xor_b64 s[50:51], exec, s[52:53]
	s_cbranch_execz .LBB22_20
; %bb.19:                               ;   in Loop: Header=BB22_7 Depth=2
	ds_write_b32 v46, v49 offset:64
.LBB22_20:                              ;   in Loop: Header=BB22_7 Depth=2
	s_andn2_saveexec_b64 s[50:51], s[50:51]
	s_cbranch_execz .LBB22_22
; %bb.21:                               ;   in Loop: Header=BB22_7 Depth=2
	ds_write_b32 v46, v50 offset:64
.LBB22_22:                              ;   in Loop: Header=BB22_7 Depth=2
	s_or_b64 exec, exec, s[50:51]
.LBB22_23:                              ;   in Loop: Header=BB22_7 Depth=2
	s_or_b64 exec, exec, s[18:19]
	v_cmp_eq_u64_e64 s[18:19], s[42:43], v[38:39]
	s_and_b64 s[50:51], s[24:25], s[18:19]
	v_cmp_lt_i64_e64 s[18:19], v[2:3], v[36:37]
	s_or_b64 s[18:19], s[8:9], s[18:19]
	s_or_b64 s[18:19], s[18:19], s[50:51]
	s_or_b64 s[12:13], s[12:13], s[18:19]
	s_xor_b64 s[12:13], s[12:13], -1
	s_and_saveexec_b64 s[18:19], s[12:13]
	s_xor_b64 s[12:13], exec, s[18:19]
	s_cbranch_execz .LBB22_25
; %bb.24:                               ;   in Loop: Header=BB22_7 Depth=2
	global_load_dword v0, v[0:1], off offset:64
	s_waitcnt vmcnt(0)
	ds_write_b32 v46, v0 offset:2048
.LBB22_25:                              ;   in Loop: Header=BB22_7 Depth=2
	s_andn2_saveexec_b64 s[12:13], s[12:13]
	s_cbranch_execz .LBB22_31
; %bb.26:                               ;   in Loop: Header=BB22_7 Depth=2
	s_xor_b64 s[18:19], s[50:51], -1
	s_and_saveexec_b64 s[50:51], s[18:19]
	s_xor_b64 s[18:19], exec, s[50:51]
	s_cbranch_execz .LBB22_28
; %bb.27:                               ;   in Loop: Header=BB22_7 Depth=2
	ds_write_b32 v46, v49 offset:2048
.LBB22_28:                              ;   in Loop: Header=BB22_7 Depth=2
	s_andn2_saveexec_b64 s[18:19], s[18:19]
	s_cbranch_execz .LBB22_30
; %bb.29:                               ;   in Loop: Header=BB22_7 Depth=2
	ds_write_b32 v46, v50 offset:2048
.LBB22_30:                              ;   in Loop: Header=BB22_7 Depth=2
	s_or_b64 exec, exec, s[18:19]
.LBB22_31:                              ;   in Loop: Header=BB22_7 Depth=2
	s_or_b64 exec, exec, s[12:13]
	s_or_b64 s[10:11], s[8:9], s[10:11]
	s_or_b64 s[10:11], s[14:15], s[10:11]
	;; [unrolled: 1-line block ×3, first 2 shown]
	s_xor_b64 s[10:11], s[10:11], -1
	s_and_saveexec_b64 s[12:13], s[10:11]
	s_xor_b64 s[12:13], exec, s[12:13]
	s_cbranch_execz .LBB22_33
; %bb.32:                               ;   in Loop: Header=BB22_7 Depth=2
	v_add_co_u32_e64 v0, s[10:11], v30, v28
	v_addc_co_u32_e64 v1, s[10:11], v31, v29, s[10:11]
	global_load_dword v0, v[0:1], off offset:64
	s_waitcnt vmcnt(0)
	ds_write_b32 v46, v0 offset:2112
.LBB22_33:                              ;   in Loop: Header=BB22_7 Depth=2
	s_andn2_saveexec_b64 s[10:11], s[12:13]
	s_cbranch_execz .LBB22_39
; %bb.34:                               ;   in Loop: Header=BB22_7 Depth=2
	s_and_saveexec_b64 s[12:13], s[46:47]
	s_xor_b64 s[12:13], exec, s[12:13]
	s_cbranch_execz .LBB22_36
; %bb.35:                               ;   in Loop: Header=BB22_7 Depth=2
	ds_write_b32 v46, v49 offset:2112
.LBB22_36:                              ;   in Loop: Header=BB22_7 Depth=2
	s_andn2_saveexec_b64 s[12:13], s[12:13]
	s_cbranch_execz .LBB22_38
; %bb.37:                               ;   in Loop: Header=BB22_7 Depth=2
	ds_write_b32 v46, v50 offset:2112
.LBB22_38:                              ;   in Loop: Header=BB22_7 Depth=2
	s_or_b64 exec, exec, s[12:13]
.LBB22_39:                              ;   in Loop: Header=BB22_7 Depth=2
	s_or_b64 exec, exec, s[10:11]
	v_mov_b32_e32 v1, s43
	v_add_co_u32_e64 v0, s[10:11], s42, v20
	v_addc_co_u32_e64 v1, s[10:11], v21, v1, s[10:11]
	v_add_co_u32_e64 v2, s[10:11], v42, v26
	v_addc_co_u32_e64 v3, s[10:11], v43, v27, s[10:11]
	v_cmp_le_i64_e64 s[10:11], s[30:31], v[0:1]
	s_or_b64 s[12:13], s[10:11], vcc
	s_xor_b64 s[12:13], s[12:13], -1
	s_and_saveexec_b64 s[14:15], s[12:13]
	s_xor_b64 s[12:13], exec, s[14:15]
	s_cbranch_execz .LBB22_41
; %bb.40:                               ;   in Loop: Header=BB22_7 Depth=2
	global_load_dword v4, v[2:3], off offset:-64
	s_waitcnt vmcnt(0)
	ds_write_b32 v48, v4
.LBB22_41:                              ;   in Loop: Header=BB22_7 Depth=2
	s_andn2_saveexec_b64 s[12:13], s[12:13]
	s_cbranch_execz .LBB22_43
; %bb.42:                               ;   in Loop: Header=BB22_7 Depth=2
	ds_write_b32 v48, v49
.LBB22_43:                              ;   in Loop: Header=BB22_7 Depth=2
	s_or_b64 exec, exec, s[12:13]
	s_or_b64 s[10:11], s[10:11], s[0:1]
	s_xor_b64 s[10:11], s[10:11], -1
	s_and_saveexec_b64 s[12:13], s[10:11]
	s_xor_b64 s[10:11], exec, s[12:13]
	s_cbranch_execz .LBB22_45
; %bb.44:                               ;   in Loop: Header=BB22_7 Depth=2
	global_load_dword v2, v[2:3], off
	s_waitcnt vmcnt(0)
	ds_write_b32 v48, v2 offset:64
.LBB22_45:                              ;   in Loop: Header=BB22_7 Depth=2
	s_andn2_saveexec_b64 s[10:11], s[10:11]
	s_cbranch_execz .LBB22_47
; %bb.46:                               ;   in Loop: Header=BB22_7 Depth=2
	ds_write_b32 v48, v49 offset:64
.LBB22_47:                              ;   in Loop: Header=BB22_7 Depth=2
	s_or_b64 exec, exec, s[10:11]
	v_cmp_le_i64_e64 s[10:11], s[38:39], v[0:1]
	s_or_b64 s[12:13], s[10:11], vcc
	s_xor_b64 s[12:13], s[12:13], -1
	s_and_saveexec_b64 s[14:15], s[12:13]
	s_xor_b64 s[14:15], exec, s[14:15]
	s_cbranch_execz .LBB22_49
; %bb.48:                               ;   in Loop: Header=BB22_7 Depth=2
	v_add_co_u32_e64 v0, s[12:13], v42, v34
	v_addc_co_u32_e64 v1, s[12:13], v43, v35, s[12:13]
	global_load_dword v0, v[0:1], off offset:-64
	s_waitcnt vmcnt(0)
	ds_write_b32 v48, v0 offset:2048
.LBB22_49:                              ;   in Loop: Header=BB22_7 Depth=2
	s_andn2_saveexec_b64 s[12:13], s[14:15]
	s_cbranch_execz .LBB22_51
; %bb.50:                               ;   in Loop: Header=BB22_7 Depth=2
	ds_write_b32 v48, v49 offset:2048
.LBB22_51:                              ;   in Loop: Header=BB22_7 Depth=2
	s_or_b64 exec, exec, s[12:13]
	s_or_b64 s[10:11], s[10:11], s[0:1]
	s_xor_b64 s[10:11], s[10:11], -1
	s_and_saveexec_b64 s[12:13], s[10:11]
	s_xor_b64 s[12:13], exec, s[12:13]
	s_cbranch_execz .LBB22_53
; %bb.52:                               ;   in Loop: Header=BB22_7 Depth=2
	v_add_co_u32_e64 v0, s[10:11], v42, v34
	v_addc_co_u32_e64 v1, s[10:11], v43, v35, s[10:11]
	global_load_dword v0, v[0:1], off
	s_waitcnt vmcnt(0)
	ds_write_b32 v48, v0 offset:2112
.LBB22_53:                              ;   in Loop: Header=BB22_7 Depth=2
	s_andn2_saveexec_b64 s[10:11], s[12:13]
	s_cbranch_execz .LBB22_6
; %bb.54:                               ;   in Loop: Header=BB22_7 Depth=2
	ds_write_b32 v48, v49 offset:2112
	s_branch .LBB22_6
.LBB22_55:                              ;   in Loop: Header=BB22_4 Depth=1
	v_mul_lo_u32 v2, v23, s44
	v_mul_lo_u32 v3, v22, s45
	v_mad_u64_u32 v[0:1], s[10:11], v22, s44, 0
	v_add3_u32 v1, v1, v3, v2
	v_lshlrev_b64 v[0:1], 2, v[0:1]
	v_mov_b32_e32 v2, s57
	v_add_co_u32_e64 v0, s[10:11], s56, v0
	v_cmp_gt_i32_e64 s[8:9], s30, v22
	v_addc_co_u32_e64 v1, s[10:11], v2, v1, s[10:11]
	s_and_b64 s[10:11], s[2:3], s[8:9]
	s_and_saveexec_b64 s[12:13], s[10:11]
	s_cbranch_execz .LBB22_57
; %bb.56:                               ;   in Loop: Header=BB22_4 Depth=1
	v_add_co_u32_e64 v2, s[10:11], v0, v12
	v_addc_co_u32_e64 v3, s[10:11], v1, v13, s[10:11]
	global_load_dword v4, v[2:3], off
	s_waitcnt vmcnt(0)
	v_fmac_f32_e32 v4, s33, v54
	global_store_dword v[2:3], v4, off
.LBB22_57:                              ;   in Loop: Header=BB22_4 Depth=1
	s_or_b64 exec, exec, s[12:13]
	s_and_b64 s[8:9], s[4:5], s[8:9]
	s_and_saveexec_b64 s[10:11], s[8:9]
	s_cbranch_execz .LBB22_59
; %bb.58:                               ;   in Loop: Header=BB22_4 Depth=1
	v_lshlrev_b64 v[2:3], 2, v[16:17]
	v_add_co_u32_e64 v0, s[8:9], v0, v2
	v_addc_co_u32_e64 v1, s[8:9], v1, v3, s[8:9]
	global_load_dword v2, v[0:1], off
	s_waitcnt vmcnt(0)
	v_fmac_f32_e32 v2, s33, v53
	global_store_dword v[0:1], v2, off
.LBB22_59:                              ;   in Loop: Header=BB22_4 Depth=1
	s_or_b64 exec, exec, s[10:11]
	v_add_u32_e32 v0, 16, v22
	v_ashrrev_i32_e32 v1, 31, v0
	v_cmp_gt_i32_e64 s[8:9], s30, v0
	v_mul_lo_u32 v2, v1, s44
	v_mul_lo_u32 v3, v0, s45
	v_mad_u64_u32 v[0:1], s[10:11], v0, s44, 0
	v_add3_u32 v1, v1, v3, v2
	v_lshlrev_b64 v[0:1], 2, v[0:1]
	v_mov_b32_e32 v2, s57
	v_add_co_u32_e64 v0, s[10:11], s56, v0
	v_addc_co_u32_e64 v1, s[10:11], v2, v1, s[10:11]
	s_and_b64 s[10:11], s[2:3], s[8:9]
	s_and_saveexec_b64 s[12:13], s[10:11]
	s_cbranch_execz .LBB22_61
; %bb.60:                               ;   in Loop: Header=BB22_4 Depth=1
	v_add_co_u32_e64 v2, s[10:11], v0, v12
	v_addc_co_u32_e64 v3, s[10:11], v1, v13, s[10:11]
	global_load_dword v4, v[2:3], off
	s_waitcnt vmcnt(0)
	v_fmac_f32_e32 v4, s33, v52
	global_store_dword v[2:3], v4, off
.LBB22_61:                              ;   in Loop: Header=BB22_4 Depth=1
	s_or_b64 exec, exec, s[12:13]
	s_and_b64 s[8:9], s[4:5], s[8:9]
	s_and_saveexec_b64 s[10:11], s[8:9]
	s_cbranch_execz .LBB22_3
; %bb.62:                               ;   in Loop: Header=BB22_4 Depth=1
	v_lshlrev_b64 v[2:3], 2, v[16:17]
	v_add_co_u32_e64 v0, s[8:9], v0, v2
	v_addc_co_u32_e64 v1, s[8:9], v1, v3, s[8:9]
	global_load_dword v2, v[0:1], off
	s_waitcnt vmcnt(0)
	v_fmac_f32_e32 v2, s33, v51
	global_store_dword v[0:1], v2, off
	s_branch .LBB22_3
.LBB22_63:
	s_endpgm
	.section	.rodata,"a",@progbits
	.p2align	6, 0x0
	.amdhsa_kernel _ZL30rocblas_trmm_outofplace_kernelIfLi32ELi2ELb0ELb1ELb1ELb1EPKfS0_fEv17rocblas_diagonal_iiT6_lPT7_lllS5_lllPT8_llli
		.amdhsa_group_segment_fixed_size 8192
		.amdhsa_private_segment_fixed_size 0
		.amdhsa_kernarg_size 392
		.amdhsa_user_sgpr_count 6
		.amdhsa_user_sgpr_private_segment_buffer 1
		.amdhsa_user_sgpr_dispatch_ptr 0
		.amdhsa_user_sgpr_queue_ptr 0
		.amdhsa_user_sgpr_kernarg_segment_ptr 1
		.amdhsa_user_sgpr_dispatch_id 0
		.amdhsa_user_sgpr_flat_scratch_init 0
		.amdhsa_user_sgpr_kernarg_preload_length 0
		.amdhsa_user_sgpr_kernarg_preload_offset 0
		.amdhsa_user_sgpr_private_segment_size 0
		.amdhsa_uses_dynamic_stack 0
		.amdhsa_system_sgpr_private_segment_wavefront_offset 0
		.amdhsa_system_sgpr_workgroup_id_x 1
		.amdhsa_system_sgpr_workgroup_id_y 1
		.amdhsa_system_sgpr_workgroup_id_z 1
		.amdhsa_system_sgpr_workgroup_info 0
		.amdhsa_system_vgpr_workitem_id 1
		.amdhsa_next_free_vgpr 66
		.amdhsa_next_free_sgpr 59
		.amdhsa_accum_offset 68
		.amdhsa_reserve_vcc 1
		.amdhsa_reserve_flat_scratch 0
		.amdhsa_float_round_mode_32 0
		.amdhsa_float_round_mode_16_64 0
		.amdhsa_float_denorm_mode_32 3
		.amdhsa_float_denorm_mode_16_64 3
		.amdhsa_dx10_clamp 1
		.amdhsa_ieee_mode 1
		.amdhsa_fp16_overflow 0
		.amdhsa_tg_split 0
		.amdhsa_exception_fp_ieee_invalid_op 0
		.amdhsa_exception_fp_denorm_src 0
		.amdhsa_exception_fp_ieee_div_zero 0
		.amdhsa_exception_fp_ieee_overflow 0
		.amdhsa_exception_fp_ieee_underflow 0
		.amdhsa_exception_fp_ieee_inexact 0
		.amdhsa_exception_int_div_zero 0
	.end_amdhsa_kernel
	.section	.text._ZL30rocblas_trmm_outofplace_kernelIfLi32ELi2ELb0ELb1ELb1ELb1EPKfS0_fEv17rocblas_diagonal_iiT6_lPT7_lllS5_lllPT8_llli,"axG",@progbits,_ZL30rocblas_trmm_outofplace_kernelIfLi32ELi2ELb0ELb1ELb1ELb1EPKfS0_fEv17rocblas_diagonal_iiT6_lPT7_lllS5_lllPT8_llli,comdat
.Lfunc_end22:
	.size	_ZL30rocblas_trmm_outofplace_kernelIfLi32ELi2ELb0ELb1ELb1ELb1EPKfS0_fEv17rocblas_diagonal_iiT6_lPT7_lllS5_lllPT8_llli, .Lfunc_end22-_ZL30rocblas_trmm_outofplace_kernelIfLi32ELi2ELb0ELb1ELb1ELb1EPKfS0_fEv17rocblas_diagonal_iiT6_lPT7_lllS5_lllPT8_llli
                                        ; -- End function
	.section	.AMDGPU.csdata,"",@progbits
; Kernel info:
; codeLenInByte = 3256
; NumSgprs: 63
; NumVgprs: 66
; NumAgprs: 0
; TotalNumVgprs: 66
; ScratchSize: 0
; MemoryBound: 0
; FloatMode: 240
; IeeeMode: 1
; LDSByteSize: 8192 bytes/workgroup (compile time only)
; SGPRBlocks: 7
; VGPRBlocks: 8
; NumSGPRsForWavesPerEU: 63
; NumVGPRsForWavesPerEU: 66
; AccumOffset: 68
; Occupancy: 7
; WaveLimiterHint : 0
; COMPUTE_PGM_RSRC2:SCRATCH_EN: 0
; COMPUTE_PGM_RSRC2:USER_SGPR: 6
; COMPUTE_PGM_RSRC2:TRAP_HANDLER: 0
; COMPUTE_PGM_RSRC2:TGID_X_EN: 1
; COMPUTE_PGM_RSRC2:TGID_Y_EN: 1
; COMPUTE_PGM_RSRC2:TGID_Z_EN: 1
; COMPUTE_PGM_RSRC2:TIDIG_COMP_CNT: 1
; COMPUTE_PGM_RSRC3_GFX90A:ACCUM_OFFSET: 16
; COMPUTE_PGM_RSRC3_GFX90A:TG_SPLIT: 0
	.section	.text._ZL30rocblas_trmm_outofplace_kernelIfLi32ELi2ELb0ELb1ELb1ELb1EfKffEv17rocblas_diagonal_iiT6_lPT7_lllS4_lllPT8_llli,"axG",@progbits,_ZL30rocblas_trmm_outofplace_kernelIfLi32ELi2ELb0ELb1ELb1ELb1EfKffEv17rocblas_diagonal_iiT6_lPT7_lllS4_lllPT8_llli,comdat
	.globl	_ZL30rocblas_trmm_outofplace_kernelIfLi32ELi2ELb0ELb1ELb1ELb1EfKffEv17rocblas_diagonal_iiT6_lPT7_lllS4_lllPT8_llli ; -- Begin function _ZL30rocblas_trmm_outofplace_kernelIfLi32ELi2ELb0ELb1ELb1ELb1EfKffEv17rocblas_diagonal_iiT6_lPT7_lllS4_lllPT8_llli
	.p2align	8
	.type	_ZL30rocblas_trmm_outofplace_kernelIfLi32ELi2ELb0ELb1ELb1ELb1EfKffEv17rocblas_diagonal_iiT6_lPT7_lllS4_lllPT8_llli,@function
_ZL30rocblas_trmm_outofplace_kernelIfLi32ELi2ELb0ELb1ELb1ELb1EfKffEv17rocblas_diagonal_iiT6_lPT7_lllS4_lllPT8_llli: ; @_ZL30rocblas_trmm_outofplace_kernelIfLi32ELi2ELb0ELb1ELb1ELb1EfKffEv17rocblas_diagonal_iiT6_lPT7_lllS4_lllPT8_llli
; %bb.0:
	s_load_dwordx4 s[44:47], s[4:5], 0x0
	s_waitcnt lgkmcnt(0)
	v_cmp_eq_f32_e64 s[0:1], s47, 0
	s_and_b64 vcc, exec, s[0:1]
	s_cbranch_vccnz .LBB23_63
; %bb.1:
	s_add_i32 s0, s46, -1
	s_ashr_i32 s1, s0, 31
	s_lshr_b32 s1, s1, 27
	s_add_i32 s0, s0, s1
	s_ashr_i32 s33, s0, 5
	s_cmp_gt_i32 s7, s33
	s_cbranch_scc1 .LBB23_63
; %bb.2:
	s_load_dwordx16 s[16:31], s[4:5], 0x18
	s_load_dwordx8 s[36:43], s[4:5], 0x58
	v_and_b32_e32 v4, 0x3ff, v0
	v_bfe_u32 v44, v0, 10, 10
	v_lshl_add_u32 v0, s6, 5, v4
	s_waitcnt lgkmcnt(0)
	s_mul_i32 s1, s8, s31
	s_mul_hi_u32 s2, s8, s30
	s_mul_i32 s0, s8, s30
	s_add_i32 s1, s2, s1
	s_lshl_b64 s[0:1], s[0:1], 2
	s_add_u32 s2, s24, s0
	s_addc_u32 s3, s25, s1
	s_lshl_b64 s[0:1], s[26:27], 2
	s_add_u32 s2, s2, s0
	s_addc_u32 s3, s3, s1
	s_mul_i32 s0, s8, s43
	s_mul_hi_u32 s1, s8, s42
	s_add_i32 s1, s1, s0
	s_mul_i32 s0, s8, s42
	s_lshl_b64 s[0:1], s[0:1], 2
	s_add_u32 s9, s36, s0
	s_addc_u32 s10, s37, s1
	s_lshl_b64 s[0:1], s[38:39], 2
	s_add_u32 s56, s9, s0
	s_addc_u32 s57, s10, s1
	s_cmpk_eq_i32 s44, 0x84
	s_cselect_b64 s[24:25], -1, 0
	s_ashr_i32 s27, s46, 31
	s_ashr_i32 s0, s45, 31
	s_lshl_b64 s[30:31], s[20:21], 7
	s_lshl_b64 s[34:35], s[28:29], 7
	s_load_dword s6, s[4:5], 0x84
	s_add_u32 s36, s46, -16
	v_ashrrev_i32_e32 v1, 31, v0
	s_addc_u32 s37, s27, -1
	s_lshl_b32 s9, s7, 5
	v_lshlrev_b64 v[12:13], 2, v[0:1]
	v_add_u32_e32 v18, s9, v4
	v_add_u32_e32 v20, s9, v44
	s_mul_i32 s9, s23, s8
	s_mul_hi_u32 s10, s22, s8
	v_mov_b32_e32 v2, s3
	v_add_co_u32_e32 v14, vcc, s2, v12
	s_add_i32 s9, s10, s9
	s_mul_i32 s8, s22, s8
	v_addc_co_u32_e32 v15, vcc, v2, v13, vcc
	s_waitcnt lgkmcnt(0)
	s_lshl_b32 s58, s6, 5
	s_lshl_b64 s[38:39], s[28:29], 2
	s_lshl_b64 s[8:9], s[8:9], 2
	;; [unrolled: 1-line block ×3, first 2 shown]
	v_mov_b32_e32 v3, s0
	v_sub_co_u32_e32 v2, vcc, s45, v0
	s_add_u32 s8, s8, s10
	v_subb_co_u32_e32 v3, vcc, v3, v1, vcc
	v_lshlrev_b32_e32 v1, 2, v4
	s_addc_u32 s9, s9, s11
	v_lshlrev_b32_e32 v45, 7, v44
	v_or_b32_e32 v47, 0x1000, v1
	v_add_u32_e32 v16, 16, v0
	s_add_u32 s22, s16, s8
	s_mov_b32 s26, s46
	v_add_u32_e32 v46, v45, v1
	v_cmp_gt_i64_e32 vcc, 1, v[2:3]
	v_add_u32_e32 v48, v47, v45
	v_cmp_gt_i64_e64 s[0:1], 17, v[2:3]
	v_cmp_gt_i32_e64 s[2:3], s45, v0
	v_cmp_gt_i32_e64 s[4:5], s45, v16
	v_ashrrev_i32_e32 v17, 31, v16
	s_addc_u32 s23, s17, s9
	s_lshl_b64 s[42:43], s[20:21], 2
	v_mov_b32_e32 v49, 0
	v_mov_b32_e32 v50, 1.0
	s_branch .LBB23_4
.LBB23_3:                               ;   in Loop: Header=BB23_4 Depth=1
	s_or_b64 exec, exec, s[10:11]
	s_add_i32 s7, s6, s7
	v_add_u32_e32 v18, s58, v18
	s_cmp_le_i32 s7, s33
	v_add_u32_e32 v20, s58, v20
	s_cbranch_scc0 .LBB23_63
.LBB23_4:                               ; =>This Loop Header: Depth=1
                                        ;     Child Loop BB23_7 Depth 2
	s_lshl_b32 s8, s7, 5
	v_add_u32_e32 v22, s8, v44
	s_sub_i32 s59, s46, s8
	v_ashrrev_i32_e32 v19, 31, v18
	v_ashrrev_i32_e32 v21, 31, v20
	;; [unrolled: 1-line block ×3, first 2 shown]
	s_cmp_lt_i32 s59, 1
	v_mov_b32_e32 v54, 0
	v_mov_b32_e32 v53, 0
	;; [unrolled: 1-line block ×4, first 2 shown]
	s_cbranch_scc1 .LBB23_55
; %bb.5:                                ;   in Loop: Header=BB23_4 Depth=1
	v_sub_co_u32_e64 v24, s[8:9], v20, v18
	v_subb_co_u32_e64 v25, s[8:9], v21, v19, s[8:9]
	v_mad_u64_u32 v[26:27], s[8:9], s38, v20, 64
	v_mul_lo_u32 v0, s38, v21
	v_mul_lo_u32 v1, s39, v20
	v_add3_u32 v27, v1, v27, v0
	v_lshlrev_b64 v[0:1], 2, v[18:19]
	v_add_co_u32_e64 v2, s[8:9], 64, v0
	v_addc_co_u32_e64 v0, s[8:9], 0, v1, s[8:9]
	v_mul_lo_u32 v3, s20, v0
	v_pk_mov_b32 v[0:1], s[22:23], s[22:23] op_sel:[0,1]
	v_lshlrev_b64 v[28:29], 2, v[20:21]
	v_mad_u64_u32 v[30:31], s[8:9], s20, v2, v[0:1]
	v_mad_u64_u32 v[32:33], s[8:9], s42, v18, v[0:1]
	v_mul_lo_u32 v0, s42, v19
	v_mul_lo_u32 v1, s43, v18
	v_add3_u32 v33, v1, v33, v0
	v_add_co_u32_e64 v0, s[8:9], 64, v28
	v_addc_co_u32_e64 v1, s[8:9], 0, v29, s[8:9]
	v_mad_u64_u32 v[34:35], s[8:9], s28, v0, 64
	v_add_co_u32_e64 v38, s[10:11], 16, v24
	v_add_co_u32_e64 v36, s[8:9], 16, v22
	v_addc_co_u32_e64 v39, s[10:11], 0, v25, s[10:11]
	v_mul_lo_u32 v4, s21, v2
	v_mul_lo_u32 v1, s28, v1
	;; [unrolled: 1-line block ×3, first 2 shown]
	v_addc_co_u32_e64 v37, s[8:9], 0, v23, s[8:9]
	v_add_co_u32_e64 v40, s[10:11], -16, v24
	v_add3_u32 v31, v4, v31, v3
	v_add3_u32 v35, v2, v35, v1
	v_cmp_le_i32_e64 s[16:17], s46, v22
	v_cmp_le_i64_e64 s[8:9], s[26:27], v[36:37]
	v_addc_co_u32_e64 v41, s[10:11], -1, v25, s[10:11]
	s_mov_b64 s[44:45], 0
	v_mov_b32_e32 v51, 0
	v_pk_mov_b32 v[42:43], v[14:15], v[14:15] op_sel:[0,1]
	v_mov_b32_e32 v52, 0
	v_mov_b32_e32 v53, 0
	;; [unrolled: 1-line block ×3, first 2 shown]
	s_branch .LBB23_7
.LBB23_6:                               ;   in Loop: Header=BB23_7 Depth=2
	s_or_b64 exec, exec, s[10:11]
	s_waitcnt lgkmcnt(0)
	s_barrier
	ds_read_b128 v[56:59], v45
	ds_read_b128 v[8:11], v45 offset:16
	ds_read_b128 v[4:7], v45 offset:32
	;; [unrolled: 1-line block ×3, first 2 shown]
	ds_read2_b32 v[64:65], v47 offset1:16
	ds_read_b128 v[60:63], v45 offset:2048
	v_add_u32_e32 v55, 0x400, v47
	v_add_co_u32_e64 v42, s[10:11], s34, v42
	s_waitcnt lgkmcnt(1)
	v_fmac_f32_e32 v54, v64, v56
	v_fmac_f32_e32 v53, v65, v56
	s_waitcnt lgkmcnt(0)
	v_fmac_f32_e32 v52, v64, v60
	v_fmac_f32_e32 v51, v65, v60
	ds_read2_b32 v[64:65], v47 offset0:32 offset1:48
	s_add_u32 s44, s44, 32
	s_addc_u32 s45, s45, 0
	s_cmp_ge_i32 s44, s59
	s_waitcnt lgkmcnt(0)
	v_fmac_f32_e32 v54, v64, v57
	v_fmac_f32_e32 v53, v65, v57
	ds_read2_b32 v[56:57], v47 offset0:64 offset1:80
	v_fmac_f32_e32 v52, v64, v61
	v_fmac_f32_e32 v51, v65, v61
	ds_read2_b32 v[60:61], v47 offset0:128 offset1:144
	s_waitcnt lgkmcnt(1)
	v_fmac_f32_e32 v54, v56, v58
	v_fmac_f32_e32 v53, v57, v58
	;; [unrolled: 1-line block ×4, first 2 shown]
	ds_read2_b32 v[56:57], v47 offset0:96 offset1:112
	s_waitcnt lgkmcnt(0)
	v_fmac_f32_e32 v54, v56, v59
	v_fmac_f32_e32 v53, v57, v59
	;; [unrolled: 1-line block ×4, first 2 shown]
	ds_read_b128 v[56:59], v45 offset:2064
	v_fmac_f32_e32 v54, v60, v8
	v_fmac_f32_e32 v53, v61, v8
	s_waitcnt lgkmcnt(0)
	v_fmac_f32_e32 v52, v60, v56
	v_fmac_f32_e32 v51, v61, v56
	ds_read2_b32 v[60:61], v47 offset0:160 offset1:176
	s_waitcnt lgkmcnt(0)
	v_fmac_f32_e32 v54, v60, v9
	v_fmac_f32_e32 v53, v61, v9
	ds_read2_b32 v[8:9], v47 offset0:192 offset1:208
	v_fmac_f32_e32 v52, v60, v57
	v_fmac_f32_e32 v51, v61, v57
	ds_read2_b32 v[56:57], v55 offset1:16
	s_waitcnt lgkmcnt(1)
	v_fmac_f32_e32 v54, v8, v10
	v_fmac_f32_e32 v53, v9, v10
	;; [unrolled: 1-line block ×4, first 2 shown]
	ds_read2_b32 v[8:9], v47 offset0:224 offset1:240
	s_waitcnt lgkmcnt(0)
	v_fmac_f32_e32 v54, v8, v11
	v_fmac_f32_e32 v53, v9, v11
	;; [unrolled: 1-line block ×4, first 2 shown]
	ds_read_b128 v[8:11], v45 offset:2080
	v_fmac_f32_e32 v54, v56, v4
	v_fmac_f32_e32 v53, v57, v4
	s_waitcnt lgkmcnt(0)
	v_fmac_f32_e32 v52, v56, v8
	v_fmac_f32_e32 v51, v57, v8
	ds_read2_b32 v[56:57], v55 offset0:32 offset1:48
	s_waitcnt lgkmcnt(0)
	v_fmac_f32_e32 v54, v56, v5
	v_fmac_f32_e32 v53, v57, v5
	ds_read2_b32 v[4:5], v55 offset0:64 offset1:80
	v_fmac_f32_e32 v52, v56, v9
	v_fmac_f32_e32 v51, v57, v9
	ds_read2_b32 v[8:9], v55 offset0:128 offset1:144
	s_waitcnt lgkmcnt(1)
	v_fmac_f32_e32 v54, v4, v6
	v_fmac_f32_e32 v53, v5, v6
	;; [unrolled: 1-line block ×4, first 2 shown]
	ds_read2_b32 v[4:5], v55 offset0:96 offset1:112
	v_add_u32_e32 v10, 0x800, v47
	s_waitcnt lgkmcnt(0)
	v_fmac_f32_e32 v54, v4, v7
	v_fmac_f32_e32 v53, v5, v7
	;; [unrolled: 1-line block ×4, first 2 shown]
	ds_read_b128 v[4:7], v45 offset:2096
	v_fmac_f32_e32 v54, v8, v0
	v_fmac_f32_e32 v53, v9, v0
	s_waitcnt lgkmcnt(0)
	v_fmac_f32_e32 v52, v8, v4
	v_fmac_f32_e32 v51, v9, v4
	ds_read2_b32 v[8:9], v55 offset0:160 offset1:176
	s_waitcnt lgkmcnt(0)
	v_fmac_f32_e32 v54, v8, v1
	v_fmac_f32_e32 v53, v9, v1
	ds_read2_b32 v[0:1], v55 offset0:192 offset1:208
	v_fmac_f32_e32 v52, v8, v5
	v_fmac_f32_e32 v51, v9, v5
	ds_read2_b32 v[8:9], v10 offset1:16
	s_waitcnt lgkmcnt(1)
	v_fmac_f32_e32 v54, v0, v2
	v_fmac_f32_e32 v53, v1, v2
	;; [unrolled: 1-line block ×4, first 2 shown]
	ds_read2_b32 v[0:1], v55 offset0:224 offset1:240
	s_waitcnt lgkmcnt(0)
	v_fmac_f32_e32 v54, v0, v3
	v_fmac_f32_e32 v53, v1, v3
	;; [unrolled: 1-line block ×4, first 2 shown]
	ds_read_b128 v[0:3], v45 offset:64
	ds_read_b128 v[4:7], v45 offset:2112
	s_waitcnt lgkmcnt(1)
	v_fmac_f32_e32 v54, v8, v0
	v_fmac_f32_e32 v53, v9, v0
	s_waitcnt lgkmcnt(0)
	v_fmac_f32_e32 v52, v8, v4
	v_fmac_f32_e32 v51, v9, v4
	ds_read2_b32 v[8:9], v10 offset0:32 offset1:48
	s_waitcnt lgkmcnt(0)
	v_fmac_f32_e32 v54, v8, v1
	v_fmac_f32_e32 v53, v9, v1
	ds_read2_b32 v[0:1], v10 offset0:64 offset1:80
	v_fmac_f32_e32 v52, v8, v5
	v_fmac_f32_e32 v51, v9, v5
	s_waitcnt lgkmcnt(0)
	v_fmac_f32_e32 v54, v0, v2
	v_fmac_f32_e32 v53, v1, v2
	;; [unrolled: 1-line block ×4, first 2 shown]
	ds_read2_b32 v[0:1], v10 offset0:96 offset1:112
	s_waitcnt lgkmcnt(0)
	v_fmac_f32_e32 v54, v0, v3
	v_fmac_f32_e32 v53, v1, v3
	;; [unrolled: 1-line block ×4, first 2 shown]
	ds_read_b128 v[0:3], v45 offset:80
	ds_read2_b32 v[8:9], v10 offset0:128 offset1:144
	ds_read_b128 v[4:7], v45 offset:2128
	s_waitcnt lgkmcnt(1)
	v_fmac_f32_e32 v54, v8, v0
	v_fmac_f32_e32 v53, v9, v0
	s_waitcnt lgkmcnt(0)
	v_fmac_f32_e32 v52, v8, v4
	v_fmac_f32_e32 v51, v9, v4
	ds_read2_b32 v[8:9], v10 offset0:160 offset1:176
	s_waitcnt lgkmcnt(0)
	v_fmac_f32_e32 v54, v8, v1
	v_fmac_f32_e32 v53, v9, v1
	ds_read2_b32 v[0:1], v10 offset0:192 offset1:208
	v_fmac_f32_e32 v52, v8, v5
	v_fmac_f32_e32 v51, v9, v5
	s_waitcnt lgkmcnt(0)
	v_fmac_f32_e32 v54, v0, v2
	v_fmac_f32_e32 v53, v1, v2
	;; [unrolled: 1-line block ×4, first 2 shown]
	ds_read2_b32 v[0:1], v10 offset0:224 offset1:240
	v_add_u32_e32 v10, 0xc00, v47
	ds_read2_b32 v[8:9], v10 offset1:16
	s_waitcnt lgkmcnt(1)
	v_fmac_f32_e32 v54, v0, v3
	v_fmac_f32_e32 v53, v1, v3
	;; [unrolled: 1-line block ×4, first 2 shown]
	ds_read_b128 v[0:3], v45 offset:96
	ds_read_b128 v[4:7], v45 offset:2144
	s_waitcnt lgkmcnt(1)
	v_fmac_f32_e32 v54, v8, v0
	v_fmac_f32_e32 v53, v9, v0
	s_waitcnt lgkmcnt(0)
	v_fmac_f32_e32 v52, v8, v4
	v_fmac_f32_e32 v51, v9, v4
	ds_read2_b32 v[8:9], v10 offset0:32 offset1:48
	s_waitcnt lgkmcnt(0)
	v_fmac_f32_e32 v54, v8, v1
	v_fmac_f32_e32 v53, v9, v1
	ds_read2_b32 v[0:1], v10 offset0:64 offset1:80
	v_fmac_f32_e32 v52, v8, v5
	v_fmac_f32_e32 v51, v9, v5
	s_waitcnt lgkmcnt(0)
	v_fmac_f32_e32 v54, v0, v2
	v_fmac_f32_e32 v53, v1, v2
	;; [unrolled: 1-line block ×4, first 2 shown]
	ds_read2_b32 v[0:1], v10 offset0:96 offset1:112
	s_waitcnt lgkmcnt(0)
	v_fmac_f32_e32 v54, v0, v3
	v_fmac_f32_e32 v53, v1, v3
	;; [unrolled: 1-line block ×4, first 2 shown]
	ds_read_b128 v[0:3], v45 offset:112
	ds_read2_b32 v[8:9], v10 offset0:128 offset1:144
	ds_read_b128 v[4:7], v45 offset:2160
	s_waitcnt lgkmcnt(1)
	v_fmac_f32_e32 v54, v8, v0
	v_fmac_f32_e32 v53, v9, v0
	s_waitcnt lgkmcnt(0)
	v_fmac_f32_e32 v52, v8, v4
	v_fmac_f32_e32 v51, v9, v4
	ds_read2_b32 v[8:9], v10 offset0:160 offset1:176
	s_waitcnt lgkmcnt(0)
	v_fmac_f32_e32 v54, v8, v1
	v_fmac_f32_e32 v53, v9, v1
	ds_read2_b32 v[0:1], v10 offset0:192 offset1:208
	v_fmac_f32_e32 v52, v8, v5
	v_fmac_f32_e32 v51, v9, v5
	s_waitcnt lgkmcnt(0)
	v_fmac_f32_e32 v54, v0, v2
	v_fmac_f32_e32 v53, v1, v2
	;; [unrolled: 1-line block ×4, first 2 shown]
	ds_read2_b32 v[0:1], v10 offset0:224 offset1:240
	s_waitcnt lgkmcnt(0)
	s_barrier
	v_fmac_f32_e32 v54, v0, v3
	v_fmac_f32_e32 v52, v0, v7
	v_mov_b32_e32 v0, s35
	v_addc_co_u32_e64 v43, s[10:11], v43, v0, s[10:11]
	v_add_co_u32_e64 v30, s[10:11], s30, v30
	v_mov_b32_e32 v0, s31
	v_addc_co_u32_e64 v31, s[10:11], v31, v0, s[10:11]
	v_add_co_u32_e64 v32, s[10:11], s30, v32
	v_fmac_f32_e32 v53, v1, v3
	v_fmac_f32_e32 v51, v1, v7
	v_addc_co_u32_e64 v33, s[10:11], v33, v0, s[10:11]
	s_cbranch_scc1 .LBB23_55
.LBB23_7:                               ;   Parent Loop BB23_4 Depth=1
                                        ; =>  This Inner Loop Header: Depth=2
	v_mov_b32_e32 v0, s45
	v_add_co_u32_e64 v2, s[10:11], s44, v18
	v_addc_co_u32_e64 v3, s[10:11], v19, v0, s[10:11]
	v_add_co_u32_e64 v0, s[10:11], v32, v28
	v_addc_co_u32_e64 v1, s[10:11], v33, v29, s[10:11]
	v_cmp_eq_u64_e64 s[10:11], s[44:45], v[24:25]
	s_and_b64 s[50:51], s[24:25], s[10:11]
	v_cmp_lt_i64_e64 s[10:11], v[2:3], v[22:23]
	v_cmp_le_i64_e64 s[12:13], s[26:27], v[2:3]
	s_or_b64 s[14:15], s[16:17], s[10:11]
	s_or_b64 s[14:15], s[12:13], s[14:15]
	;; [unrolled: 1-line block ×3, first 2 shown]
	s_xor_b64 s[14:15], s[14:15], -1
	s_and_saveexec_b64 s[18:19], s[14:15]
	s_xor_b64 s[14:15], exec, s[18:19]
	s_cbranch_execz .LBB23_9
; %bb.8:                                ;   in Loop: Header=BB23_7 Depth=2
	global_load_dword v4, v[0:1], off
	s_waitcnt vmcnt(0)
	ds_write_b32 v46, v4
.LBB23_9:                               ;   in Loop: Header=BB23_7 Depth=2
	s_or_saveexec_b64 s[14:15], s[14:15]
	s_xor_b64 s[48:49], s[50:51], -1
	s_xor_b64 exec, exec, s[14:15]
	s_cbranch_execz .LBB23_15
; %bb.10:                               ;   in Loop: Header=BB23_7 Depth=2
	s_and_saveexec_b64 s[18:19], s[48:49]
	s_xor_b64 s[18:19], exec, s[18:19]
	s_cbranch_execz .LBB23_12
; %bb.11:                               ;   in Loop: Header=BB23_7 Depth=2
	ds_write_b32 v46, v49
.LBB23_12:                              ;   in Loop: Header=BB23_7 Depth=2
	s_andn2_saveexec_b64 s[18:19], s[18:19]
	s_cbranch_execz .LBB23_14
; %bb.13:                               ;   in Loop: Header=BB23_7 Depth=2
	ds_write_b32 v46, v50
.LBB23_14:                              ;   in Loop: Header=BB23_7 Depth=2
	s_or_b64 exec, exec, s[18:19]
.LBB23_15:                              ;   in Loop: Header=BB23_7 Depth=2
	s_or_b64 exec, exec, s[14:15]
	v_add_co_u32_e64 v4, s[14:15], 16, v2
	v_addc_co_u32_e64 v5, s[14:15], 0, v3, s[14:15]
	v_cmp_eq_u64_e64 s[14:15], s[44:45], v[40:41]
	v_cmp_lt_i64_e64 s[18:19], v[4:5], v[22:23]
	s_and_b64 s[52:53], s[24:25], s[14:15]
	v_cmp_le_i64_e64 s[14:15], s[26:27], v[4:5]
	s_or_b64 s[18:19], s[16:17], s[18:19]
	s_or_b64 s[18:19], s[14:15], s[18:19]
	;; [unrolled: 1-line block ×3, first 2 shown]
	s_xor_b64 s[18:19], s[18:19], -1
	s_and_saveexec_b64 s[54:55], s[18:19]
	s_xor_b64 s[54:55], exec, s[54:55]
	s_cbranch_execz .LBB23_17
; %bb.16:                               ;   in Loop: Header=BB23_7 Depth=2
	v_add_co_u32_e64 v4, s[18:19], v30, v28
	v_addc_co_u32_e64 v5, s[18:19], v31, v29, s[18:19]
	global_load_dword v4, v[4:5], off
	s_waitcnt vmcnt(0)
	ds_write_b32 v46, v4 offset:64
.LBB23_17:                              ;   in Loop: Header=BB23_7 Depth=2
	s_andn2_saveexec_b64 s[18:19], s[54:55]
	s_cbranch_execz .LBB23_23
; %bb.18:                               ;   in Loop: Header=BB23_7 Depth=2
	s_xor_b64 s[52:53], s[52:53], -1
	s_and_saveexec_b64 s[54:55], s[52:53]
	s_xor_b64 s[52:53], exec, s[54:55]
	s_cbranch_execz .LBB23_20
; %bb.19:                               ;   in Loop: Header=BB23_7 Depth=2
	ds_write_b32 v46, v49 offset:64
.LBB23_20:                              ;   in Loop: Header=BB23_7 Depth=2
	s_andn2_saveexec_b64 s[52:53], s[52:53]
	s_cbranch_execz .LBB23_22
; %bb.21:                               ;   in Loop: Header=BB23_7 Depth=2
	ds_write_b32 v46, v50 offset:64
.LBB23_22:                              ;   in Loop: Header=BB23_7 Depth=2
	s_or_b64 exec, exec, s[52:53]
.LBB23_23:                              ;   in Loop: Header=BB23_7 Depth=2
	s_or_b64 exec, exec, s[18:19]
	v_cmp_eq_u64_e64 s[18:19], s[44:45], v[38:39]
	s_and_b64 s[52:53], s[24:25], s[18:19]
	v_cmp_lt_i64_e64 s[18:19], v[2:3], v[36:37]
	s_or_b64 s[18:19], s[8:9], s[18:19]
	s_or_b64 s[18:19], s[18:19], s[52:53]
	;; [unrolled: 1-line block ×3, first 2 shown]
	s_xor_b64 s[12:13], s[12:13], -1
	s_and_saveexec_b64 s[18:19], s[12:13]
	s_xor_b64 s[12:13], exec, s[18:19]
	s_cbranch_execz .LBB23_25
; %bb.24:                               ;   in Loop: Header=BB23_7 Depth=2
	global_load_dword v0, v[0:1], off offset:64
	s_waitcnt vmcnt(0)
	ds_write_b32 v46, v0 offset:2048
.LBB23_25:                              ;   in Loop: Header=BB23_7 Depth=2
	s_andn2_saveexec_b64 s[12:13], s[12:13]
	s_cbranch_execz .LBB23_31
; %bb.26:                               ;   in Loop: Header=BB23_7 Depth=2
	s_xor_b64 s[18:19], s[52:53], -1
	s_and_saveexec_b64 s[52:53], s[18:19]
	s_xor_b64 s[18:19], exec, s[52:53]
	s_cbranch_execz .LBB23_28
; %bb.27:                               ;   in Loop: Header=BB23_7 Depth=2
	ds_write_b32 v46, v49 offset:2048
.LBB23_28:                              ;   in Loop: Header=BB23_7 Depth=2
	s_andn2_saveexec_b64 s[18:19], s[18:19]
	s_cbranch_execz .LBB23_30
; %bb.29:                               ;   in Loop: Header=BB23_7 Depth=2
	ds_write_b32 v46, v50 offset:2048
.LBB23_30:                              ;   in Loop: Header=BB23_7 Depth=2
	s_or_b64 exec, exec, s[18:19]
.LBB23_31:                              ;   in Loop: Header=BB23_7 Depth=2
	s_or_b64 exec, exec, s[12:13]
	s_or_b64 s[10:11], s[8:9], s[10:11]
	s_or_b64 s[10:11], s[14:15], s[10:11]
	;; [unrolled: 1-line block ×3, first 2 shown]
	s_xor_b64 s[10:11], s[10:11], -1
	s_and_saveexec_b64 s[12:13], s[10:11]
	s_xor_b64 s[12:13], exec, s[12:13]
	s_cbranch_execz .LBB23_33
; %bb.32:                               ;   in Loop: Header=BB23_7 Depth=2
	v_add_co_u32_e64 v0, s[10:11], v30, v28
	v_addc_co_u32_e64 v1, s[10:11], v31, v29, s[10:11]
	global_load_dword v0, v[0:1], off offset:64
	s_waitcnt vmcnt(0)
	ds_write_b32 v46, v0 offset:2112
.LBB23_33:                              ;   in Loop: Header=BB23_7 Depth=2
	s_andn2_saveexec_b64 s[10:11], s[12:13]
	s_cbranch_execz .LBB23_39
; %bb.34:                               ;   in Loop: Header=BB23_7 Depth=2
	s_and_saveexec_b64 s[12:13], s[48:49]
	s_xor_b64 s[12:13], exec, s[12:13]
	s_cbranch_execz .LBB23_36
; %bb.35:                               ;   in Loop: Header=BB23_7 Depth=2
	ds_write_b32 v46, v49 offset:2112
.LBB23_36:                              ;   in Loop: Header=BB23_7 Depth=2
	s_andn2_saveexec_b64 s[12:13], s[12:13]
	s_cbranch_execz .LBB23_38
; %bb.37:                               ;   in Loop: Header=BB23_7 Depth=2
	ds_write_b32 v46, v50 offset:2112
.LBB23_38:                              ;   in Loop: Header=BB23_7 Depth=2
	s_or_b64 exec, exec, s[12:13]
.LBB23_39:                              ;   in Loop: Header=BB23_7 Depth=2
	s_or_b64 exec, exec, s[10:11]
	v_mov_b32_e32 v1, s45
	v_add_co_u32_e64 v0, s[10:11], s44, v20
	v_addc_co_u32_e64 v1, s[10:11], v21, v1, s[10:11]
	v_add_co_u32_e64 v2, s[10:11], v42, v26
	v_addc_co_u32_e64 v3, s[10:11], v43, v27, s[10:11]
	v_cmp_le_i64_e64 s[10:11], s[26:27], v[0:1]
	s_or_b64 s[12:13], s[10:11], vcc
	s_xor_b64 s[12:13], s[12:13], -1
	s_and_saveexec_b64 s[14:15], s[12:13]
	s_xor_b64 s[12:13], exec, s[14:15]
	s_cbranch_execz .LBB23_41
; %bb.40:                               ;   in Loop: Header=BB23_7 Depth=2
	global_load_dword v4, v[2:3], off offset:-64
	s_waitcnt vmcnt(0)
	ds_write_b32 v48, v4
.LBB23_41:                              ;   in Loop: Header=BB23_7 Depth=2
	s_andn2_saveexec_b64 s[12:13], s[12:13]
	s_cbranch_execz .LBB23_43
; %bb.42:                               ;   in Loop: Header=BB23_7 Depth=2
	ds_write_b32 v48, v49
.LBB23_43:                              ;   in Loop: Header=BB23_7 Depth=2
	s_or_b64 exec, exec, s[12:13]
	s_or_b64 s[10:11], s[10:11], s[0:1]
	s_xor_b64 s[10:11], s[10:11], -1
	s_and_saveexec_b64 s[12:13], s[10:11]
	s_xor_b64 s[10:11], exec, s[12:13]
	s_cbranch_execz .LBB23_45
; %bb.44:                               ;   in Loop: Header=BB23_7 Depth=2
	global_load_dword v2, v[2:3], off
	s_waitcnt vmcnt(0)
	ds_write_b32 v48, v2 offset:64
.LBB23_45:                              ;   in Loop: Header=BB23_7 Depth=2
	s_andn2_saveexec_b64 s[10:11], s[10:11]
	s_cbranch_execz .LBB23_47
; %bb.46:                               ;   in Loop: Header=BB23_7 Depth=2
	ds_write_b32 v48, v49 offset:64
.LBB23_47:                              ;   in Loop: Header=BB23_7 Depth=2
	s_or_b64 exec, exec, s[10:11]
	v_cmp_le_i64_e64 s[10:11], s[36:37], v[0:1]
	s_or_b64 s[12:13], s[10:11], vcc
	s_xor_b64 s[12:13], s[12:13], -1
	s_and_saveexec_b64 s[14:15], s[12:13]
	s_xor_b64 s[14:15], exec, s[14:15]
	s_cbranch_execz .LBB23_49
; %bb.48:                               ;   in Loop: Header=BB23_7 Depth=2
	v_add_co_u32_e64 v0, s[12:13], v42, v34
	v_addc_co_u32_e64 v1, s[12:13], v43, v35, s[12:13]
	global_load_dword v0, v[0:1], off offset:-64
	s_waitcnt vmcnt(0)
	ds_write_b32 v48, v0 offset:2048
.LBB23_49:                              ;   in Loop: Header=BB23_7 Depth=2
	s_andn2_saveexec_b64 s[12:13], s[14:15]
	s_cbranch_execz .LBB23_51
; %bb.50:                               ;   in Loop: Header=BB23_7 Depth=2
	ds_write_b32 v48, v49 offset:2048
.LBB23_51:                              ;   in Loop: Header=BB23_7 Depth=2
	s_or_b64 exec, exec, s[12:13]
	s_or_b64 s[10:11], s[10:11], s[0:1]
	s_xor_b64 s[10:11], s[10:11], -1
	s_and_saveexec_b64 s[12:13], s[10:11]
	s_xor_b64 s[12:13], exec, s[12:13]
	s_cbranch_execz .LBB23_53
; %bb.52:                               ;   in Loop: Header=BB23_7 Depth=2
	v_add_co_u32_e64 v0, s[10:11], v42, v34
	v_addc_co_u32_e64 v1, s[10:11], v43, v35, s[10:11]
	global_load_dword v0, v[0:1], off
	s_waitcnt vmcnt(0)
	ds_write_b32 v48, v0 offset:2112
.LBB23_53:                              ;   in Loop: Header=BB23_7 Depth=2
	s_andn2_saveexec_b64 s[10:11], s[12:13]
	s_cbranch_execz .LBB23_6
; %bb.54:                               ;   in Loop: Header=BB23_7 Depth=2
	ds_write_b32 v48, v49 offset:2112
	s_branch .LBB23_6
.LBB23_55:                              ;   in Loop: Header=BB23_4 Depth=1
	v_mul_lo_u32 v2, v23, s40
	v_mul_lo_u32 v3, v22, s41
	v_mad_u64_u32 v[0:1], s[10:11], v22, s40, 0
	v_add3_u32 v1, v1, v3, v2
	v_lshlrev_b64 v[0:1], 2, v[0:1]
	v_mov_b32_e32 v2, s57
	v_add_co_u32_e64 v0, s[10:11], s56, v0
	v_cmp_gt_i32_e64 s[8:9], s46, v22
	v_addc_co_u32_e64 v1, s[10:11], v2, v1, s[10:11]
	s_and_b64 s[10:11], s[2:3], s[8:9]
	s_and_saveexec_b64 s[12:13], s[10:11]
	s_cbranch_execz .LBB23_57
; %bb.56:                               ;   in Loop: Header=BB23_4 Depth=1
	v_add_co_u32_e64 v2, s[10:11], v0, v12
	v_addc_co_u32_e64 v3, s[10:11], v1, v13, s[10:11]
	global_load_dword v4, v[2:3], off
	s_waitcnt vmcnt(0)
	v_fmac_f32_e32 v4, s47, v54
	global_store_dword v[2:3], v4, off
.LBB23_57:                              ;   in Loop: Header=BB23_4 Depth=1
	s_or_b64 exec, exec, s[12:13]
	s_and_b64 s[8:9], s[4:5], s[8:9]
	s_and_saveexec_b64 s[10:11], s[8:9]
	s_cbranch_execz .LBB23_59
; %bb.58:                               ;   in Loop: Header=BB23_4 Depth=1
	v_lshlrev_b64 v[2:3], 2, v[16:17]
	v_add_co_u32_e64 v0, s[8:9], v0, v2
	v_addc_co_u32_e64 v1, s[8:9], v1, v3, s[8:9]
	global_load_dword v2, v[0:1], off
	s_waitcnt vmcnt(0)
	v_fmac_f32_e32 v2, s47, v53
	global_store_dword v[0:1], v2, off
.LBB23_59:                              ;   in Loop: Header=BB23_4 Depth=1
	s_or_b64 exec, exec, s[10:11]
	v_add_u32_e32 v0, 16, v22
	v_ashrrev_i32_e32 v1, 31, v0
	v_cmp_gt_i32_e64 s[8:9], s46, v0
	v_mul_lo_u32 v2, v1, s40
	v_mul_lo_u32 v3, v0, s41
	v_mad_u64_u32 v[0:1], s[10:11], v0, s40, 0
	v_add3_u32 v1, v1, v3, v2
	v_lshlrev_b64 v[0:1], 2, v[0:1]
	v_mov_b32_e32 v2, s57
	v_add_co_u32_e64 v0, s[10:11], s56, v0
	v_addc_co_u32_e64 v1, s[10:11], v2, v1, s[10:11]
	s_and_b64 s[10:11], s[2:3], s[8:9]
	s_and_saveexec_b64 s[12:13], s[10:11]
	s_cbranch_execz .LBB23_61
; %bb.60:                               ;   in Loop: Header=BB23_4 Depth=1
	v_add_co_u32_e64 v2, s[10:11], v0, v12
	v_addc_co_u32_e64 v3, s[10:11], v1, v13, s[10:11]
	global_load_dword v4, v[2:3], off
	s_waitcnt vmcnt(0)
	v_fmac_f32_e32 v4, s47, v52
	global_store_dword v[2:3], v4, off
.LBB23_61:                              ;   in Loop: Header=BB23_4 Depth=1
	s_or_b64 exec, exec, s[12:13]
	s_and_b64 s[8:9], s[4:5], s[8:9]
	s_and_saveexec_b64 s[10:11], s[8:9]
	s_cbranch_execz .LBB23_3
; %bb.62:                               ;   in Loop: Header=BB23_4 Depth=1
	v_lshlrev_b64 v[2:3], 2, v[16:17]
	v_add_co_u32_e64 v0, s[8:9], v0, v2
	v_addc_co_u32_e64 v1, s[8:9], v1, v3, s[8:9]
	global_load_dword v2, v[0:1], off
	s_waitcnt vmcnt(0)
	v_fmac_f32_e32 v2, s47, v51
	global_store_dword v[0:1], v2, off
	s_branch .LBB23_3
.LBB23_63:
	s_endpgm
	.section	.rodata,"a",@progbits
	.p2align	6, 0x0
	.amdhsa_kernel _ZL30rocblas_trmm_outofplace_kernelIfLi32ELi2ELb0ELb1ELb1ELb1EfKffEv17rocblas_diagonal_iiT6_lPT7_lllS4_lllPT8_llli
		.amdhsa_group_segment_fixed_size 8192
		.amdhsa_private_segment_fixed_size 0
		.amdhsa_kernarg_size 384
		.amdhsa_user_sgpr_count 6
		.amdhsa_user_sgpr_private_segment_buffer 1
		.amdhsa_user_sgpr_dispatch_ptr 0
		.amdhsa_user_sgpr_queue_ptr 0
		.amdhsa_user_sgpr_kernarg_segment_ptr 1
		.amdhsa_user_sgpr_dispatch_id 0
		.amdhsa_user_sgpr_flat_scratch_init 0
		.amdhsa_user_sgpr_kernarg_preload_length 0
		.amdhsa_user_sgpr_kernarg_preload_offset 0
		.amdhsa_user_sgpr_private_segment_size 0
		.amdhsa_uses_dynamic_stack 0
		.amdhsa_system_sgpr_private_segment_wavefront_offset 0
		.amdhsa_system_sgpr_workgroup_id_x 1
		.amdhsa_system_sgpr_workgroup_id_y 1
		.amdhsa_system_sgpr_workgroup_id_z 1
		.amdhsa_system_sgpr_workgroup_info 0
		.amdhsa_system_vgpr_workitem_id 1
		.amdhsa_next_free_vgpr 66
		.amdhsa_next_free_sgpr 60
		.amdhsa_accum_offset 68
		.amdhsa_reserve_vcc 1
		.amdhsa_reserve_flat_scratch 0
		.amdhsa_float_round_mode_32 0
		.amdhsa_float_round_mode_16_64 0
		.amdhsa_float_denorm_mode_32 3
		.amdhsa_float_denorm_mode_16_64 3
		.amdhsa_dx10_clamp 1
		.amdhsa_ieee_mode 1
		.amdhsa_fp16_overflow 0
		.amdhsa_tg_split 0
		.amdhsa_exception_fp_ieee_invalid_op 0
		.amdhsa_exception_fp_denorm_src 0
		.amdhsa_exception_fp_ieee_div_zero 0
		.amdhsa_exception_fp_ieee_overflow 0
		.amdhsa_exception_fp_ieee_underflow 0
		.amdhsa_exception_fp_ieee_inexact 0
		.amdhsa_exception_int_div_zero 0
	.end_amdhsa_kernel
	.section	.text._ZL30rocblas_trmm_outofplace_kernelIfLi32ELi2ELb0ELb1ELb1ELb1EfKffEv17rocblas_diagonal_iiT6_lPT7_lllS4_lllPT8_llli,"axG",@progbits,_ZL30rocblas_trmm_outofplace_kernelIfLi32ELi2ELb0ELb1ELb1ELb1EfKffEv17rocblas_diagonal_iiT6_lPT7_lllS4_lllPT8_llli,comdat
.Lfunc_end23:
	.size	_ZL30rocblas_trmm_outofplace_kernelIfLi32ELi2ELb0ELb1ELb1ELb1EfKffEv17rocblas_diagonal_iiT6_lPT7_lllS4_lllPT8_llli, .Lfunc_end23-_ZL30rocblas_trmm_outofplace_kernelIfLi32ELi2ELb0ELb1ELb1ELb1EfKffEv17rocblas_diagonal_iiT6_lPT7_lllS4_lllPT8_llli
                                        ; -- End function
	.section	.AMDGPU.csdata,"",@progbits
; Kernel info:
; codeLenInByte = 3212
; NumSgprs: 64
; NumVgprs: 66
; NumAgprs: 0
; TotalNumVgprs: 66
; ScratchSize: 0
; MemoryBound: 0
; FloatMode: 240
; IeeeMode: 1
; LDSByteSize: 8192 bytes/workgroup (compile time only)
; SGPRBlocks: 7
; VGPRBlocks: 8
; NumSGPRsForWavesPerEU: 64
; NumVGPRsForWavesPerEU: 66
; AccumOffset: 68
; Occupancy: 7
; WaveLimiterHint : 0
; COMPUTE_PGM_RSRC2:SCRATCH_EN: 0
; COMPUTE_PGM_RSRC2:USER_SGPR: 6
; COMPUTE_PGM_RSRC2:TRAP_HANDLER: 0
; COMPUTE_PGM_RSRC2:TGID_X_EN: 1
; COMPUTE_PGM_RSRC2:TGID_Y_EN: 1
; COMPUTE_PGM_RSRC2:TGID_Z_EN: 1
; COMPUTE_PGM_RSRC2:TIDIG_COMP_CNT: 1
; COMPUTE_PGM_RSRC3_GFX90A:ACCUM_OFFSET: 16
; COMPUTE_PGM_RSRC3_GFX90A:TG_SPLIT: 0
	.section	.text._ZL23rocblas_trmm_lNx_kernelILi32EfPKfS0_fEv13rocblas_fill_17rocblas_diagonal_iiT1_lPT2_llS6_llPT3_lli,"axG",@progbits,_ZL23rocblas_trmm_lNx_kernelILi32EfPKfS0_fEv13rocblas_fill_17rocblas_diagonal_iiT1_lPT2_llS6_llPT3_lli,comdat
	.globl	_ZL23rocblas_trmm_lNx_kernelILi32EfPKfS0_fEv13rocblas_fill_17rocblas_diagonal_iiT1_lPT2_llS6_llPT3_lli ; -- Begin function _ZL23rocblas_trmm_lNx_kernelILi32EfPKfS0_fEv13rocblas_fill_17rocblas_diagonal_iiT1_lPT2_llS6_llPT3_lli
	.p2align	8
	.type	_ZL23rocblas_trmm_lNx_kernelILi32EfPKfS0_fEv13rocblas_fill_17rocblas_diagonal_iiT1_lPT2_llS6_llPT3_lli,@function
_ZL23rocblas_trmm_lNx_kernelILi32EfPKfS0_fEv13rocblas_fill_17rocblas_diagonal_iiT1_lPT2_llS6_llPT3_lli: ; @_ZL23rocblas_trmm_lNx_kernelILi32EfPKfS0_fEv13rocblas_fill_17rocblas_diagonal_iiT1_lPT2_llS6_llPT3_lli
; %bb.0:
	s_load_dwordx16 s[8:23], s[4:5], 0x10
	s_waitcnt lgkmcnt(0)
	s_mul_i32 s0, s7, s11
	s_mul_hi_u32 s1, s7, s10
	s_add_i32 s1, s1, s0
	s_mul_i32 s0, s7, s10
	s_lshl_b64 s[0:1], s[0:1], 2
	s_add_u32 s0, s8, s0
	s_addc_u32 s1, s9, s1
	s_load_dword s24, s[0:1], 0x0
	s_waitcnt lgkmcnt(0)
	v_cmp_eq_f32_e64 s[0:1], s24, 0
	s_and_b64 vcc, exec, s[0:1]
	s_cbranch_vccnz .LBB24_15
; %bb.1:
	s_load_dwordx4 s[8:11], s[4:5], 0x0
	v_and_b32_e32 v4, 0x3ff, v0
	v_bfe_u32 v0, v0, 10, 10
	v_lshlrev_b32_e32 v2, 5, v0
	v_add_lshl_u32 v3, v2, v4, 2
	v_mov_b32_e32 v1, 0
	s_waitcnt lgkmcnt(0)
	v_cmp_gt_i32_e64 s[0:1], s10, v0
	v_cmp_gt_i32_e32 vcc, s10, v4
	ds_write2st64_b32 v3, v1, v1 offset1:16
	s_and_b64 s[0:1], s[0:1], vcc
	v_lshlrev_b32_e32 v1, 2, v4
	s_and_saveexec_b64 s[2:3], s[0:1]
	s_cbranch_execz .LBB24_3
; %bb.2:
	s_mul_i32 s0, s7, s17
	s_mul_hi_u32 s1, s7, s16
	s_add_i32 s1, s1, s0
	s_mul_i32 s0, s7, s16
	s_lshl_b64 s[0:1], s[0:1], 2
	s_add_u32 s10, s12, s0
	s_addc_u32 s12, s13, s1
	v_mad_u64_u32 v[6:7], s[0:1], v0, s14, 0
	v_mov_b32_e32 v8, v7
	v_mad_u64_u32 v[8:9], s[0:1], v0, s15, v[8:9]
	v_mov_b32_e32 v7, v8
	v_lshlrev_b64 v[6:7], 2, v[6:7]
	v_mov_b32_e32 v5, s12
	v_add_co_u32_e64 v6, s[0:1], s10, v6
	v_addc_co_u32_e64 v5, s[0:1], v5, v7, s[0:1]
	v_add_co_u32_e64 v6, s[0:1], v6, v1
	v_addc_co_u32_e64 v7, s[0:1], 0, v5, s[0:1]
	global_load_dword v5, v[6:7], off
	s_waitcnt vmcnt(0)
	ds_write_b32 v3, v5
.LBB24_3:
	s_or_b64 exec, exec, s[2:3]
	s_add_i32 s0, s11, -1
	s_ashr_i32 s1, s0, 31
	s_lshr_b32 s1, s1, 27
	s_add_i32 s0, s0, s1
	s_ashr_i32 s1, s0, 5
	s_andn2_b32 s0, s0, 31
	s_sub_i32 s0, s11, s0
	s_cmp_ge_i32 s6, s1
	s_cselect_b32 s0, s0, 32
	s_lshl_b32 s6, s6, 5
	v_cmp_gt_i32_e64 s[0:1], s0, v0
	s_ashr_i32 s10, s6, 31
	s_and_b64 s[0:1], vcc, s[0:1]
	s_and_saveexec_b64 s[2:3], s[0:1]
	s_cbranch_execz .LBB24_5
; %bb.4:
	s_mul_i32 s11, s7, s23
	s_mul_hi_u32 s12, s7, s22
	s_add_i32 s13, s12, s11
	s_mul_i32 s12, s7, s22
	s_lshl_b64 s[12:13], s[12:13], 2
	s_add_u32 s11, s18, s12
	s_addc_u32 s14, s19, s13
	s_mul_i32 s12, s6, s21
	s_mul_hi_u32 s13, s6, s20
	s_add_i32 s12, s13, s12
	s_mul_i32 s13, s10, s20
	s_add_i32 s13, s12, s13
	s_mul_i32 s12, s6, s20
	s_lshl_b64 s[12:13], s[12:13], 2
	s_add_u32 s11, s11, s12
	s_addc_u32 s14, s14, s13
	v_mad_u64_u32 v[6:7], s[12:13], v0, s20, 0
	v_mov_b32_e32 v8, v7
	v_mad_u64_u32 v[8:9], s[12:13], v0, s21, v[8:9]
	v_mov_b32_e32 v7, v8
	v_lshlrev_b64 v[6:7], 2, v[6:7]
	v_mov_b32_e32 v5, s14
	v_add_co_u32_e32 v6, vcc, s11, v6
	v_addc_co_u32_e32 v5, vcc, v5, v7, vcc
	v_add_co_u32_e32 v6, vcc, v6, v1
	v_addc_co_u32_e32 v7, vcc, 0, v5, vcc
	global_load_dword v5, v[6:7], off
	v_add_u32_e32 v6, 0x1000, v3
	s_waitcnt vmcnt(0)
	ds_write_b32 v6, v5
.LBB24_5:
	s_or_b64 exec, exec, s[2:3]
	s_cmpk_eq_i32 s9, 0x84
	s_cselect_b64 s[2:3], -1, 0
	v_cmp_eq_u32_e32 vcc, v0, v4
	s_and_b64 s[12:13], vcc, s[2:3]
	s_and_saveexec_b64 s[2:3], s[12:13]
	s_cbranch_execz .LBB24_7
; %bb.6:
	v_mov_b32_e32 v5, 1.0
	ds_write_b32 v3, v5
.LBB24_7:
	s_or_b64 exec, exec, s[2:3]
	s_cmpk_lg_i32 s8, 0x79
	s_cbranch_scc0 .LBB24_9
; %bb.8:
	v_cmp_lt_u32_e32 vcc, v4, v0
	s_and_b64 s[2:3], vcc, exec
	s_cbranch_execz .LBB24_10
	s_branch .LBB24_11
.LBB24_9:
	s_mov_b64 s[2:3], 0
.LBB24_10:
	v_cmp_gt_u32_e32 vcc, v4, v0
	s_andn2_b64 s[2:3], s[2:3], exec
	s_and_b64 s[8:9], vcc, exec
	s_or_b64 s[2:3], s[2:3], s[8:9]
.LBB24_11:
	s_and_saveexec_b64 s[8:9], s[2:3]
	s_cbranch_execz .LBB24_13
; %bb.12:
	v_mov_b32_e32 v4, 0
	ds_write_b32 v3, v4
.LBB24_13:
	s_or_b64 exec, exec, s[8:9]
	s_waitcnt lgkmcnt(0)
	s_barrier
	s_and_saveexec_b64 s[2:3], s[0:1]
	s_cbranch_execz .LBB24_15
; %bb.14:
	s_load_dwordx2 s[8:9], s[4:5], 0x60
	s_load_dwordx4 s[0:3], s[4:5], 0x50
	ds_read2_b32 v[18:19], v1 offset1:32
	v_lshlrev_b32_e32 v24, 2, v2
	ds_read_b128 v[2:5], v24 offset:4096
	ds_read_b128 v[6:9], v24 offset:4112
	ds_read2_b32 v[20:21], v1 offset0:64 offset1:96
	ds_read_b128 v[10:13], v24 offset:4128
	ds_read_b128 v[14:17], v24 offset:4144
	ds_read2_b32 v[22:23], v1 offset0:128 offset1:160
	s_waitcnt lgkmcnt(0)
	s_mul_i32 s5, s7, s9
	v_fma_f32 v18, v18, v2, 0
	v_fmac_f32_e32 v18, v19, v3
	ds_read2_b32 v[2:3], v1 offset0:192 offset1:224
	v_fmac_f32_e32 v18, v20, v4
	v_add_u32_e32 v19, 0x400, v1
	v_fmac_f32_e32 v18, v21, v5
	ds_read2_b32 v[4:5], v19 offset1:32
	v_fmac_f32_e32 v18, v22, v6
	v_fmac_f32_e32 v18, v23, v7
	ds_read2_b32 v[6:7], v19 offset0:64 offset1:96
	s_waitcnt lgkmcnt(2)
	v_fmac_f32_e32 v18, v2, v8
	v_fmac_f32_e32 v18, v3, v9
	ds_read2_b32 v[2:3], v19 offset0:128 offset1:160
	s_waitcnt lgkmcnt(2)
	v_fmac_f32_e32 v18, v4, v10
	v_fmac_f32_e32 v18, v5, v11
	s_waitcnt lgkmcnt(1)
	v_fmac_f32_e32 v18, v6, v12
	v_fmac_f32_e32 v18, v7, v13
	ds_read2_b32 v[6:7], v19 offset0:192 offset1:224
	s_waitcnt lgkmcnt(1)
	v_fmac_f32_e32 v18, v2, v14
	v_add_u32_e32 v19, 0x800, v1
	v_fmac_f32_e32 v18, v3, v15
	ds_read2_b32 v[10:11], v19 offset1:32
	ds_read_b128 v[2:5], v24 offset:4160
	s_waitcnt lgkmcnt(2)
	v_fmac_f32_e32 v18, v6, v16
	v_fmac_f32_e32 v18, v7, v17
	ds_read2_b32 v[12:13], v19 offset0:64 offset1:96
	ds_read_b128 v[6:9], v24 offset:4176
	ds_read2_b32 v[14:15], v19 offset0:128 offset1:160
	s_waitcnt lgkmcnt(3)
	v_fmac_f32_e32 v18, v10, v2
	v_fmac_f32_e32 v18, v11, v3
	ds_read2_b32 v[2:3], v19 offset0:192 offset1:224
	s_waitcnt lgkmcnt(3)
	v_fmac_f32_e32 v18, v12, v4
	v_fmac_f32_e32 v18, v13, v5
	s_waitcnt lgkmcnt(1)
	v_pk_mul_f32 v[4:5], v[14:15], v[6:7]
	v_add_f32_e32 v4, v18, v4
	v_add_u32_e32 v14, 0xc00, v1
	v_add_f32_e32 v12, v4, v5
	s_waitcnt lgkmcnt(0)
	v_pk_mul_f32 v[6:7], v[2:3], v[8:9]
	ds_read2_b32 v[10:11], v14 offset1:32
	ds_read_b128 v[2:5], v24 offset:4192
	v_add_f32_e32 v6, v12, v6
	v_add_f32_e32 v15, v6, v7
	ds_read2_b32 v[12:13], v14 offset0:64 offset1:96
	ds_read_b128 v[6:9], v24 offset:4208
	s_mul_hi_u32 s9, s7, s8
	s_waitcnt lgkmcnt(2)
	v_pk_mul_f32 v[2:3], v[10:11], v[2:3]
	v_add_f32_e32 v2, v15, v2
	v_add_f32_e32 v10, v2, v3
	ds_read2_b32 v[2:3], v14 offset0:128 offset1:160
	s_waitcnt lgkmcnt(2)
	v_pk_mul_f32 v[4:5], v[12:13], v[4:5]
	v_add_f32_e32 v4, v10, v4
	ds_read2_b32 v[10:11], v14 offset0:192 offset1:224
	s_mul_i32 s4, s7, s8
	s_add_i32 s5, s9, s5
	s_lshl_b64 s[4:5], s[4:5], 2
	s_mul_i32 s7, s6, s3
	s_add_u32 s4, s0, s4
	s_mul_hi_u32 s0, s6, s2
	v_add_f32_e32 v4, v4, v5
	s_waitcnt lgkmcnt(1)
	v_pk_mul_f32 v[2:3], v[2:3], v[6:7]
	s_addc_u32 s5, s1, s5
	s_add_i32 s0, s0, s7
	s_mul_i32 s10, s10, s2
	v_add_f32_e32 v2, v4, v2
	s_add_i32 s1, s0, s10
	s_mul_i32 s0, s6, s2
	v_add_f32_e32 v4, v2, v3
	s_waitcnt lgkmcnt(0)
	v_pk_mul_f32 v[2:3], v[10:11], v[8:9]
	s_lshl_b64 s[0:1], s[0:1], 2
	v_add_f32_e32 v2, v4, v2
	s_add_u32 s4, s4, s0
	v_add_f32_e32 v2, v2, v3
	s_addc_u32 s5, s5, s1
	v_mul_f32_e32 v6, s24, v2
	v_mad_u64_u32 v[2:3], s[0:1], v0, s2, 0
	v_mov_b32_e32 v4, v3
	v_mad_u64_u32 v[4:5], s[0:1], v0, s3, v[4:5]
	v_mov_b32_e32 v3, v4
	v_lshlrev_b64 v[2:3], 2, v[2:3]
	v_mov_b32_e32 v0, s5
	v_add_co_u32_e32 v2, vcc, s4, v2
	v_addc_co_u32_e32 v3, vcc, v0, v3, vcc
	v_add_co_u32_e32 v0, vcc, v2, v1
	v_addc_co_u32_e32 v1, vcc, 0, v3, vcc
	global_store_dword v[0:1], v6, off
.LBB24_15:
	s_endpgm
	.section	.rodata,"a",@progbits
	.p2align	6, 0x0
	.amdhsa_kernel _ZL23rocblas_trmm_lNx_kernelILi32EfPKfS0_fEv13rocblas_fill_17rocblas_diagonal_iiT1_lPT2_llS6_llPT3_lli
		.amdhsa_group_segment_fixed_size 8192
		.amdhsa_private_segment_fixed_size 0
		.amdhsa_kernarg_size 108
		.amdhsa_user_sgpr_count 6
		.amdhsa_user_sgpr_private_segment_buffer 1
		.amdhsa_user_sgpr_dispatch_ptr 0
		.amdhsa_user_sgpr_queue_ptr 0
		.amdhsa_user_sgpr_kernarg_segment_ptr 1
		.amdhsa_user_sgpr_dispatch_id 0
		.amdhsa_user_sgpr_flat_scratch_init 0
		.amdhsa_user_sgpr_kernarg_preload_length 0
		.amdhsa_user_sgpr_kernarg_preload_offset 0
		.amdhsa_user_sgpr_private_segment_size 0
		.amdhsa_uses_dynamic_stack 0
		.amdhsa_system_sgpr_private_segment_wavefront_offset 0
		.amdhsa_system_sgpr_workgroup_id_x 1
		.amdhsa_system_sgpr_workgroup_id_y 0
		.amdhsa_system_sgpr_workgroup_id_z 1
		.amdhsa_system_sgpr_workgroup_info 0
		.amdhsa_system_vgpr_workitem_id 1
		.amdhsa_next_free_vgpr 25
		.amdhsa_next_free_sgpr 25
		.amdhsa_accum_offset 28
		.amdhsa_reserve_vcc 1
		.amdhsa_reserve_flat_scratch 0
		.amdhsa_float_round_mode_32 0
		.amdhsa_float_round_mode_16_64 0
		.amdhsa_float_denorm_mode_32 3
		.amdhsa_float_denorm_mode_16_64 3
		.amdhsa_dx10_clamp 1
		.amdhsa_ieee_mode 1
		.amdhsa_fp16_overflow 0
		.amdhsa_tg_split 0
		.amdhsa_exception_fp_ieee_invalid_op 0
		.amdhsa_exception_fp_denorm_src 0
		.amdhsa_exception_fp_ieee_div_zero 0
		.amdhsa_exception_fp_ieee_overflow 0
		.amdhsa_exception_fp_ieee_underflow 0
		.amdhsa_exception_fp_ieee_inexact 0
		.amdhsa_exception_int_div_zero 0
	.end_amdhsa_kernel
	.section	.text._ZL23rocblas_trmm_lNx_kernelILi32EfPKfS0_fEv13rocblas_fill_17rocblas_diagonal_iiT1_lPT2_llS6_llPT3_lli,"axG",@progbits,_ZL23rocblas_trmm_lNx_kernelILi32EfPKfS0_fEv13rocblas_fill_17rocblas_diagonal_iiT1_lPT2_llS6_llPT3_lli,comdat
.Lfunc_end24:
	.size	_ZL23rocblas_trmm_lNx_kernelILi32EfPKfS0_fEv13rocblas_fill_17rocblas_diagonal_iiT1_lPT2_llS6_llPT3_lli, .Lfunc_end24-_ZL23rocblas_trmm_lNx_kernelILi32EfPKfS0_fEv13rocblas_fill_17rocblas_diagonal_iiT1_lPT2_llS6_llPT3_lli
                                        ; -- End function
	.section	.AMDGPU.csdata,"",@progbits
; Kernel info:
; codeLenInByte = 1208
; NumSgprs: 29
; NumVgprs: 25
; NumAgprs: 0
; TotalNumVgprs: 25
; ScratchSize: 0
; MemoryBound: 0
; FloatMode: 240
; IeeeMode: 1
; LDSByteSize: 8192 bytes/workgroup (compile time only)
; SGPRBlocks: 3
; VGPRBlocks: 3
; NumSGPRsForWavesPerEU: 29
; NumVGPRsForWavesPerEU: 25
; AccumOffset: 28
; Occupancy: 8
; WaveLimiterHint : 0
; COMPUTE_PGM_RSRC2:SCRATCH_EN: 0
; COMPUTE_PGM_RSRC2:USER_SGPR: 6
; COMPUTE_PGM_RSRC2:TRAP_HANDLER: 0
; COMPUTE_PGM_RSRC2:TGID_X_EN: 1
; COMPUTE_PGM_RSRC2:TGID_Y_EN: 0
; COMPUTE_PGM_RSRC2:TGID_Z_EN: 1
; COMPUTE_PGM_RSRC2:TIDIG_COMP_CNT: 1
; COMPUTE_PGM_RSRC3_GFX90A:ACCUM_OFFSET: 6
; COMPUTE_PGM_RSRC3_GFX90A:TG_SPLIT: 0
	.section	.text._ZL23rocblas_trmm_lNx_kernelILi32EffKffEv13rocblas_fill_17rocblas_diagonal_iiT1_lPT2_llS5_llPT3_lli,"axG",@progbits,_ZL23rocblas_trmm_lNx_kernelILi32EffKffEv13rocblas_fill_17rocblas_diagonal_iiT1_lPT2_llS5_llPT3_lli,comdat
	.globl	_ZL23rocblas_trmm_lNx_kernelILi32EffKffEv13rocblas_fill_17rocblas_diagonal_iiT1_lPT2_llS5_llPT3_lli ; -- Begin function _ZL23rocblas_trmm_lNx_kernelILi32EffKffEv13rocblas_fill_17rocblas_diagonal_iiT1_lPT2_llS5_llPT3_lli
	.p2align	8
	.type	_ZL23rocblas_trmm_lNx_kernelILi32EffKffEv13rocblas_fill_17rocblas_diagonal_iiT1_lPT2_llS5_llPT3_lli,@function
_ZL23rocblas_trmm_lNx_kernelILi32EffKffEv13rocblas_fill_17rocblas_diagonal_iiT1_lPT2_llS5_llPT3_lli: ; @_ZL23rocblas_trmm_lNx_kernelILi32EffKffEv13rocblas_fill_17rocblas_diagonal_iiT1_lPT2_llS5_llPT3_lli
; %bb.0:
	s_load_dword s28, s[4:5], 0x10
	s_waitcnt lgkmcnt(0)
	v_cmp_eq_f32_e64 s[0:1], s28, 0
	s_and_b64 vcc, exec, s[0:1]
	s_cbranch_vccnz .LBB25_15
; %bb.1:
	s_load_dwordx4 s[24:27], s[4:5], 0x0
	s_load_dwordx16 s[8:23], s[4:5], 0x20
	v_and_b32_e32 v4, 0x3ff, v0
	v_bfe_u32 v0, v0, 10, 10
	v_lshlrev_b32_e32 v2, 5, v0
	v_add_lshl_u32 v3, v2, v4, 2
	v_mov_b32_e32 v1, 0
	s_waitcnt lgkmcnt(0)
	v_cmp_gt_i32_e64 s[0:1], s26, v0
	v_cmp_gt_i32_e32 vcc, s26, v4
	ds_write2st64_b32 v3, v1, v1 offset1:16
	s_and_b64 s[0:1], s[0:1], vcc
	v_lshlrev_b32_e32 v1, 2, v4
	s_and_saveexec_b64 s[2:3], s[0:1]
	s_cbranch_execz .LBB25_3
; %bb.2:
	s_mul_i32 s0, s7, s13
	s_mul_hi_u32 s1, s7, s12
	s_add_i32 s1, s1, s0
	s_mul_i32 s0, s7, s12
	s_lshl_b64 s[0:1], s[0:1], 2
	s_add_u32 s8, s8, s0
	s_addc_u32 s9, s9, s1
	v_mad_u64_u32 v[6:7], s[0:1], v0, s10, 0
	v_mov_b32_e32 v8, v7
	v_mad_u64_u32 v[8:9], s[0:1], v0, s11, v[8:9]
	v_mov_b32_e32 v7, v8
	v_lshlrev_b64 v[6:7], 2, v[6:7]
	v_mov_b32_e32 v5, s9
	v_add_co_u32_e64 v6, s[0:1], s8, v6
	v_addc_co_u32_e64 v5, s[0:1], v5, v7, s[0:1]
	v_add_co_u32_e64 v6, s[0:1], v6, v1
	v_addc_co_u32_e64 v7, s[0:1], 0, v5, s[0:1]
	global_load_dword v5, v[6:7], off
	s_waitcnt vmcnt(0)
	ds_write_b32 v3, v5
.LBB25_3:
	s_or_b64 exec, exec, s[2:3]
	s_add_i32 s0, s27, -1
	s_ashr_i32 s1, s0, 31
	s_lshr_b32 s1, s1, 27
	s_add_i32 s0, s0, s1
	s_ashr_i32 s1, s0, 5
	s_andn2_b32 s0, s0, 31
	s_sub_i32 s0, s27, s0
	s_cmp_ge_i32 s6, s1
	s_cselect_b32 s0, s0, 32
	s_lshl_b32 s6, s6, 5
	v_cmp_gt_i32_e64 s[0:1], s0, v0
	s_ashr_i32 s10, s6, 31
	s_and_b64 s[0:1], vcc, s[0:1]
	s_and_saveexec_b64 s[2:3], s[0:1]
	s_cbranch_execz .LBB25_5
; %bb.4:
	s_mul_i32 s8, s7, s19
	s_mul_hi_u32 s9, s7, s18
	s_add_i32 s9, s9, s8
	s_mul_i32 s8, s7, s18
	s_lshl_b64 s[8:9], s[8:9], 2
	s_add_u32 s11, s14, s8
	s_addc_u32 s12, s15, s9
	s_mul_i32 s8, s6, s17
	s_mul_hi_u32 s9, s6, s16
	s_add_i32 s8, s9, s8
	s_mul_i32 s9, s10, s16
	s_add_i32 s9, s8, s9
	s_mul_i32 s8, s6, s16
	s_lshl_b64 s[8:9], s[8:9], 2
	s_add_u32 s11, s11, s8
	s_addc_u32 s12, s12, s9
	v_mad_u64_u32 v[6:7], s[8:9], v0, s16, 0
	v_mov_b32_e32 v8, v7
	v_mad_u64_u32 v[8:9], s[8:9], v0, s17, v[8:9]
	v_mov_b32_e32 v7, v8
	v_lshlrev_b64 v[6:7], 2, v[6:7]
	v_mov_b32_e32 v5, s12
	v_add_co_u32_e32 v6, vcc, s11, v6
	v_addc_co_u32_e32 v5, vcc, v5, v7, vcc
	v_add_co_u32_e32 v6, vcc, v6, v1
	v_addc_co_u32_e32 v7, vcc, 0, v5, vcc
	global_load_dword v5, v[6:7], off
	v_add_u32_e32 v6, 0x1000, v3
	s_waitcnt vmcnt(0)
	ds_write_b32 v6, v5
.LBB25_5:
	s_or_b64 exec, exec, s[2:3]
	s_cmpk_eq_i32 s25, 0x84
	s_cselect_b64 s[2:3], -1, 0
	v_cmp_eq_u32_e32 vcc, v0, v4
	s_and_b64 s[8:9], vcc, s[2:3]
	s_and_saveexec_b64 s[2:3], s[8:9]
	s_cbranch_execz .LBB25_7
; %bb.6:
	v_mov_b32_e32 v5, 1.0
	ds_write_b32 v3, v5
.LBB25_7:
	s_or_b64 exec, exec, s[2:3]
	s_cmpk_lg_i32 s24, 0x79
	s_cbranch_scc0 .LBB25_9
; %bb.8:
	v_cmp_lt_u32_e32 vcc, v4, v0
	s_and_b64 s[2:3], vcc, exec
	s_cbranch_execz .LBB25_10
	s_branch .LBB25_11
.LBB25_9:
	s_mov_b64 s[2:3], 0
.LBB25_10:
	v_cmp_gt_u32_e32 vcc, v4, v0
	s_andn2_b64 s[2:3], s[2:3], exec
	s_and_b64 s[8:9], vcc, exec
	s_or_b64 s[2:3], s[2:3], s[8:9]
.LBB25_11:
	s_and_saveexec_b64 s[8:9], s[2:3]
	s_cbranch_execz .LBB25_13
; %bb.12:
	v_mov_b32_e32 v4, 0
	ds_write_b32 v3, v4
.LBB25_13:
	s_or_b64 exec, exec, s[8:9]
	s_waitcnt lgkmcnt(0)
	s_barrier
	s_and_saveexec_b64 s[2:3], s[0:1]
	s_cbranch_execz .LBB25_15
; %bb.14:
	ds_read2_b32 v[18:19], v1 offset1:32
	v_lshlrev_b32_e32 v24, 2, v2
	ds_read_b128 v[2:5], v24 offset:4096
	ds_read_b128 v[6:9], v24 offset:4112
	ds_read2_b32 v[20:21], v1 offset0:64 offset1:96
	ds_read_b128 v[10:13], v24 offset:4128
	ds_read_b128 v[14:17], v24 offset:4144
	ds_read2_b32 v[22:23], v1 offset0:128 offset1:160
	s_load_dwordx2 s[0:1], s[4:5], 0x60
	s_waitcnt lgkmcnt(0)
	v_fma_f32 v18, v18, v2, 0
	v_fmac_f32_e32 v18, v19, v3
	ds_read2_b32 v[2:3], v1 offset0:192 offset1:224
	v_fmac_f32_e32 v18, v20, v4
	v_add_u32_e32 v19, 0x400, v1
	v_fmac_f32_e32 v18, v21, v5
	ds_read2_b32 v[4:5], v19 offset1:32
	v_fmac_f32_e32 v18, v22, v6
	v_fmac_f32_e32 v18, v23, v7
	ds_read2_b32 v[6:7], v19 offset0:64 offset1:96
	s_waitcnt lgkmcnt(2)
	v_fmac_f32_e32 v18, v2, v8
	v_fmac_f32_e32 v18, v3, v9
	ds_read2_b32 v[2:3], v19 offset0:128 offset1:160
	s_waitcnt lgkmcnt(2)
	v_fmac_f32_e32 v18, v4, v10
	v_fmac_f32_e32 v18, v5, v11
	s_waitcnt lgkmcnt(1)
	v_fmac_f32_e32 v18, v6, v12
	v_fmac_f32_e32 v18, v7, v13
	ds_read2_b32 v[6:7], v19 offset0:192 offset1:224
	s_waitcnt lgkmcnt(1)
	v_fmac_f32_e32 v18, v2, v14
	v_add_u32_e32 v19, 0x800, v1
	v_fmac_f32_e32 v18, v3, v15
	ds_read2_b32 v[10:11], v19 offset1:32
	ds_read_b128 v[2:5], v24 offset:4160
	s_waitcnt lgkmcnt(2)
	v_fmac_f32_e32 v18, v6, v16
	v_fmac_f32_e32 v18, v7, v17
	ds_read2_b32 v[12:13], v19 offset0:64 offset1:96
	ds_read_b128 v[6:9], v24 offset:4176
	ds_read2_b32 v[14:15], v19 offset0:128 offset1:160
	s_waitcnt lgkmcnt(3)
	v_fmac_f32_e32 v18, v10, v2
	v_fmac_f32_e32 v18, v11, v3
	ds_read2_b32 v[2:3], v19 offset0:192 offset1:224
	s_waitcnt lgkmcnt(3)
	v_fmac_f32_e32 v18, v12, v4
	v_fmac_f32_e32 v18, v13, v5
	s_waitcnt lgkmcnt(1)
	v_pk_mul_f32 v[4:5], v[14:15], v[6:7]
	v_add_f32_e32 v4, v18, v4
	v_add_u32_e32 v14, 0xc00, v1
	v_add_f32_e32 v12, v4, v5
	s_waitcnt lgkmcnt(0)
	v_pk_mul_f32 v[6:7], v[2:3], v[8:9]
	ds_read2_b32 v[10:11], v14 offset1:32
	ds_read_b128 v[2:5], v24 offset:4192
	v_add_f32_e32 v6, v12, v6
	v_add_f32_e32 v15, v6, v7
	ds_read2_b32 v[12:13], v14 offset0:64 offset1:96
	ds_read_b128 v[6:9], v24 offset:4208
	s_mul_i32 s1, s7, s1
	s_waitcnt lgkmcnt(2)
	v_pk_mul_f32 v[2:3], v[10:11], v[2:3]
	v_add_f32_e32 v2, v15, v2
	v_add_f32_e32 v10, v2, v3
	ds_read2_b32 v[2:3], v14 offset0:128 offset1:160
	s_waitcnt lgkmcnt(2)
	v_pk_mul_f32 v[4:5], v[12:13], v[4:5]
	s_mul_hi_u32 s4, s7, s0
	v_add_f32_e32 v4, v10, v4
	ds_read2_b32 v[10:11], v14 offset0:192 offset1:224
	s_mul_i32 s0, s7, s0
	s_add_i32 s1, s4, s1
	s_lshl_b64 s[0:1], s[0:1], 2
	s_mul_i32 s2, s6, s23
	s_mul_hi_u32 s3, s6, s22
	s_add_u32 s4, s20, s0
	v_add_f32_e32 v4, v4, v5
	s_waitcnt lgkmcnt(1)
	v_pk_mul_f32 v[2:3], v[2:3], v[6:7]
	s_addc_u32 s5, s21, s1
	s_add_i32 s0, s3, s2
	s_mul_i32 s10, s10, s22
	v_add_f32_e32 v2, v4, v2
	s_add_i32 s1, s0, s10
	s_mul_i32 s0, s6, s22
	v_add_f32_e32 v4, v2, v3
	s_waitcnt lgkmcnt(0)
	v_pk_mul_f32 v[2:3], v[10:11], v[8:9]
	s_lshl_b64 s[0:1], s[0:1], 2
	v_add_f32_e32 v2, v4, v2
	s_add_u32 s2, s4, s0
	v_add_f32_e32 v2, v2, v3
	s_addc_u32 s3, s5, s1
	v_mul_f32_e32 v6, s28, v2
	v_mad_u64_u32 v[2:3], s[0:1], v0, s22, 0
	v_mov_b32_e32 v4, v3
	v_mad_u64_u32 v[4:5], s[0:1], v0, s23, v[4:5]
	v_mov_b32_e32 v3, v4
	v_lshlrev_b64 v[2:3], 2, v[2:3]
	v_mov_b32_e32 v0, s3
	v_add_co_u32_e32 v2, vcc, s2, v2
	v_addc_co_u32_e32 v3, vcc, v0, v3, vcc
	v_add_co_u32_e32 v0, vcc, v2, v1
	v_addc_co_u32_e32 v1, vcc, 0, v3, vcc
	global_store_dword v[0:1], v6, off
.LBB25_15:
	s_endpgm
	.section	.rodata,"a",@progbits
	.p2align	6, 0x0
	.amdhsa_kernel _ZL23rocblas_trmm_lNx_kernelILi32EffKffEv13rocblas_fill_17rocblas_diagonal_iiT1_lPT2_llS5_llPT3_lli
		.amdhsa_group_segment_fixed_size 8192
		.amdhsa_private_segment_fixed_size 0
		.amdhsa_kernarg_size 108
		.amdhsa_user_sgpr_count 6
		.amdhsa_user_sgpr_private_segment_buffer 1
		.amdhsa_user_sgpr_dispatch_ptr 0
		.amdhsa_user_sgpr_queue_ptr 0
		.amdhsa_user_sgpr_kernarg_segment_ptr 1
		.amdhsa_user_sgpr_dispatch_id 0
		.amdhsa_user_sgpr_flat_scratch_init 0
		.amdhsa_user_sgpr_kernarg_preload_length 0
		.amdhsa_user_sgpr_kernarg_preload_offset 0
		.amdhsa_user_sgpr_private_segment_size 0
		.amdhsa_uses_dynamic_stack 0
		.amdhsa_system_sgpr_private_segment_wavefront_offset 0
		.amdhsa_system_sgpr_workgroup_id_x 1
		.amdhsa_system_sgpr_workgroup_id_y 0
		.amdhsa_system_sgpr_workgroup_id_z 1
		.amdhsa_system_sgpr_workgroup_info 0
		.amdhsa_system_vgpr_workitem_id 1
		.amdhsa_next_free_vgpr 25
		.amdhsa_next_free_sgpr 29
		.amdhsa_accum_offset 28
		.amdhsa_reserve_vcc 1
		.amdhsa_reserve_flat_scratch 0
		.amdhsa_float_round_mode_32 0
		.amdhsa_float_round_mode_16_64 0
		.amdhsa_float_denorm_mode_32 3
		.amdhsa_float_denorm_mode_16_64 3
		.amdhsa_dx10_clamp 1
		.amdhsa_ieee_mode 1
		.amdhsa_fp16_overflow 0
		.amdhsa_tg_split 0
		.amdhsa_exception_fp_ieee_invalid_op 0
		.amdhsa_exception_fp_denorm_src 0
		.amdhsa_exception_fp_ieee_div_zero 0
		.amdhsa_exception_fp_ieee_overflow 0
		.amdhsa_exception_fp_ieee_underflow 0
		.amdhsa_exception_fp_ieee_inexact 0
		.amdhsa_exception_int_div_zero 0
	.end_amdhsa_kernel
	.section	.text._ZL23rocblas_trmm_lNx_kernelILi32EffKffEv13rocblas_fill_17rocblas_diagonal_iiT1_lPT2_llS5_llPT3_lli,"axG",@progbits,_ZL23rocblas_trmm_lNx_kernelILi32EffKffEv13rocblas_fill_17rocblas_diagonal_iiT1_lPT2_llS5_llPT3_lli,comdat
.Lfunc_end25:
	.size	_ZL23rocblas_trmm_lNx_kernelILi32EffKffEv13rocblas_fill_17rocblas_diagonal_iiT1_lPT2_llS5_llPT3_lli, .Lfunc_end25-_ZL23rocblas_trmm_lNx_kernelILi32EffKffEv13rocblas_fill_17rocblas_diagonal_iiT1_lPT2_llS5_llPT3_lli
                                        ; -- End function
	.section	.AMDGPU.csdata,"",@progbits
; Kernel info:
; codeLenInByte = 1168
; NumSgprs: 33
; NumVgprs: 25
; NumAgprs: 0
; TotalNumVgprs: 25
; ScratchSize: 0
; MemoryBound: 0
; FloatMode: 240
; IeeeMode: 1
; LDSByteSize: 8192 bytes/workgroup (compile time only)
; SGPRBlocks: 4
; VGPRBlocks: 3
; NumSGPRsForWavesPerEU: 33
; NumVGPRsForWavesPerEU: 25
; AccumOffset: 28
; Occupancy: 8
; WaveLimiterHint : 0
; COMPUTE_PGM_RSRC2:SCRATCH_EN: 0
; COMPUTE_PGM_RSRC2:USER_SGPR: 6
; COMPUTE_PGM_RSRC2:TRAP_HANDLER: 0
; COMPUTE_PGM_RSRC2:TGID_X_EN: 1
; COMPUTE_PGM_RSRC2:TGID_Y_EN: 0
; COMPUTE_PGM_RSRC2:TGID_Z_EN: 1
; COMPUTE_PGM_RSRC2:TIDIG_COMP_CNT: 1
; COMPUTE_PGM_RSRC3_GFX90A:ACCUM_OFFSET: 6
; COMPUTE_PGM_RSRC3_GFX90A:TG_SPLIT: 0
	.section	.text._ZL23rocblas_trmm_lTx_kernelILi32ELb0EfPKfS0_fEv13rocblas_fill_17rocblas_diagonal_iiT2_lPT3_llS6_llPT4_lli,"axG",@progbits,_ZL23rocblas_trmm_lTx_kernelILi32ELb0EfPKfS0_fEv13rocblas_fill_17rocblas_diagonal_iiT2_lPT3_llS6_llPT4_lli,comdat
	.globl	_ZL23rocblas_trmm_lTx_kernelILi32ELb0EfPKfS0_fEv13rocblas_fill_17rocblas_diagonal_iiT2_lPT3_llS6_llPT4_lli ; -- Begin function _ZL23rocblas_trmm_lTx_kernelILi32ELb0EfPKfS0_fEv13rocblas_fill_17rocblas_diagonal_iiT2_lPT3_llS6_llPT4_lli
	.p2align	8
	.type	_ZL23rocblas_trmm_lTx_kernelILi32ELb0EfPKfS0_fEv13rocblas_fill_17rocblas_diagonal_iiT2_lPT3_llS6_llPT4_lli,@function
_ZL23rocblas_trmm_lTx_kernelILi32ELb0EfPKfS0_fEv13rocblas_fill_17rocblas_diagonal_iiT2_lPT3_llS6_llPT4_lli: ; @_ZL23rocblas_trmm_lTx_kernelILi32ELb0EfPKfS0_fEv13rocblas_fill_17rocblas_diagonal_iiT2_lPT3_llS6_llPT4_lli
; %bb.0:
	s_load_dwordx16 s[8:23], s[4:5], 0x10
	s_waitcnt lgkmcnt(0)
	s_mul_i32 s0, s7, s11
	s_mul_hi_u32 s1, s7, s10
	s_add_i32 s1, s1, s0
	s_mul_i32 s0, s7, s10
	s_lshl_b64 s[0:1], s[0:1], 2
	s_add_u32 s0, s8, s0
	s_addc_u32 s1, s9, s1
	s_load_dword s24, s[0:1], 0x0
	s_waitcnt lgkmcnt(0)
	v_cmp_eq_f32_e64 s[0:1], s24, 0
	s_and_b64 vcc, exec, s[0:1]
	s_cbranch_vccnz .LBB26_15
; %bb.1:
	s_load_dwordx4 s[8:11], s[4:5], 0x0
	v_and_b32_e32 v4, 0x3ff, v0
	v_bfe_u32 v0, v0, 10, 10
	v_lshlrev_b32_e32 v2, 5, v0
	v_add_lshl_u32 v3, v2, v4, 2
	v_mov_b32_e32 v1, 0
	s_waitcnt lgkmcnt(0)
	v_cmp_gt_i32_e64 s[0:1], s10, v0
	v_cmp_gt_i32_e32 vcc, s10, v4
	ds_write2st64_b32 v3, v1, v1 offset1:16
	s_and_b64 s[0:1], s[0:1], vcc
	v_lshlrev_b32_e32 v1, 2, v4
	s_waitcnt lgkmcnt(0)
	s_barrier
	s_and_saveexec_b64 s[2:3], s[0:1]
	s_cbranch_execz .LBB26_3
; %bb.2:
	s_mul_i32 s0, s7, s17
	s_mul_hi_u32 s1, s7, s16
	s_add_i32 s1, s1, s0
	s_mul_i32 s0, s7, s16
	s_lshl_b64 s[0:1], s[0:1], 2
	s_add_u32 s10, s12, s0
	s_addc_u32 s12, s13, s1
	v_mad_u64_u32 v[6:7], s[0:1], v0, s14, 0
	v_mov_b32_e32 v8, v7
	v_mad_u64_u32 v[8:9], s[0:1], v0, s15, v[8:9]
	v_mov_b32_e32 v7, v8
	v_lshlrev_b64 v[6:7], 2, v[6:7]
	v_mov_b32_e32 v5, s12
	v_add_co_u32_e64 v6, s[0:1], s10, v6
	v_addc_co_u32_e64 v5, s[0:1], v5, v7, s[0:1]
	v_add_co_u32_e64 v6, s[0:1], v6, v1
	v_addc_co_u32_e64 v7, s[0:1], 0, v5, s[0:1]
	global_load_dword v5, v[6:7], off
	v_lshlrev_b32_e32 v6, 5, v4
	v_add_lshl_u32 v6, v6, v0, 2
	s_waitcnt vmcnt(0)
	ds_write_b32 v6, v5
.LBB26_3:
	s_or_b64 exec, exec, s[2:3]
	s_add_i32 s0, s11, -1
	s_ashr_i32 s1, s0, 31
	s_lshr_b32 s1, s1, 27
	s_add_i32 s0, s0, s1
	s_ashr_i32 s1, s0, 5
	s_andn2_b32 s0, s0, 31
	s_sub_i32 s0, s11, s0
	s_cmp_ge_i32 s6, s1
	s_cselect_b32 s0, s0, 32
	s_lshl_b32 s6, s6, 5
	v_cmp_gt_i32_e64 s[0:1], s0, v0
	s_ashr_i32 s10, s6, 31
	s_and_b64 s[0:1], vcc, s[0:1]
	s_and_saveexec_b64 s[2:3], s[0:1]
	s_cbranch_execz .LBB26_5
; %bb.4:
	s_mul_i32 s11, s7, s23
	s_mul_hi_u32 s12, s7, s22
	s_add_i32 s13, s12, s11
	s_mul_i32 s12, s7, s22
	s_lshl_b64 s[12:13], s[12:13], 2
	s_add_u32 s11, s18, s12
	s_addc_u32 s14, s19, s13
	s_mul_i32 s12, s6, s21
	s_mul_hi_u32 s13, s6, s20
	s_add_i32 s12, s13, s12
	s_mul_i32 s13, s10, s20
	s_add_i32 s13, s12, s13
	s_mul_i32 s12, s6, s20
	s_lshl_b64 s[12:13], s[12:13], 2
	s_add_u32 s11, s11, s12
	s_addc_u32 s14, s14, s13
	v_mad_u64_u32 v[6:7], s[12:13], v0, s20, 0
	v_mov_b32_e32 v8, v7
	v_mad_u64_u32 v[8:9], s[12:13], v0, s21, v[8:9]
	v_mov_b32_e32 v7, v8
	v_lshlrev_b64 v[6:7], 2, v[6:7]
	v_mov_b32_e32 v5, s14
	v_add_co_u32_e32 v6, vcc, s11, v6
	v_addc_co_u32_e32 v5, vcc, v5, v7, vcc
	v_add_co_u32_e32 v6, vcc, v6, v1
	v_addc_co_u32_e32 v7, vcc, 0, v5, vcc
	global_load_dword v5, v[6:7], off
	v_add_u32_e32 v6, 0x1000, v3
	s_waitcnt vmcnt(0)
	ds_write_b32 v6, v5
.LBB26_5:
	s_or_b64 exec, exec, s[2:3]
	s_cmpk_eq_i32 s9, 0x84
	s_cselect_b64 s[2:3], -1, 0
	v_cmp_eq_u32_e32 vcc, v0, v4
	s_and_b64 s[12:13], vcc, s[2:3]
	s_and_saveexec_b64 s[2:3], s[12:13]
	s_cbranch_execz .LBB26_7
; %bb.6:
	v_mov_b32_e32 v5, 1.0
	ds_write_b32 v3, v5
.LBB26_7:
	s_or_b64 exec, exec, s[2:3]
	s_cmpk_lg_i32 s8, 0x7a
	s_waitcnt lgkmcnt(0)
	s_barrier
	s_cbranch_scc0 .LBB26_9
; %bb.8:
	v_cmp_lt_u32_e32 vcc, v4, v0
	s_and_b64 s[2:3], vcc, exec
	s_cbranch_execz .LBB26_10
	s_branch .LBB26_11
.LBB26_9:
	s_mov_b64 s[2:3], 0
.LBB26_10:
	v_cmp_gt_u32_e32 vcc, v4, v0
	s_andn2_b64 s[2:3], s[2:3], exec
	s_and_b64 s[8:9], vcc, exec
	s_or_b64 s[2:3], s[2:3], s[8:9]
.LBB26_11:
	s_and_saveexec_b64 s[8:9], s[2:3]
	s_cbranch_execz .LBB26_13
; %bb.12:
	v_mov_b32_e32 v4, 0
	ds_write_b32 v3, v4
.LBB26_13:
	s_or_b64 exec, exec, s[8:9]
	s_waitcnt lgkmcnt(0)
	s_barrier
	s_and_saveexec_b64 s[2:3], s[0:1]
	s_cbranch_execz .LBB26_15
; %bb.14:
	s_load_dwordx2 s[8:9], s[4:5], 0x60
	s_load_dwordx4 s[0:3], s[4:5], 0x50
	ds_read2_b32 v[18:19], v1 offset1:32
	v_lshlrev_b32_e32 v24, 2, v2
	ds_read_b128 v[2:5], v24 offset:4096
	ds_read_b128 v[6:9], v24 offset:4112
	ds_read2_b32 v[20:21], v1 offset0:64 offset1:96
	ds_read_b128 v[10:13], v24 offset:4128
	ds_read_b128 v[14:17], v24 offset:4144
	ds_read2_b32 v[22:23], v1 offset0:128 offset1:160
	s_waitcnt lgkmcnt(0)
	s_mul_i32 s5, s7, s9
	v_fma_f32 v18, v18, v2, 0
	v_fmac_f32_e32 v18, v19, v3
	ds_read2_b32 v[2:3], v1 offset0:192 offset1:224
	v_fmac_f32_e32 v18, v20, v4
	v_add_u32_e32 v19, 0x400, v1
	v_fmac_f32_e32 v18, v21, v5
	ds_read2_b32 v[4:5], v19 offset1:32
	v_fmac_f32_e32 v18, v22, v6
	v_fmac_f32_e32 v18, v23, v7
	ds_read2_b32 v[6:7], v19 offset0:64 offset1:96
	s_waitcnt lgkmcnt(2)
	v_fmac_f32_e32 v18, v2, v8
	v_fmac_f32_e32 v18, v3, v9
	ds_read2_b32 v[2:3], v19 offset0:128 offset1:160
	s_waitcnt lgkmcnt(2)
	v_fmac_f32_e32 v18, v4, v10
	v_fmac_f32_e32 v18, v5, v11
	s_waitcnt lgkmcnt(1)
	v_fmac_f32_e32 v18, v6, v12
	v_fmac_f32_e32 v18, v7, v13
	ds_read2_b32 v[6:7], v19 offset0:192 offset1:224
	s_waitcnt lgkmcnt(1)
	v_fmac_f32_e32 v18, v2, v14
	v_add_u32_e32 v19, 0x800, v1
	v_fmac_f32_e32 v18, v3, v15
	ds_read2_b32 v[10:11], v19 offset1:32
	ds_read_b128 v[2:5], v24 offset:4160
	s_waitcnt lgkmcnt(2)
	v_fmac_f32_e32 v18, v6, v16
	v_fmac_f32_e32 v18, v7, v17
	ds_read2_b32 v[12:13], v19 offset0:64 offset1:96
	ds_read_b128 v[6:9], v24 offset:4176
	ds_read2_b32 v[14:15], v19 offset0:128 offset1:160
	s_waitcnt lgkmcnt(3)
	v_fmac_f32_e32 v18, v10, v2
	v_fmac_f32_e32 v18, v11, v3
	ds_read2_b32 v[2:3], v19 offset0:192 offset1:224
	s_waitcnt lgkmcnt(3)
	v_fmac_f32_e32 v18, v12, v4
	v_fmac_f32_e32 v18, v13, v5
	s_waitcnt lgkmcnt(1)
	v_pk_mul_f32 v[4:5], v[14:15], v[6:7]
	v_add_f32_e32 v4, v18, v4
	v_add_u32_e32 v14, 0xc00, v1
	v_add_f32_e32 v12, v4, v5
	s_waitcnt lgkmcnt(0)
	v_pk_mul_f32 v[6:7], v[2:3], v[8:9]
	ds_read2_b32 v[10:11], v14 offset1:32
	ds_read_b128 v[2:5], v24 offset:4192
	v_add_f32_e32 v6, v12, v6
	v_add_f32_e32 v15, v6, v7
	ds_read2_b32 v[12:13], v14 offset0:64 offset1:96
	ds_read_b128 v[6:9], v24 offset:4208
	s_mul_hi_u32 s9, s7, s8
	s_waitcnt lgkmcnt(2)
	v_pk_mul_f32 v[2:3], v[10:11], v[2:3]
	v_add_f32_e32 v2, v15, v2
	v_add_f32_e32 v10, v2, v3
	ds_read2_b32 v[2:3], v14 offset0:128 offset1:160
	s_waitcnt lgkmcnt(2)
	v_pk_mul_f32 v[4:5], v[12:13], v[4:5]
	v_add_f32_e32 v4, v10, v4
	ds_read2_b32 v[10:11], v14 offset0:192 offset1:224
	s_mul_i32 s4, s7, s8
	s_add_i32 s5, s9, s5
	s_lshl_b64 s[4:5], s[4:5], 2
	s_mul_i32 s7, s6, s3
	s_add_u32 s4, s0, s4
	s_mul_hi_u32 s0, s6, s2
	v_add_f32_e32 v4, v4, v5
	s_waitcnt lgkmcnt(1)
	v_pk_mul_f32 v[2:3], v[2:3], v[6:7]
	s_addc_u32 s5, s1, s5
	s_add_i32 s0, s0, s7
	s_mul_i32 s10, s10, s2
	v_add_f32_e32 v2, v4, v2
	s_add_i32 s1, s0, s10
	s_mul_i32 s0, s6, s2
	v_add_f32_e32 v4, v2, v3
	s_waitcnt lgkmcnt(0)
	v_pk_mul_f32 v[2:3], v[10:11], v[8:9]
	s_lshl_b64 s[0:1], s[0:1], 2
	v_add_f32_e32 v2, v4, v2
	s_add_u32 s4, s4, s0
	v_add_f32_e32 v2, v2, v3
	s_addc_u32 s5, s5, s1
	v_mul_f32_e32 v6, s24, v2
	v_mad_u64_u32 v[2:3], s[0:1], v0, s2, 0
	v_mov_b32_e32 v4, v3
	v_mad_u64_u32 v[4:5], s[0:1], v0, s3, v[4:5]
	v_mov_b32_e32 v3, v4
	v_lshlrev_b64 v[2:3], 2, v[2:3]
	v_mov_b32_e32 v0, s5
	v_add_co_u32_e32 v2, vcc, s4, v2
	v_addc_co_u32_e32 v3, vcc, v0, v3, vcc
	v_add_co_u32_e32 v0, vcc, v2, v1
	v_addc_co_u32_e32 v1, vcc, 0, v3, vcc
	global_store_dword v[0:1], v6, off
.LBB26_15:
	s_endpgm
	.section	.rodata,"a",@progbits
	.p2align	6, 0x0
	.amdhsa_kernel _ZL23rocblas_trmm_lTx_kernelILi32ELb0EfPKfS0_fEv13rocblas_fill_17rocblas_diagonal_iiT2_lPT3_llS6_llPT4_lli
		.amdhsa_group_segment_fixed_size 8192
		.amdhsa_private_segment_fixed_size 0
		.amdhsa_kernarg_size 108
		.amdhsa_user_sgpr_count 6
		.amdhsa_user_sgpr_private_segment_buffer 1
		.amdhsa_user_sgpr_dispatch_ptr 0
		.amdhsa_user_sgpr_queue_ptr 0
		.amdhsa_user_sgpr_kernarg_segment_ptr 1
		.amdhsa_user_sgpr_dispatch_id 0
		.amdhsa_user_sgpr_flat_scratch_init 0
		.amdhsa_user_sgpr_kernarg_preload_length 0
		.amdhsa_user_sgpr_kernarg_preload_offset 0
		.amdhsa_user_sgpr_private_segment_size 0
		.amdhsa_uses_dynamic_stack 0
		.amdhsa_system_sgpr_private_segment_wavefront_offset 0
		.amdhsa_system_sgpr_workgroup_id_x 1
		.amdhsa_system_sgpr_workgroup_id_y 0
		.amdhsa_system_sgpr_workgroup_id_z 1
		.amdhsa_system_sgpr_workgroup_info 0
		.amdhsa_system_vgpr_workitem_id 1
		.amdhsa_next_free_vgpr 25
		.amdhsa_next_free_sgpr 25
		.amdhsa_accum_offset 28
		.amdhsa_reserve_vcc 1
		.amdhsa_reserve_flat_scratch 0
		.amdhsa_float_round_mode_32 0
		.amdhsa_float_round_mode_16_64 0
		.amdhsa_float_denorm_mode_32 3
		.amdhsa_float_denorm_mode_16_64 3
		.amdhsa_dx10_clamp 1
		.amdhsa_ieee_mode 1
		.amdhsa_fp16_overflow 0
		.amdhsa_tg_split 0
		.amdhsa_exception_fp_ieee_invalid_op 0
		.amdhsa_exception_fp_denorm_src 0
		.amdhsa_exception_fp_ieee_div_zero 0
		.amdhsa_exception_fp_ieee_overflow 0
		.amdhsa_exception_fp_ieee_underflow 0
		.amdhsa_exception_fp_ieee_inexact 0
		.amdhsa_exception_int_div_zero 0
	.end_amdhsa_kernel
	.section	.text._ZL23rocblas_trmm_lTx_kernelILi32ELb0EfPKfS0_fEv13rocblas_fill_17rocblas_diagonal_iiT2_lPT3_llS6_llPT4_lli,"axG",@progbits,_ZL23rocblas_trmm_lTx_kernelILi32ELb0EfPKfS0_fEv13rocblas_fill_17rocblas_diagonal_iiT2_lPT3_llS6_llPT4_lli,comdat
.Lfunc_end26:
	.size	_ZL23rocblas_trmm_lTx_kernelILi32ELb0EfPKfS0_fEv13rocblas_fill_17rocblas_diagonal_iiT2_lPT3_llS6_llPT4_lli, .Lfunc_end26-_ZL23rocblas_trmm_lTx_kernelILi32ELb0EfPKfS0_fEv13rocblas_fill_17rocblas_diagonal_iiT2_lPT3_llS6_llPT4_lli
                                        ; -- End function
	.section	.AMDGPU.csdata,"",@progbits
; Kernel info:
; codeLenInByte = 1236
; NumSgprs: 29
; NumVgprs: 25
; NumAgprs: 0
; TotalNumVgprs: 25
; ScratchSize: 0
; MemoryBound: 0
; FloatMode: 240
; IeeeMode: 1
; LDSByteSize: 8192 bytes/workgroup (compile time only)
; SGPRBlocks: 3
; VGPRBlocks: 3
; NumSGPRsForWavesPerEU: 29
; NumVGPRsForWavesPerEU: 25
; AccumOffset: 28
; Occupancy: 8
; WaveLimiterHint : 0
; COMPUTE_PGM_RSRC2:SCRATCH_EN: 0
; COMPUTE_PGM_RSRC2:USER_SGPR: 6
; COMPUTE_PGM_RSRC2:TRAP_HANDLER: 0
; COMPUTE_PGM_RSRC2:TGID_X_EN: 1
; COMPUTE_PGM_RSRC2:TGID_Y_EN: 0
; COMPUTE_PGM_RSRC2:TGID_Z_EN: 1
; COMPUTE_PGM_RSRC2:TIDIG_COMP_CNT: 1
; COMPUTE_PGM_RSRC3_GFX90A:ACCUM_OFFSET: 6
; COMPUTE_PGM_RSRC3_GFX90A:TG_SPLIT: 0
	.section	.text._ZL23rocblas_trmm_lTx_kernelILi32ELb0EffKffEv13rocblas_fill_17rocblas_diagonal_iiT2_lPT3_llS5_llPT4_lli,"axG",@progbits,_ZL23rocblas_trmm_lTx_kernelILi32ELb0EffKffEv13rocblas_fill_17rocblas_diagonal_iiT2_lPT3_llS5_llPT4_lli,comdat
	.globl	_ZL23rocblas_trmm_lTx_kernelILi32ELb0EffKffEv13rocblas_fill_17rocblas_diagonal_iiT2_lPT3_llS5_llPT4_lli ; -- Begin function _ZL23rocblas_trmm_lTx_kernelILi32ELb0EffKffEv13rocblas_fill_17rocblas_diagonal_iiT2_lPT3_llS5_llPT4_lli
	.p2align	8
	.type	_ZL23rocblas_trmm_lTx_kernelILi32ELb0EffKffEv13rocblas_fill_17rocblas_diagonal_iiT2_lPT3_llS5_llPT4_lli,@function
_ZL23rocblas_trmm_lTx_kernelILi32ELb0EffKffEv13rocblas_fill_17rocblas_diagonal_iiT2_lPT3_llS5_llPT4_lli: ; @_ZL23rocblas_trmm_lTx_kernelILi32ELb0EffKffEv13rocblas_fill_17rocblas_diagonal_iiT2_lPT3_llS5_llPT4_lli
; %bb.0:
	s_load_dword s28, s[4:5], 0x10
	s_waitcnt lgkmcnt(0)
	v_cmp_eq_f32_e64 s[0:1], s28, 0
	s_and_b64 vcc, exec, s[0:1]
	s_cbranch_vccnz .LBB27_15
; %bb.1:
	s_load_dwordx4 s[24:27], s[4:5], 0x0
	s_load_dwordx16 s[8:23], s[4:5], 0x20
	v_and_b32_e32 v4, 0x3ff, v0
	v_bfe_u32 v0, v0, 10, 10
	v_lshlrev_b32_e32 v2, 5, v0
	v_add_lshl_u32 v3, v2, v4, 2
	v_mov_b32_e32 v1, 0
	s_waitcnt lgkmcnt(0)
	v_cmp_gt_i32_e64 s[0:1], s26, v0
	v_cmp_gt_i32_e32 vcc, s26, v4
	ds_write2st64_b32 v3, v1, v1 offset1:16
	s_and_b64 s[0:1], s[0:1], vcc
	v_lshlrev_b32_e32 v1, 2, v4
	s_waitcnt lgkmcnt(0)
	s_barrier
	s_and_saveexec_b64 s[2:3], s[0:1]
	s_cbranch_execz .LBB27_3
; %bb.2:
	s_mul_i32 s0, s7, s13
	s_mul_hi_u32 s1, s7, s12
	s_add_i32 s1, s1, s0
	s_mul_i32 s0, s7, s12
	s_lshl_b64 s[0:1], s[0:1], 2
	s_add_u32 s8, s8, s0
	s_addc_u32 s9, s9, s1
	v_mad_u64_u32 v[6:7], s[0:1], v0, s10, 0
	v_mov_b32_e32 v8, v7
	v_mad_u64_u32 v[8:9], s[0:1], v0, s11, v[8:9]
	v_mov_b32_e32 v7, v8
	v_lshlrev_b64 v[6:7], 2, v[6:7]
	v_mov_b32_e32 v5, s9
	v_add_co_u32_e64 v6, s[0:1], s8, v6
	v_addc_co_u32_e64 v5, s[0:1], v5, v7, s[0:1]
	v_add_co_u32_e64 v6, s[0:1], v6, v1
	v_addc_co_u32_e64 v7, s[0:1], 0, v5, s[0:1]
	global_load_dword v5, v[6:7], off
	v_lshlrev_b32_e32 v6, 5, v4
	v_add_lshl_u32 v6, v6, v0, 2
	s_waitcnt vmcnt(0)
	ds_write_b32 v6, v5
.LBB27_3:
	s_or_b64 exec, exec, s[2:3]
	s_add_i32 s0, s27, -1
	s_ashr_i32 s1, s0, 31
	s_lshr_b32 s1, s1, 27
	s_add_i32 s0, s0, s1
	s_ashr_i32 s1, s0, 5
	s_andn2_b32 s0, s0, 31
	s_sub_i32 s0, s27, s0
	s_cmp_ge_i32 s6, s1
	s_cselect_b32 s0, s0, 32
	s_lshl_b32 s6, s6, 5
	v_cmp_gt_i32_e64 s[0:1], s0, v0
	s_ashr_i32 s10, s6, 31
	s_and_b64 s[0:1], vcc, s[0:1]
	s_and_saveexec_b64 s[2:3], s[0:1]
	s_cbranch_execz .LBB27_5
; %bb.4:
	s_mul_i32 s8, s7, s19
	s_mul_hi_u32 s9, s7, s18
	s_add_i32 s9, s9, s8
	s_mul_i32 s8, s7, s18
	s_lshl_b64 s[8:9], s[8:9], 2
	s_add_u32 s11, s14, s8
	s_addc_u32 s12, s15, s9
	s_mul_i32 s8, s6, s17
	s_mul_hi_u32 s9, s6, s16
	s_add_i32 s8, s9, s8
	s_mul_i32 s9, s10, s16
	s_add_i32 s9, s8, s9
	s_mul_i32 s8, s6, s16
	s_lshl_b64 s[8:9], s[8:9], 2
	s_add_u32 s11, s11, s8
	s_addc_u32 s12, s12, s9
	v_mad_u64_u32 v[6:7], s[8:9], v0, s16, 0
	v_mov_b32_e32 v8, v7
	v_mad_u64_u32 v[8:9], s[8:9], v0, s17, v[8:9]
	v_mov_b32_e32 v7, v8
	v_lshlrev_b64 v[6:7], 2, v[6:7]
	v_mov_b32_e32 v5, s12
	v_add_co_u32_e32 v6, vcc, s11, v6
	v_addc_co_u32_e32 v5, vcc, v5, v7, vcc
	v_add_co_u32_e32 v6, vcc, v6, v1
	v_addc_co_u32_e32 v7, vcc, 0, v5, vcc
	global_load_dword v5, v[6:7], off
	v_add_u32_e32 v6, 0x1000, v3
	s_waitcnt vmcnt(0)
	ds_write_b32 v6, v5
.LBB27_5:
	s_or_b64 exec, exec, s[2:3]
	s_cmpk_eq_i32 s25, 0x84
	s_cselect_b64 s[2:3], -1, 0
	v_cmp_eq_u32_e32 vcc, v0, v4
	s_and_b64 s[8:9], vcc, s[2:3]
	s_and_saveexec_b64 s[2:3], s[8:9]
	s_cbranch_execz .LBB27_7
; %bb.6:
	v_mov_b32_e32 v5, 1.0
	ds_write_b32 v3, v5
.LBB27_7:
	s_or_b64 exec, exec, s[2:3]
	s_cmpk_lg_i32 s24, 0x7a
	s_waitcnt lgkmcnt(0)
	s_barrier
	s_cbranch_scc0 .LBB27_9
; %bb.8:
	v_cmp_lt_u32_e32 vcc, v4, v0
	s_and_b64 s[2:3], vcc, exec
	s_cbranch_execz .LBB27_10
	s_branch .LBB27_11
.LBB27_9:
	s_mov_b64 s[2:3], 0
.LBB27_10:
	v_cmp_gt_u32_e32 vcc, v4, v0
	s_andn2_b64 s[2:3], s[2:3], exec
	s_and_b64 s[8:9], vcc, exec
	s_or_b64 s[2:3], s[2:3], s[8:9]
.LBB27_11:
	s_and_saveexec_b64 s[8:9], s[2:3]
	s_cbranch_execz .LBB27_13
; %bb.12:
	v_mov_b32_e32 v4, 0
	ds_write_b32 v3, v4
.LBB27_13:
	s_or_b64 exec, exec, s[8:9]
	s_waitcnt lgkmcnt(0)
	s_barrier
	s_and_saveexec_b64 s[2:3], s[0:1]
	s_cbranch_execz .LBB27_15
; %bb.14:
	ds_read2_b32 v[18:19], v1 offset1:32
	v_lshlrev_b32_e32 v24, 2, v2
	ds_read_b128 v[2:5], v24 offset:4096
	ds_read_b128 v[6:9], v24 offset:4112
	ds_read2_b32 v[20:21], v1 offset0:64 offset1:96
	ds_read_b128 v[10:13], v24 offset:4128
	ds_read_b128 v[14:17], v24 offset:4144
	ds_read2_b32 v[22:23], v1 offset0:128 offset1:160
	s_load_dwordx2 s[0:1], s[4:5], 0x60
	s_waitcnt lgkmcnt(0)
	v_fma_f32 v18, v18, v2, 0
	v_fmac_f32_e32 v18, v19, v3
	ds_read2_b32 v[2:3], v1 offset0:192 offset1:224
	v_fmac_f32_e32 v18, v20, v4
	v_add_u32_e32 v19, 0x400, v1
	v_fmac_f32_e32 v18, v21, v5
	ds_read2_b32 v[4:5], v19 offset1:32
	v_fmac_f32_e32 v18, v22, v6
	v_fmac_f32_e32 v18, v23, v7
	ds_read2_b32 v[6:7], v19 offset0:64 offset1:96
	s_waitcnt lgkmcnt(2)
	v_fmac_f32_e32 v18, v2, v8
	v_fmac_f32_e32 v18, v3, v9
	ds_read2_b32 v[2:3], v19 offset0:128 offset1:160
	s_waitcnt lgkmcnt(2)
	v_fmac_f32_e32 v18, v4, v10
	v_fmac_f32_e32 v18, v5, v11
	s_waitcnt lgkmcnt(1)
	v_fmac_f32_e32 v18, v6, v12
	v_fmac_f32_e32 v18, v7, v13
	ds_read2_b32 v[6:7], v19 offset0:192 offset1:224
	s_waitcnt lgkmcnt(1)
	v_fmac_f32_e32 v18, v2, v14
	v_add_u32_e32 v19, 0x800, v1
	v_fmac_f32_e32 v18, v3, v15
	ds_read2_b32 v[10:11], v19 offset1:32
	ds_read_b128 v[2:5], v24 offset:4160
	s_waitcnt lgkmcnt(2)
	v_fmac_f32_e32 v18, v6, v16
	v_fmac_f32_e32 v18, v7, v17
	ds_read2_b32 v[12:13], v19 offset0:64 offset1:96
	ds_read_b128 v[6:9], v24 offset:4176
	ds_read2_b32 v[14:15], v19 offset0:128 offset1:160
	s_waitcnt lgkmcnt(3)
	v_fmac_f32_e32 v18, v10, v2
	v_fmac_f32_e32 v18, v11, v3
	ds_read2_b32 v[2:3], v19 offset0:192 offset1:224
	s_waitcnt lgkmcnt(3)
	v_fmac_f32_e32 v18, v12, v4
	v_fmac_f32_e32 v18, v13, v5
	s_waitcnt lgkmcnt(1)
	v_pk_mul_f32 v[4:5], v[14:15], v[6:7]
	v_add_f32_e32 v4, v18, v4
	v_add_u32_e32 v14, 0xc00, v1
	v_add_f32_e32 v12, v4, v5
	s_waitcnt lgkmcnt(0)
	v_pk_mul_f32 v[6:7], v[2:3], v[8:9]
	ds_read2_b32 v[10:11], v14 offset1:32
	ds_read_b128 v[2:5], v24 offset:4192
	v_add_f32_e32 v6, v12, v6
	v_add_f32_e32 v15, v6, v7
	ds_read2_b32 v[12:13], v14 offset0:64 offset1:96
	ds_read_b128 v[6:9], v24 offset:4208
	s_mul_i32 s1, s7, s1
	s_waitcnt lgkmcnt(2)
	v_pk_mul_f32 v[2:3], v[10:11], v[2:3]
	v_add_f32_e32 v2, v15, v2
	v_add_f32_e32 v10, v2, v3
	ds_read2_b32 v[2:3], v14 offset0:128 offset1:160
	s_waitcnt lgkmcnt(2)
	v_pk_mul_f32 v[4:5], v[12:13], v[4:5]
	s_mul_hi_u32 s4, s7, s0
	v_add_f32_e32 v4, v10, v4
	ds_read2_b32 v[10:11], v14 offset0:192 offset1:224
	s_mul_i32 s0, s7, s0
	s_add_i32 s1, s4, s1
	s_lshl_b64 s[0:1], s[0:1], 2
	s_mul_i32 s2, s6, s23
	s_mul_hi_u32 s3, s6, s22
	s_add_u32 s4, s20, s0
	v_add_f32_e32 v4, v4, v5
	s_waitcnt lgkmcnt(1)
	v_pk_mul_f32 v[2:3], v[2:3], v[6:7]
	s_addc_u32 s5, s21, s1
	s_add_i32 s0, s3, s2
	s_mul_i32 s10, s10, s22
	v_add_f32_e32 v2, v4, v2
	s_add_i32 s1, s0, s10
	s_mul_i32 s0, s6, s22
	v_add_f32_e32 v4, v2, v3
	s_waitcnt lgkmcnt(0)
	v_pk_mul_f32 v[2:3], v[10:11], v[8:9]
	s_lshl_b64 s[0:1], s[0:1], 2
	v_add_f32_e32 v2, v4, v2
	s_add_u32 s2, s4, s0
	v_add_f32_e32 v2, v2, v3
	s_addc_u32 s3, s5, s1
	v_mul_f32_e32 v6, s28, v2
	v_mad_u64_u32 v[2:3], s[0:1], v0, s22, 0
	v_mov_b32_e32 v4, v3
	v_mad_u64_u32 v[4:5], s[0:1], v0, s23, v[4:5]
	v_mov_b32_e32 v3, v4
	v_lshlrev_b64 v[2:3], 2, v[2:3]
	v_mov_b32_e32 v0, s3
	v_add_co_u32_e32 v2, vcc, s2, v2
	v_addc_co_u32_e32 v3, vcc, v0, v3, vcc
	v_add_co_u32_e32 v0, vcc, v2, v1
	v_addc_co_u32_e32 v1, vcc, 0, v3, vcc
	global_store_dword v[0:1], v6, off
.LBB27_15:
	s_endpgm
	.section	.rodata,"a",@progbits
	.p2align	6, 0x0
	.amdhsa_kernel _ZL23rocblas_trmm_lTx_kernelILi32ELb0EffKffEv13rocblas_fill_17rocblas_diagonal_iiT2_lPT3_llS5_llPT4_lli
		.amdhsa_group_segment_fixed_size 8192
		.amdhsa_private_segment_fixed_size 0
		.amdhsa_kernarg_size 108
		.amdhsa_user_sgpr_count 6
		.amdhsa_user_sgpr_private_segment_buffer 1
		.amdhsa_user_sgpr_dispatch_ptr 0
		.amdhsa_user_sgpr_queue_ptr 0
		.amdhsa_user_sgpr_kernarg_segment_ptr 1
		.amdhsa_user_sgpr_dispatch_id 0
		.amdhsa_user_sgpr_flat_scratch_init 0
		.amdhsa_user_sgpr_kernarg_preload_length 0
		.amdhsa_user_sgpr_kernarg_preload_offset 0
		.amdhsa_user_sgpr_private_segment_size 0
		.amdhsa_uses_dynamic_stack 0
		.amdhsa_system_sgpr_private_segment_wavefront_offset 0
		.amdhsa_system_sgpr_workgroup_id_x 1
		.amdhsa_system_sgpr_workgroup_id_y 0
		.amdhsa_system_sgpr_workgroup_id_z 1
		.amdhsa_system_sgpr_workgroup_info 0
		.amdhsa_system_vgpr_workitem_id 1
		.amdhsa_next_free_vgpr 25
		.amdhsa_next_free_sgpr 29
		.amdhsa_accum_offset 28
		.amdhsa_reserve_vcc 1
		.amdhsa_reserve_flat_scratch 0
		.amdhsa_float_round_mode_32 0
		.amdhsa_float_round_mode_16_64 0
		.amdhsa_float_denorm_mode_32 3
		.amdhsa_float_denorm_mode_16_64 3
		.amdhsa_dx10_clamp 1
		.amdhsa_ieee_mode 1
		.amdhsa_fp16_overflow 0
		.amdhsa_tg_split 0
		.amdhsa_exception_fp_ieee_invalid_op 0
		.amdhsa_exception_fp_denorm_src 0
		.amdhsa_exception_fp_ieee_div_zero 0
		.amdhsa_exception_fp_ieee_overflow 0
		.amdhsa_exception_fp_ieee_underflow 0
		.amdhsa_exception_fp_ieee_inexact 0
		.amdhsa_exception_int_div_zero 0
	.end_amdhsa_kernel
	.section	.text._ZL23rocblas_trmm_lTx_kernelILi32ELb0EffKffEv13rocblas_fill_17rocblas_diagonal_iiT2_lPT3_llS5_llPT4_lli,"axG",@progbits,_ZL23rocblas_trmm_lTx_kernelILi32ELb0EffKffEv13rocblas_fill_17rocblas_diagonal_iiT2_lPT3_llS5_llPT4_lli,comdat
.Lfunc_end27:
	.size	_ZL23rocblas_trmm_lTx_kernelILi32ELb0EffKffEv13rocblas_fill_17rocblas_diagonal_iiT2_lPT3_llS5_llPT4_lli, .Lfunc_end27-_ZL23rocblas_trmm_lTx_kernelILi32ELb0EffKffEv13rocblas_fill_17rocblas_diagonal_iiT2_lPT3_llS5_llPT4_lli
                                        ; -- End function
	.section	.AMDGPU.csdata,"",@progbits
; Kernel info:
; codeLenInByte = 1196
; NumSgprs: 33
; NumVgprs: 25
; NumAgprs: 0
; TotalNumVgprs: 25
; ScratchSize: 0
; MemoryBound: 0
; FloatMode: 240
; IeeeMode: 1
; LDSByteSize: 8192 bytes/workgroup (compile time only)
; SGPRBlocks: 4
; VGPRBlocks: 3
; NumSGPRsForWavesPerEU: 33
; NumVGPRsForWavesPerEU: 25
; AccumOffset: 28
; Occupancy: 8
; WaveLimiterHint : 0
; COMPUTE_PGM_RSRC2:SCRATCH_EN: 0
; COMPUTE_PGM_RSRC2:USER_SGPR: 6
; COMPUTE_PGM_RSRC2:TRAP_HANDLER: 0
; COMPUTE_PGM_RSRC2:TGID_X_EN: 1
; COMPUTE_PGM_RSRC2:TGID_Y_EN: 0
; COMPUTE_PGM_RSRC2:TGID_Z_EN: 1
; COMPUTE_PGM_RSRC2:TIDIG_COMP_CNT: 1
; COMPUTE_PGM_RSRC3_GFX90A:ACCUM_OFFSET: 6
; COMPUTE_PGM_RSRC3_GFX90A:TG_SPLIT: 0
	.section	.text._ZL23rocblas_trmm_lTx_kernelILi32ELb1EfPKfS0_fEv13rocblas_fill_17rocblas_diagonal_iiT2_lPT3_llS6_llPT4_lli,"axG",@progbits,_ZL23rocblas_trmm_lTx_kernelILi32ELb1EfPKfS0_fEv13rocblas_fill_17rocblas_diagonal_iiT2_lPT3_llS6_llPT4_lli,comdat
	.globl	_ZL23rocblas_trmm_lTx_kernelILi32ELb1EfPKfS0_fEv13rocblas_fill_17rocblas_diagonal_iiT2_lPT3_llS6_llPT4_lli ; -- Begin function _ZL23rocblas_trmm_lTx_kernelILi32ELb1EfPKfS0_fEv13rocblas_fill_17rocblas_diagonal_iiT2_lPT3_llS6_llPT4_lli
	.p2align	8
	.type	_ZL23rocblas_trmm_lTx_kernelILi32ELb1EfPKfS0_fEv13rocblas_fill_17rocblas_diagonal_iiT2_lPT3_llS6_llPT4_lli,@function
_ZL23rocblas_trmm_lTx_kernelILi32ELb1EfPKfS0_fEv13rocblas_fill_17rocblas_diagonal_iiT2_lPT3_llS6_llPT4_lli: ; @_ZL23rocblas_trmm_lTx_kernelILi32ELb1EfPKfS0_fEv13rocblas_fill_17rocblas_diagonal_iiT2_lPT3_llS6_llPT4_lli
; %bb.0:
	s_load_dwordx16 s[8:23], s[4:5], 0x10
	s_waitcnt lgkmcnt(0)
	s_mul_i32 s0, s7, s11
	s_mul_hi_u32 s1, s7, s10
	s_add_i32 s1, s1, s0
	s_mul_i32 s0, s7, s10
	s_lshl_b64 s[0:1], s[0:1], 2
	s_add_u32 s0, s8, s0
	s_addc_u32 s1, s9, s1
	s_load_dword s24, s[0:1], 0x0
	s_waitcnt lgkmcnt(0)
	v_cmp_eq_f32_e64 s[0:1], s24, 0
	s_and_b64 vcc, exec, s[0:1]
	s_cbranch_vccnz .LBB28_15
; %bb.1:
	s_load_dwordx4 s[8:11], s[4:5], 0x0
	v_and_b32_e32 v4, 0x3ff, v0
	v_bfe_u32 v0, v0, 10, 10
	v_lshlrev_b32_e32 v2, 5, v0
	v_add_lshl_u32 v3, v2, v4, 2
	v_mov_b32_e32 v1, 0
	s_waitcnt lgkmcnt(0)
	v_cmp_gt_i32_e64 s[0:1], s10, v0
	v_cmp_gt_i32_e32 vcc, s10, v4
	ds_write2st64_b32 v3, v1, v1 offset1:16
	s_and_b64 s[0:1], s[0:1], vcc
	v_lshlrev_b32_e32 v1, 2, v4
	s_waitcnt lgkmcnt(0)
	s_barrier
	s_and_saveexec_b64 s[2:3], s[0:1]
	s_cbranch_execz .LBB28_3
; %bb.2:
	s_mul_i32 s0, s7, s17
	s_mul_hi_u32 s1, s7, s16
	s_add_i32 s1, s1, s0
	s_mul_i32 s0, s7, s16
	s_lshl_b64 s[0:1], s[0:1], 2
	s_add_u32 s10, s12, s0
	s_addc_u32 s12, s13, s1
	v_mad_u64_u32 v[6:7], s[0:1], v0, s14, 0
	v_mov_b32_e32 v8, v7
	v_mad_u64_u32 v[8:9], s[0:1], v0, s15, v[8:9]
	v_mov_b32_e32 v7, v8
	v_lshlrev_b64 v[6:7], 2, v[6:7]
	v_mov_b32_e32 v5, s12
	v_add_co_u32_e64 v6, s[0:1], s10, v6
	v_addc_co_u32_e64 v5, s[0:1], v5, v7, s[0:1]
	v_add_co_u32_e64 v6, s[0:1], v6, v1
	v_addc_co_u32_e64 v7, s[0:1], 0, v5, s[0:1]
	global_load_dword v5, v[6:7], off
	v_lshlrev_b32_e32 v6, 5, v4
	v_add_lshl_u32 v6, v6, v0, 2
	s_waitcnt vmcnt(0)
	ds_write_b32 v6, v5
.LBB28_3:
	s_or_b64 exec, exec, s[2:3]
	s_add_i32 s0, s11, -1
	s_ashr_i32 s1, s0, 31
	s_lshr_b32 s1, s1, 27
	s_add_i32 s0, s0, s1
	s_ashr_i32 s1, s0, 5
	s_andn2_b32 s0, s0, 31
	s_sub_i32 s0, s11, s0
	s_cmp_ge_i32 s6, s1
	s_cselect_b32 s0, s0, 32
	s_lshl_b32 s6, s6, 5
	v_cmp_gt_i32_e64 s[0:1], s0, v0
	s_ashr_i32 s10, s6, 31
	s_and_b64 s[0:1], vcc, s[0:1]
	s_and_saveexec_b64 s[2:3], s[0:1]
	s_cbranch_execz .LBB28_5
; %bb.4:
	s_mul_i32 s11, s7, s23
	s_mul_hi_u32 s12, s7, s22
	s_add_i32 s13, s12, s11
	s_mul_i32 s12, s7, s22
	s_lshl_b64 s[12:13], s[12:13], 2
	s_add_u32 s11, s18, s12
	s_addc_u32 s14, s19, s13
	s_mul_i32 s12, s6, s21
	s_mul_hi_u32 s13, s6, s20
	s_add_i32 s12, s13, s12
	s_mul_i32 s13, s10, s20
	s_add_i32 s13, s12, s13
	s_mul_i32 s12, s6, s20
	s_lshl_b64 s[12:13], s[12:13], 2
	s_add_u32 s11, s11, s12
	s_addc_u32 s14, s14, s13
	v_mad_u64_u32 v[6:7], s[12:13], v0, s20, 0
	v_mov_b32_e32 v8, v7
	v_mad_u64_u32 v[8:9], s[12:13], v0, s21, v[8:9]
	v_mov_b32_e32 v7, v8
	v_lshlrev_b64 v[6:7], 2, v[6:7]
	v_mov_b32_e32 v5, s14
	v_add_co_u32_e32 v6, vcc, s11, v6
	v_addc_co_u32_e32 v5, vcc, v5, v7, vcc
	v_add_co_u32_e32 v6, vcc, v6, v1
	v_addc_co_u32_e32 v7, vcc, 0, v5, vcc
	global_load_dword v5, v[6:7], off
	v_add_u32_e32 v6, 0x1000, v3
	s_waitcnt vmcnt(0)
	ds_write_b32 v6, v5
.LBB28_5:
	s_or_b64 exec, exec, s[2:3]
	s_cmpk_eq_i32 s9, 0x84
	s_cselect_b64 s[2:3], -1, 0
	v_cmp_eq_u32_e32 vcc, v0, v4
	s_and_b64 s[12:13], vcc, s[2:3]
	s_and_saveexec_b64 s[2:3], s[12:13]
	s_cbranch_execz .LBB28_7
; %bb.6:
	v_mov_b32_e32 v5, 1.0
	ds_write_b32 v3, v5
.LBB28_7:
	s_or_b64 exec, exec, s[2:3]
	s_cmpk_lg_i32 s8, 0x7a
	s_waitcnt lgkmcnt(0)
	s_barrier
	s_cbranch_scc0 .LBB28_9
; %bb.8:
	v_cmp_lt_u32_e32 vcc, v4, v0
	s_and_b64 s[2:3], vcc, exec
	s_cbranch_execz .LBB28_10
	s_branch .LBB28_11
.LBB28_9:
	s_mov_b64 s[2:3], 0
.LBB28_10:
	v_cmp_gt_u32_e32 vcc, v4, v0
	s_andn2_b64 s[2:3], s[2:3], exec
	s_and_b64 s[8:9], vcc, exec
	s_or_b64 s[2:3], s[2:3], s[8:9]
.LBB28_11:
	s_and_saveexec_b64 s[8:9], s[2:3]
	s_cbranch_execz .LBB28_13
; %bb.12:
	v_mov_b32_e32 v4, 0
	ds_write_b32 v3, v4
.LBB28_13:
	s_or_b64 exec, exec, s[8:9]
	s_waitcnt lgkmcnt(0)
	s_barrier
	s_and_saveexec_b64 s[2:3], s[0:1]
	s_cbranch_execz .LBB28_15
; %bb.14:
	s_load_dwordx2 s[8:9], s[4:5], 0x60
	s_load_dwordx4 s[0:3], s[4:5], 0x50
	ds_read2_b32 v[18:19], v1 offset1:32
	v_lshlrev_b32_e32 v24, 2, v2
	ds_read_b128 v[2:5], v24 offset:4096
	ds_read_b128 v[6:9], v24 offset:4112
	ds_read2_b32 v[20:21], v1 offset0:64 offset1:96
	ds_read_b128 v[10:13], v24 offset:4128
	ds_read_b128 v[14:17], v24 offset:4144
	ds_read2_b32 v[22:23], v1 offset0:128 offset1:160
	s_waitcnt lgkmcnt(0)
	s_mul_i32 s5, s7, s9
	v_fma_f32 v18, v18, v2, 0
	v_fmac_f32_e32 v18, v19, v3
	ds_read2_b32 v[2:3], v1 offset0:192 offset1:224
	v_fmac_f32_e32 v18, v20, v4
	v_add_u32_e32 v19, 0x400, v1
	v_fmac_f32_e32 v18, v21, v5
	ds_read2_b32 v[4:5], v19 offset1:32
	v_fmac_f32_e32 v18, v22, v6
	v_fmac_f32_e32 v18, v23, v7
	ds_read2_b32 v[6:7], v19 offset0:64 offset1:96
	s_waitcnt lgkmcnt(2)
	v_fmac_f32_e32 v18, v2, v8
	v_fmac_f32_e32 v18, v3, v9
	ds_read2_b32 v[2:3], v19 offset0:128 offset1:160
	s_waitcnt lgkmcnt(2)
	v_fmac_f32_e32 v18, v4, v10
	v_fmac_f32_e32 v18, v5, v11
	s_waitcnt lgkmcnt(1)
	v_fmac_f32_e32 v18, v6, v12
	v_fmac_f32_e32 v18, v7, v13
	ds_read2_b32 v[6:7], v19 offset0:192 offset1:224
	s_waitcnt lgkmcnt(1)
	v_fmac_f32_e32 v18, v2, v14
	v_add_u32_e32 v19, 0x800, v1
	v_fmac_f32_e32 v18, v3, v15
	ds_read2_b32 v[10:11], v19 offset1:32
	ds_read_b128 v[2:5], v24 offset:4160
	s_waitcnt lgkmcnt(2)
	v_fmac_f32_e32 v18, v6, v16
	v_fmac_f32_e32 v18, v7, v17
	ds_read2_b32 v[12:13], v19 offset0:64 offset1:96
	ds_read_b128 v[6:9], v24 offset:4176
	ds_read2_b32 v[14:15], v19 offset0:128 offset1:160
	s_waitcnt lgkmcnt(3)
	v_fmac_f32_e32 v18, v10, v2
	v_fmac_f32_e32 v18, v11, v3
	ds_read2_b32 v[2:3], v19 offset0:192 offset1:224
	s_waitcnt lgkmcnt(3)
	v_fmac_f32_e32 v18, v12, v4
	v_fmac_f32_e32 v18, v13, v5
	s_waitcnt lgkmcnt(1)
	v_pk_mul_f32 v[4:5], v[14:15], v[6:7]
	v_add_f32_e32 v4, v18, v4
	v_add_u32_e32 v14, 0xc00, v1
	v_add_f32_e32 v12, v4, v5
	s_waitcnt lgkmcnt(0)
	v_pk_mul_f32 v[6:7], v[2:3], v[8:9]
	ds_read2_b32 v[10:11], v14 offset1:32
	ds_read_b128 v[2:5], v24 offset:4192
	v_add_f32_e32 v6, v12, v6
	v_add_f32_e32 v15, v6, v7
	ds_read2_b32 v[12:13], v14 offset0:64 offset1:96
	ds_read_b128 v[6:9], v24 offset:4208
	s_mul_hi_u32 s9, s7, s8
	s_waitcnt lgkmcnt(2)
	v_pk_mul_f32 v[2:3], v[10:11], v[2:3]
	v_add_f32_e32 v2, v15, v2
	v_add_f32_e32 v10, v2, v3
	ds_read2_b32 v[2:3], v14 offset0:128 offset1:160
	s_waitcnt lgkmcnt(2)
	v_pk_mul_f32 v[4:5], v[12:13], v[4:5]
	v_add_f32_e32 v4, v10, v4
	ds_read2_b32 v[10:11], v14 offset0:192 offset1:224
	s_mul_i32 s4, s7, s8
	s_add_i32 s5, s9, s5
	s_lshl_b64 s[4:5], s[4:5], 2
	s_mul_i32 s7, s6, s3
	s_add_u32 s4, s0, s4
	s_mul_hi_u32 s0, s6, s2
	v_add_f32_e32 v4, v4, v5
	s_waitcnt lgkmcnt(1)
	v_pk_mul_f32 v[2:3], v[2:3], v[6:7]
	s_addc_u32 s5, s1, s5
	s_add_i32 s0, s0, s7
	s_mul_i32 s10, s10, s2
	v_add_f32_e32 v2, v4, v2
	s_add_i32 s1, s0, s10
	s_mul_i32 s0, s6, s2
	v_add_f32_e32 v4, v2, v3
	s_waitcnt lgkmcnt(0)
	v_pk_mul_f32 v[2:3], v[10:11], v[8:9]
	s_lshl_b64 s[0:1], s[0:1], 2
	v_add_f32_e32 v2, v4, v2
	s_add_u32 s4, s4, s0
	v_add_f32_e32 v2, v2, v3
	s_addc_u32 s5, s5, s1
	v_mul_f32_e32 v6, s24, v2
	v_mad_u64_u32 v[2:3], s[0:1], v0, s2, 0
	v_mov_b32_e32 v4, v3
	v_mad_u64_u32 v[4:5], s[0:1], v0, s3, v[4:5]
	v_mov_b32_e32 v3, v4
	v_lshlrev_b64 v[2:3], 2, v[2:3]
	v_mov_b32_e32 v0, s5
	v_add_co_u32_e32 v2, vcc, s4, v2
	v_addc_co_u32_e32 v3, vcc, v0, v3, vcc
	v_add_co_u32_e32 v0, vcc, v2, v1
	v_addc_co_u32_e32 v1, vcc, 0, v3, vcc
	global_store_dword v[0:1], v6, off
.LBB28_15:
	s_endpgm
	.section	.rodata,"a",@progbits
	.p2align	6, 0x0
	.amdhsa_kernel _ZL23rocblas_trmm_lTx_kernelILi32ELb1EfPKfS0_fEv13rocblas_fill_17rocblas_diagonal_iiT2_lPT3_llS6_llPT4_lli
		.amdhsa_group_segment_fixed_size 8192
		.amdhsa_private_segment_fixed_size 0
		.amdhsa_kernarg_size 108
		.amdhsa_user_sgpr_count 6
		.amdhsa_user_sgpr_private_segment_buffer 1
		.amdhsa_user_sgpr_dispatch_ptr 0
		.amdhsa_user_sgpr_queue_ptr 0
		.amdhsa_user_sgpr_kernarg_segment_ptr 1
		.amdhsa_user_sgpr_dispatch_id 0
		.amdhsa_user_sgpr_flat_scratch_init 0
		.amdhsa_user_sgpr_kernarg_preload_length 0
		.amdhsa_user_sgpr_kernarg_preload_offset 0
		.amdhsa_user_sgpr_private_segment_size 0
		.amdhsa_uses_dynamic_stack 0
		.amdhsa_system_sgpr_private_segment_wavefront_offset 0
		.amdhsa_system_sgpr_workgroup_id_x 1
		.amdhsa_system_sgpr_workgroup_id_y 0
		.amdhsa_system_sgpr_workgroup_id_z 1
		.amdhsa_system_sgpr_workgroup_info 0
		.amdhsa_system_vgpr_workitem_id 1
		.amdhsa_next_free_vgpr 25
		.amdhsa_next_free_sgpr 25
		.amdhsa_accum_offset 28
		.amdhsa_reserve_vcc 1
		.amdhsa_reserve_flat_scratch 0
		.amdhsa_float_round_mode_32 0
		.amdhsa_float_round_mode_16_64 0
		.amdhsa_float_denorm_mode_32 3
		.amdhsa_float_denorm_mode_16_64 3
		.amdhsa_dx10_clamp 1
		.amdhsa_ieee_mode 1
		.amdhsa_fp16_overflow 0
		.amdhsa_tg_split 0
		.amdhsa_exception_fp_ieee_invalid_op 0
		.amdhsa_exception_fp_denorm_src 0
		.amdhsa_exception_fp_ieee_div_zero 0
		.amdhsa_exception_fp_ieee_overflow 0
		.amdhsa_exception_fp_ieee_underflow 0
		.amdhsa_exception_fp_ieee_inexact 0
		.amdhsa_exception_int_div_zero 0
	.end_amdhsa_kernel
	.section	.text._ZL23rocblas_trmm_lTx_kernelILi32ELb1EfPKfS0_fEv13rocblas_fill_17rocblas_diagonal_iiT2_lPT3_llS6_llPT4_lli,"axG",@progbits,_ZL23rocblas_trmm_lTx_kernelILi32ELb1EfPKfS0_fEv13rocblas_fill_17rocblas_diagonal_iiT2_lPT3_llS6_llPT4_lli,comdat
.Lfunc_end28:
	.size	_ZL23rocblas_trmm_lTx_kernelILi32ELb1EfPKfS0_fEv13rocblas_fill_17rocblas_diagonal_iiT2_lPT3_llS6_llPT4_lli, .Lfunc_end28-_ZL23rocblas_trmm_lTx_kernelILi32ELb1EfPKfS0_fEv13rocblas_fill_17rocblas_diagonal_iiT2_lPT3_llS6_llPT4_lli
                                        ; -- End function
	.section	.AMDGPU.csdata,"",@progbits
; Kernel info:
; codeLenInByte = 1236
; NumSgprs: 29
; NumVgprs: 25
; NumAgprs: 0
; TotalNumVgprs: 25
; ScratchSize: 0
; MemoryBound: 0
; FloatMode: 240
; IeeeMode: 1
; LDSByteSize: 8192 bytes/workgroup (compile time only)
; SGPRBlocks: 3
; VGPRBlocks: 3
; NumSGPRsForWavesPerEU: 29
; NumVGPRsForWavesPerEU: 25
; AccumOffset: 28
; Occupancy: 8
; WaveLimiterHint : 0
; COMPUTE_PGM_RSRC2:SCRATCH_EN: 0
; COMPUTE_PGM_RSRC2:USER_SGPR: 6
; COMPUTE_PGM_RSRC2:TRAP_HANDLER: 0
; COMPUTE_PGM_RSRC2:TGID_X_EN: 1
; COMPUTE_PGM_RSRC2:TGID_Y_EN: 0
; COMPUTE_PGM_RSRC2:TGID_Z_EN: 1
; COMPUTE_PGM_RSRC2:TIDIG_COMP_CNT: 1
; COMPUTE_PGM_RSRC3_GFX90A:ACCUM_OFFSET: 6
; COMPUTE_PGM_RSRC3_GFX90A:TG_SPLIT: 0
	.section	.text._ZL23rocblas_trmm_lTx_kernelILi32ELb1EffKffEv13rocblas_fill_17rocblas_diagonal_iiT2_lPT3_llS5_llPT4_lli,"axG",@progbits,_ZL23rocblas_trmm_lTx_kernelILi32ELb1EffKffEv13rocblas_fill_17rocblas_diagonal_iiT2_lPT3_llS5_llPT4_lli,comdat
	.globl	_ZL23rocblas_trmm_lTx_kernelILi32ELb1EffKffEv13rocblas_fill_17rocblas_diagonal_iiT2_lPT3_llS5_llPT4_lli ; -- Begin function _ZL23rocblas_trmm_lTx_kernelILi32ELb1EffKffEv13rocblas_fill_17rocblas_diagonal_iiT2_lPT3_llS5_llPT4_lli
	.p2align	8
	.type	_ZL23rocblas_trmm_lTx_kernelILi32ELb1EffKffEv13rocblas_fill_17rocblas_diagonal_iiT2_lPT3_llS5_llPT4_lli,@function
_ZL23rocblas_trmm_lTx_kernelILi32ELb1EffKffEv13rocblas_fill_17rocblas_diagonal_iiT2_lPT3_llS5_llPT4_lli: ; @_ZL23rocblas_trmm_lTx_kernelILi32ELb1EffKffEv13rocblas_fill_17rocblas_diagonal_iiT2_lPT3_llS5_llPT4_lli
; %bb.0:
	s_load_dword s28, s[4:5], 0x10
	s_waitcnt lgkmcnt(0)
	v_cmp_eq_f32_e64 s[0:1], s28, 0
	s_and_b64 vcc, exec, s[0:1]
	s_cbranch_vccnz .LBB29_15
; %bb.1:
	s_load_dwordx4 s[24:27], s[4:5], 0x0
	s_load_dwordx16 s[8:23], s[4:5], 0x20
	v_and_b32_e32 v4, 0x3ff, v0
	v_bfe_u32 v0, v0, 10, 10
	v_lshlrev_b32_e32 v2, 5, v0
	v_add_lshl_u32 v3, v2, v4, 2
	v_mov_b32_e32 v1, 0
	s_waitcnt lgkmcnt(0)
	v_cmp_gt_i32_e64 s[0:1], s26, v0
	v_cmp_gt_i32_e32 vcc, s26, v4
	ds_write2st64_b32 v3, v1, v1 offset1:16
	s_and_b64 s[0:1], s[0:1], vcc
	v_lshlrev_b32_e32 v1, 2, v4
	s_waitcnt lgkmcnt(0)
	s_barrier
	s_and_saveexec_b64 s[2:3], s[0:1]
	s_cbranch_execz .LBB29_3
; %bb.2:
	s_mul_i32 s0, s7, s13
	s_mul_hi_u32 s1, s7, s12
	s_add_i32 s1, s1, s0
	s_mul_i32 s0, s7, s12
	s_lshl_b64 s[0:1], s[0:1], 2
	s_add_u32 s8, s8, s0
	s_addc_u32 s9, s9, s1
	v_mad_u64_u32 v[6:7], s[0:1], v0, s10, 0
	v_mov_b32_e32 v8, v7
	v_mad_u64_u32 v[8:9], s[0:1], v0, s11, v[8:9]
	v_mov_b32_e32 v7, v8
	v_lshlrev_b64 v[6:7], 2, v[6:7]
	v_mov_b32_e32 v5, s9
	v_add_co_u32_e64 v6, s[0:1], s8, v6
	v_addc_co_u32_e64 v5, s[0:1], v5, v7, s[0:1]
	v_add_co_u32_e64 v6, s[0:1], v6, v1
	v_addc_co_u32_e64 v7, s[0:1], 0, v5, s[0:1]
	global_load_dword v5, v[6:7], off
	v_lshlrev_b32_e32 v6, 5, v4
	v_add_lshl_u32 v6, v6, v0, 2
	s_waitcnt vmcnt(0)
	ds_write_b32 v6, v5
.LBB29_3:
	s_or_b64 exec, exec, s[2:3]
	s_add_i32 s0, s27, -1
	s_ashr_i32 s1, s0, 31
	s_lshr_b32 s1, s1, 27
	s_add_i32 s0, s0, s1
	s_ashr_i32 s1, s0, 5
	s_andn2_b32 s0, s0, 31
	s_sub_i32 s0, s27, s0
	s_cmp_ge_i32 s6, s1
	s_cselect_b32 s0, s0, 32
	s_lshl_b32 s6, s6, 5
	v_cmp_gt_i32_e64 s[0:1], s0, v0
	s_ashr_i32 s10, s6, 31
	s_and_b64 s[0:1], vcc, s[0:1]
	s_and_saveexec_b64 s[2:3], s[0:1]
	s_cbranch_execz .LBB29_5
; %bb.4:
	s_mul_i32 s8, s7, s19
	s_mul_hi_u32 s9, s7, s18
	s_add_i32 s9, s9, s8
	s_mul_i32 s8, s7, s18
	s_lshl_b64 s[8:9], s[8:9], 2
	s_add_u32 s11, s14, s8
	s_addc_u32 s12, s15, s9
	s_mul_i32 s8, s6, s17
	s_mul_hi_u32 s9, s6, s16
	s_add_i32 s8, s9, s8
	s_mul_i32 s9, s10, s16
	s_add_i32 s9, s8, s9
	s_mul_i32 s8, s6, s16
	s_lshl_b64 s[8:9], s[8:9], 2
	s_add_u32 s11, s11, s8
	s_addc_u32 s12, s12, s9
	v_mad_u64_u32 v[6:7], s[8:9], v0, s16, 0
	v_mov_b32_e32 v8, v7
	v_mad_u64_u32 v[8:9], s[8:9], v0, s17, v[8:9]
	v_mov_b32_e32 v7, v8
	v_lshlrev_b64 v[6:7], 2, v[6:7]
	v_mov_b32_e32 v5, s12
	v_add_co_u32_e32 v6, vcc, s11, v6
	v_addc_co_u32_e32 v5, vcc, v5, v7, vcc
	v_add_co_u32_e32 v6, vcc, v6, v1
	v_addc_co_u32_e32 v7, vcc, 0, v5, vcc
	global_load_dword v5, v[6:7], off
	v_add_u32_e32 v6, 0x1000, v3
	s_waitcnt vmcnt(0)
	ds_write_b32 v6, v5
.LBB29_5:
	s_or_b64 exec, exec, s[2:3]
	s_cmpk_eq_i32 s25, 0x84
	s_cselect_b64 s[2:3], -1, 0
	v_cmp_eq_u32_e32 vcc, v0, v4
	s_and_b64 s[8:9], vcc, s[2:3]
	s_and_saveexec_b64 s[2:3], s[8:9]
	s_cbranch_execz .LBB29_7
; %bb.6:
	v_mov_b32_e32 v5, 1.0
	ds_write_b32 v3, v5
.LBB29_7:
	s_or_b64 exec, exec, s[2:3]
	s_cmpk_lg_i32 s24, 0x7a
	s_waitcnt lgkmcnt(0)
	s_barrier
	s_cbranch_scc0 .LBB29_9
; %bb.8:
	v_cmp_lt_u32_e32 vcc, v4, v0
	s_and_b64 s[2:3], vcc, exec
	s_cbranch_execz .LBB29_10
	s_branch .LBB29_11
.LBB29_9:
	s_mov_b64 s[2:3], 0
.LBB29_10:
	v_cmp_gt_u32_e32 vcc, v4, v0
	s_andn2_b64 s[2:3], s[2:3], exec
	s_and_b64 s[8:9], vcc, exec
	s_or_b64 s[2:3], s[2:3], s[8:9]
.LBB29_11:
	s_and_saveexec_b64 s[8:9], s[2:3]
	s_cbranch_execz .LBB29_13
; %bb.12:
	v_mov_b32_e32 v4, 0
	ds_write_b32 v3, v4
.LBB29_13:
	s_or_b64 exec, exec, s[8:9]
	s_waitcnt lgkmcnt(0)
	s_barrier
	s_and_saveexec_b64 s[2:3], s[0:1]
	s_cbranch_execz .LBB29_15
; %bb.14:
	ds_read2_b32 v[18:19], v1 offset1:32
	v_lshlrev_b32_e32 v24, 2, v2
	ds_read_b128 v[2:5], v24 offset:4096
	ds_read_b128 v[6:9], v24 offset:4112
	ds_read2_b32 v[20:21], v1 offset0:64 offset1:96
	ds_read_b128 v[10:13], v24 offset:4128
	ds_read_b128 v[14:17], v24 offset:4144
	ds_read2_b32 v[22:23], v1 offset0:128 offset1:160
	s_load_dwordx2 s[0:1], s[4:5], 0x60
	s_waitcnt lgkmcnt(0)
	v_fma_f32 v18, v18, v2, 0
	v_fmac_f32_e32 v18, v19, v3
	ds_read2_b32 v[2:3], v1 offset0:192 offset1:224
	v_fmac_f32_e32 v18, v20, v4
	v_add_u32_e32 v19, 0x400, v1
	v_fmac_f32_e32 v18, v21, v5
	ds_read2_b32 v[4:5], v19 offset1:32
	v_fmac_f32_e32 v18, v22, v6
	v_fmac_f32_e32 v18, v23, v7
	ds_read2_b32 v[6:7], v19 offset0:64 offset1:96
	s_waitcnt lgkmcnt(2)
	v_fmac_f32_e32 v18, v2, v8
	v_fmac_f32_e32 v18, v3, v9
	ds_read2_b32 v[2:3], v19 offset0:128 offset1:160
	s_waitcnt lgkmcnt(2)
	v_fmac_f32_e32 v18, v4, v10
	v_fmac_f32_e32 v18, v5, v11
	s_waitcnt lgkmcnt(1)
	v_fmac_f32_e32 v18, v6, v12
	v_fmac_f32_e32 v18, v7, v13
	ds_read2_b32 v[6:7], v19 offset0:192 offset1:224
	s_waitcnt lgkmcnt(1)
	v_fmac_f32_e32 v18, v2, v14
	v_add_u32_e32 v19, 0x800, v1
	v_fmac_f32_e32 v18, v3, v15
	ds_read2_b32 v[10:11], v19 offset1:32
	ds_read_b128 v[2:5], v24 offset:4160
	s_waitcnt lgkmcnt(2)
	v_fmac_f32_e32 v18, v6, v16
	v_fmac_f32_e32 v18, v7, v17
	ds_read2_b32 v[12:13], v19 offset0:64 offset1:96
	ds_read_b128 v[6:9], v24 offset:4176
	ds_read2_b32 v[14:15], v19 offset0:128 offset1:160
	s_waitcnt lgkmcnt(3)
	v_fmac_f32_e32 v18, v10, v2
	v_fmac_f32_e32 v18, v11, v3
	ds_read2_b32 v[2:3], v19 offset0:192 offset1:224
	s_waitcnt lgkmcnt(3)
	v_fmac_f32_e32 v18, v12, v4
	v_fmac_f32_e32 v18, v13, v5
	s_waitcnt lgkmcnt(1)
	v_pk_mul_f32 v[4:5], v[14:15], v[6:7]
	v_add_f32_e32 v4, v18, v4
	v_add_u32_e32 v14, 0xc00, v1
	v_add_f32_e32 v12, v4, v5
	s_waitcnt lgkmcnt(0)
	v_pk_mul_f32 v[6:7], v[2:3], v[8:9]
	ds_read2_b32 v[10:11], v14 offset1:32
	ds_read_b128 v[2:5], v24 offset:4192
	v_add_f32_e32 v6, v12, v6
	v_add_f32_e32 v15, v6, v7
	ds_read2_b32 v[12:13], v14 offset0:64 offset1:96
	ds_read_b128 v[6:9], v24 offset:4208
	s_mul_i32 s1, s7, s1
	s_waitcnt lgkmcnt(2)
	v_pk_mul_f32 v[2:3], v[10:11], v[2:3]
	v_add_f32_e32 v2, v15, v2
	v_add_f32_e32 v10, v2, v3
	ds_read2_b32 v[2:3], v14 offset0:128 offset1:160
	s_waitcnt lgkmcnt(2)
	v_pk_mul_f32 v[4:5], v[12:13], v[4:5]
	s_mul_hi_u32 s4, s7, s0
	v_add_f32_e32 v4, v10, v4
	ds_read2_b32 v[10:11], v14 offset0:192 offset1:224
	s_mul_i32 s0, s7, s0
	s_add_i32 s1, s4, s1
	s_lshl_b64 s[0:1], s[0:1], 2
	s_mul_i32 s2, s6, s23
	s_mul_hi_u32 s3, s6, s22
	s_add_u32 s4, s20, s0
	v_add_f32_e32 v4, v4, v5
	s_waitcnt lgkmcnt(1)
	v_pk_mul_f32 v[2:3], v[2:3], v[6:7]
	s_addc_u32 s5, s21, s1
	s_add_i32 s0, s3, s2
	s_mul_i32 s10, s10, s22
	v_add_f32_e32 v2, v4, v2
	s_add_i32 s1, s0, s10
	s_mul_i32 s0, s6, s22
	v_add_f32_e32 v4, v2, v3
	s_waitcnt lgkmcnt(0)
	v_pk_mul_f32 v[2:3], v[10:11], v[8:9]
	s_lshl_b64 s[0:1], s[0:1], 2
	v_add_f32_e32 v2, v4, v2
	s_add_u32 s2, s4, s0
	v_add_f32_e32 v2, v2, v3
	s_addc_u32 s3, s5, s1
	v_mul_f32_e32 v6, s28, v2
	v_mad_u64_u32 v[2:3], s[0:1], v0, s22, 0
	v_mov_b32_e32 v4, v3
	v_mad_u64_u32 v[4:5], s[0:1], v0, s23, v[4:5]
	v_mov_b32_e32 v3, v4
	v_lshlrev_b64 v[2:3], 2, v[2:3]
	v_mov_b32_e32 v0, s3
	v_add_co_u32_e32 v2, vcc, s2, v2
	v_addc_co_u32_e32 v3, vcc, v0, v3, vcc
	v_add_co_u32_e32 v0, vcc, v2, v1
	v_addc_co_u32_e32 v1, vcc, 0, v3, vcc
	global_store_dword v[0:1], v6, off
.LBB29_15:
	s_endpgm
	.section	.rodata,"a",@progbits
	.p2align	6, 0x0
	.amdhsa_kernel _ZL23rocblas_trmm_lTx_kernelILi32ELb1EffKffEv13rocblas_fill_17rocblas_diagonal_iiT2_lPT3_llS5_llPT4_lli
		.amdhsa_group_segment_fixed_size 8192
		.amdhsa_private_segment_fixed_size 0
		.amdhsa_kernarg_size 108
		.amdhsa_user_sgpr_count 6
		.amdhsa_user_sgpr_private_segment_buffer 1
		.amdhsa_user_sgpr_dispatch_ptr 0
		.amdhsa_user_sgpr_queue_ptr 0
		.amdhsa_user_sgpr_kernarg_segment_ptr 1
		.amdhsa_user_sgpr_dispatch_id 0
		.amdhsa_user_sgpr_flat_scratch_init 0
		.amdhsa_user_sgpr_kernarg_preload_length 0
		.amdhsa_user_sgpr_kernarg_preload_offset 0
		.amdhsa_user_sgpr_private_segment_size 0
		.amdhsa_uses_dynamic_stack 0
		.amdhsa_system_sgpr_private_segment_wavefront_offset 0
		.amdhsa_system_sgpr_workgroup_id_x 1
		.amdhsa_system_sgpr_workgroup_id_y 0
		.amdhsa_system_sgpr_workgroup_id_z 1
		.amdhsa_system_sgpr_workgroup_info 0
		.amdhsa_system_vgpr_workitem_id 1
		.amdhsa_next_free_vgpr 25
		.amdhsa_next_free_sgpr 29
		.amdhsa_accum_offset 28
		.amdhsa_reserve_vcc 1
		.amdhsa_reserve_flat_scratch 0
		.amdhsa_float_round_mode_32 0
		.amdhsa_float_round_mode_16_64 0
		.amdhsa_float_denorm_mode_32 3
		.amdhsa_float_denorm_mode_16_64 3
		.amdhsa_dx10_clamp 1
		.amdhsa_ieee_mode 1
		.amdhsa_fp16_overflow 0
		.amdhsa_tg_split 0
		.amdhsa_exception_fp_ieee_invalid_op 0
		.amdhsa_exception_fp_denorm_src 0
		.amdhsa_exception_fp_ieee_div_zero 0
		.amdhsa_exception_fp_ieee_overflow 0
		.amdhsa_exception_fp_ieee_underflow 0
		.amdhsa_exception_fp_ieee_inexact 0
		.amdhsa_exception_int_div_zero 0
	.end_amdhsa_kernel
	.section	.text._ZL23rocblas_trmm_lTx_kernelILi32ELb1EffKffEv13rocblas_fill_17rocblas_diagonal_iiT2_lPT3_llS5_llPT4_lli,"axG",@progbits,_ZL23rocblas_trmm_lTx_kernelILi32ELb1EffKffEv13rocblas_fill_17rocblas_diagonal_iiT2_lPT3_llS5_llPT4_lli,comdat
.Lfunc_end29:
	.size	_ZL23rocblas_trmm_lTx_kernelILi32ELb1EffKffEv13rocblas_fill_17rocblas_diagonal_iiT2_lPT3_llS5_llPT4_lli, .Lfunc_end29-_ZL23rocblas_trmm_lTx_kernelILi32ELb1EffKffEv13rocblas_fill_17rocblas_diagonal_iiT2_lPT3_llS5_llPT4_lli
                                        ; -- End function
	.section	.AMDGPU.csdata,"",@progbits
; Kernel info:
; codeLenInByte = 1196
; NumSgprs: 33
; NumVgprs: 25
; NumAgprs: 0
; TotalNumVgprs: 25
; ScratchSize: 0
; MemoryBound: 0
; FloatMode: 240
; IeeeMode: 1
; LDSByteSize: 8192 bytes/workgroup (compile time only)
; SGPRBlocks: 4
; VGPRBlocks: 3
; NumSGPRsForWavesPerEU: 33
; NumVGPRsForWavesPerEU: 25
; AccumOffset: 28
; Occupancy: 8
; WaveLimiterHint : 0
; COMPUTE_PGM_RSRC2:SCRATCH_EN: 0
; COMPUTE_PGM_RSRC2:USER_SGPR: 6
; COMPUTE_PGM_RSRC2:TRAP_HANDLER: 0
; COMPUTE_PGM_RSRC2:TGID_X_EN: 1
; COMPUTE_PGM_RSRC2:TGID_Y_EN: 0
; COMPUTE_PGM_RSRC2:TGID_Z_EN: 1
; COMPUTE_PGM_RSRC2:TIDIG_COMP_CNT: 1
; COMPUTE_PGM_RSRC3_GFX90A:ACCUM_OFFSET: 6
; COMPUTE_PGM_RSRC3_GFX90A:TG_SPLIT: 0
	.section	.text._ZL23rocblas_trmm_rNx_kernelILi32EfPKfS0_fEv13rocblas_fill_17rocblas_diagonal_iiT1_lPT2_llS6_llPT3_lli,"axG",@progbits,_ZL23rocblas_trmm_rNx_kernelILi32EfPKfS0_fEv13rocblas_fill_17rocblas_diagonal_iiT1_lPT2_llS6_llPT3_lli,comdat
	.globl	_ZL23rocblas_trmm_rNx_kernelILi32EfPKfS0_fEv13rocblas_fill_17rocblas_diagonal_iiT1_lPT2_llS6_llPT3_lli ; -- Begin function _ZL23rocblas_trmm_rNx_kernelILi32EfPKfS0_fEv13rocblas_fill_17rocblas_diagonal_iiT1_lPT2_llS6_llPT3_lli
	.p2align	8
	.type	_ZL23rocblas_trmm_rNx_kernelILi32EfPKfS0_fEv13rocblas_fill_17rocblas_diagonal_iiT1_lPT2_llS6_llPT3_lli,@function
_ZL23rocblas_trmm_rNx_kernelILi32EfPKfS0_fEv13rocblas_fill_17rocblas_diagonal_iiT1_lPT2_llS6_llPT3_lli: ; @_ZL23rocblas_trmm_rNx_kernelILi32EfPKfS0_fEv13rocblas_fill_17rocblas_diagonal_iiT1_lPT2_llS6_llPT3_lli
; %bb.0:
	s_load_dwordx16 s[8:23], s[4:5], 0x10
	s_waitcnt lgkmcnt(0)
	s_mul_i32 s0, s7, s11
	s_mul_hi_u32 s1, s7, s10
	s_add_i32 s1, s1, s0
	s_mul_i32 s0, s7, s10
	s_lshl_b64 s[0:1], s[0:1], 2
	s_add_u32 s0, s8, s0
	s_addc_u32 s1, s9, s1
	s_load_dword s24, s[0:1], 0x0
	s_waitcnt lgkmcnt(0)
	v_cmp_eq_f32_e64 s[0:1], s24, 0
	s_and_b64 vcc, exec, s[0:1]
	s_cbranch_vccnz .LBB30_15
; %bb.1:
	s_load_dwordx4 s[8:11], s[4:5], 0x0
	v_and_b32_e32 v4, 0x3ff, v0
	v_bfe_u32 v0, v0, 10, 10
	v_lshlrev_b32_e32 v2, 5, v0
	v_add_lshl_u32 v3, v2, v4, 2
	v_mov_b32_e32 v1, 0
	s_waitcnt lgkmcnt(0)
	v_cmp_gt_i32_e32 vcc, s11, v0
	v_cmp_gt_i32_e64 s[0:1], s11, v4
	ds_write2st64_b32 v3, v1, v1 offset1:16
	s_and_b64 s[0:1], vcc, s[0:1]
	v_lshlrev_b32_e32 v1, 2, v4
	s_and_saveexec_b64 s[2:3], s[0:1]
	s_cbranch_execz .LBB30_3
; %bb.2:
	s_mul_i32 s0, s7, s17
	s_mul_hi_u32 s1, s7, s16
	s_add_i32 s1, s1, s0
	s_mul_i32 s0, s7, s16
	s_lshl_b64 s[0:1], s[0:1], 2
	s_add_u32 s11, s12, s0
	s_addc_u32 s12, s13, s1
	v_mad_u64_u32 v[6:7], s[0:1], v0, s14, 0
	v_mov_b32_e32 v8, v7
	v_mad_u64_u32 v[8:9], s[0:1], v0, s15, v[8:9]
	v_mov_b32_e32 v7, v8
	v_lshlrev_b64 v[6:7], 2, v[6:7]
	v_mov_b32_e32 v5, s12
	v_add_co_u32_e64 v6, s[0:1], s11, v6
	v_addc_co_u32_e64 v5, s[0:1], v5, v7, s[0:1]
	v_add_co_u32_e64 v6, s[0:1], v6, v1
	v_addc_co_u32_e64 v7, s[0:1], 0, v5, s[0:1]
	global_load_dword v5, v[6:7], off
	s_waitcnt vmcnt(0)
	ds_write_b32 v3, v5
.LBB30_3:
	s_or_b64 exec, exec, s[2:3]
	s_add_i32 s0, s10, -1
	s_ashr_i32 s1, s0, 31
	s_lshr_b32 s1, s1, 27
	s_add_i32 s0, s0, s1
	s_ashr_i32 s1, s0, 5
	s_andn2_b32 s0, s0, 31
	s_sub_i32 s0, s10, s0
	s_cmp_ge_i32 s6, s1
	s_cselect_b32 s0, s0, 32
	s_lshl_b32 s10, s6, 5
	v_cmp_gt_i32_e64 s[0:1], s0, v4
	s_ashr_i32 s11, s10, 31
	s_and_b64 s[0:1], vcc, s[0:1]
	s_and_saveexec_b64 s[2:3], s[0:1]
	s_cbranch_execz .LBB30_5
; %bb.4:
	s_mul_i32 s6, s7, s23
	s_mul_hi_u32 s12, s7, s22
	s_add_i32 s13, s12, s6
	s_mul_i32 s12, s7, s22
	s_lshl_b64 s[12:13], s[12:13], 2
	s_add_u32 s6, s18, s12
	s_addc_u32 s14, s19, s13
	s_lshl_b64 s[12:13], s[10:11], 2
	s_add_u32 s6, s6, s12
	s_addc_u32 s14, s14, s13
	v_mad_u64_u32 v[6:7], s[12:13], v0, s20, 0
	v_mov_b32_e32 v8, v7
	v_mad_u64_u32 v[8:9], s[12:13], v0, s21, v[8:9]
	v_mov_b32_e32 v7, v8
	v_lshlrev_b64 v[6:7], 2, v[6:7]
	v_mov_b32_e32 v5, s14
	v_add_co_u32_e32 v6, vcc, s6, v6
	v_addc_co_u32_e32 v5, vcc, v5, v7, vcc
	v_add_co_u32_e32 v6, vcc, v6, v1
	v_addc_co_u32_e32 v7, vcc, 0, v5, vcc
	global_load_dword v5, v[6:7], off
	v_add_u32_e32 v6, 0x1000, v3
	s_waitcnt vmcnt(0)
	ds_write_b32 v6, v5
.LBB30_5:
	s_or_b64 exec, exec, s[2:3]
	s_cmpk_eq_i32 s9, 0x84
	s_cselect_b64 s[2:3], -1, 0
	v_cmp_eq_u32_e32 vcc, v0, v4
	s_and_b64 s[12:13], vcc, s[2:3]
	s_and_saveexec_b64 s[2:3], s[12:13]
	s_cbranch_execz .LBB30_7
; %bb.6:
	v_mov_b32_e32 v5, 1.0
	ds_write_b32 v3, v5
.LBB30_7:
	s_or_b64 exec, exec, s[2:3]
	s_cmpk_lg_i32 s8, 0x79
	s_cbranch_scc0 .LBB30_9
; %bb.8:
	v_cmp_lt_u32_e32 vcc, v4, v0
	s_and_b64 s[2:3], vcc, exec
	s_cbranch_execz .LBB30_10
	s_branch .LBB30_11
.LBB30_9:
	s_mov_b64 s[2:3], 0
.LBB30_10:
	v_cmp_gt_u32_e32 vcc, v4, v0
	s_andn2_b64 s[2:3], s[2:3], exec
	s_and_b64 s[8:9], vcc, exec
	s_or_b64 s[2:3], s[2:3], s[8:9]
.LBB30_11:
	s_and_saveexec_b64 s[8:9], s[2:3]
	s_cbranch_execz .LBB30_13
; %bb.12:
	v_mov_b32_e32 v4, 0
	ds_write_b32 v3, v4
.LBB30_13:
	s_or_b64 exec, exec, s[8:9]
	s_waitcnt lgkmcnt(0)
	s_barrier
	s_and_saveexec_b64 s[2:3], s[0:1]
	s_cbranch_execz .LBB30_15
; %bb.14:
	v_add_u32_e32 v24, 0x1000, v1
	s_load_dwordx2 s[8:9], s[4:5], 0x60
	s_load_dwordx4 s[0:3], s[4:5], 0x50
	ds_read2_b32 v[18:19], v24 offset1:32
	v_lshlrev_b32_e32 v25, 2, v2
	ds_read_b128 v[2:5], v25
	ds_read_b128 v[6:9], v25 offset:16
	ds_read2_b32 v[20:21], v24 offset0:64 offset1:96
	ds_read_b128 v[10:13], v25 offset:32
	ds_read_b128 v[14:17], v25 offset:48
	ds_read2_b32 v[22:23], v24 offset0:128 offset1:160
	s_waitcnt lgkmcnt(0)
	s_mul_i32 s5, s7, s9
	v_fma_f32 v18, v18, v2, 0
	v_fmac_f32_e32 v18, v19, v3
	ds_read2_b32 v[2:3], v24 offset0:192 offset1:224
	v_fmac_f32_e32 v18, v20, v4
	v_add_u32_e32 v19, 0x1400, v1
	v_fmac_f32_e32 v18, v21, v5
	ds_read2_b32 v[4:5], v19 offset1:32
	v_fmac_f32_e32 v18, v22, v6
	v_fmac_f32_e32 v18, v23, v7
	ds_read2_b32 v[6:7], v19 offset0:64 offset1:96
	s_waitcnt lgkmcnt(2)
	v_fmac_f32_e32 v18, v2, v8
	v_fmac_f32_e32 v18, v3, v9
	ds_read2_b32 v[2:3], v19 offset0:128 offset1:160
	s_waitcnt lgkmcnt(2)
	v_fmac_f32_e32 v18, v4, v10
	v_fmac_f32_e32 v18, v5, v11
	s_waitcnt lgkmcnt(1)
	v_fmac_f32_e32 v18, v6, v12
	v_fmac_f32_e32 v18, v7, v13
	ds_read2_b32 v[6:7], v19 offset0:192 offset1:224
	s_waitcnt lgkmcnt(1)
	v_fmac_f32_e32 v18, v2, v14
	v_add_u32_e32 v19, 0x1800, v1
	v_fmac_f32_e32 v18, v3, v15
	ds_read2_b32 v[10:11], v19 offset1:32
	ds_read_b128 v[2:5], v25 offset:64
	s_waitcnt lgkmcnt(2)
	v_fmac_f32_e32 v18, v6, v16
	v_fmac_f32_e32 v18, v7, v17
	ds_read2_b32 v[12:13], v19 offset0:64 offset1:96
	ds_read_b128 v[6:9], v25 offset:80
	ds_read2_b32 v[14:15], v19 offset0:128 offset1:160
	s_waitcnt lgkmcnt(3)
	v_fmac_f32_e32 v18, v10, v2
	v_fmac_f32_e32 v18, v11, v3
	ds_read2_b32 v[2:3], v19 offset0:192 offset1:224
	s_waitcnt lgkmcnt(3)
	v_fmac_f32_e32 v18, v12, v4
	v_fmac_f32_e32 v18, v13, v5
	s_waitcnt lgkmcnt(1)
	v_pk_mul_f32 v[4:5], v[14:15], v[6:7]
	v_add_f32_e32 v4, v18, v4
	v_add_u32_e32 v14, 0x1c00, v1
	v_add_f32_e32 v12, v4, v5
	s_waitcnt lgkmcnt(0)
	v_pk_mul_f32 v[6:7], v[2:3], v[8:9]
	ds_read2_b32 v[10:11], v14 offset1:32
	ds_read_b128 v[2:5], v25 offset:96
	v_add_f32_e32 v6, v12, v6
	v_add_f32_e32 v15, v6, v7
	ds_read2_b32 v[12:13], v14 offset0:64 offset1:96
	ds_read_b128 v[6:9], v25 offset:112
	s_mul_hi_u32 s6, s7, s8
	s_waitcnt lgkmcnt(2)
	v_pk_mul_f32 v[2:3], v[10:11], v[2:3]
	v_add_f32_e32 v2, v15, v2
	v_add_f32_e32 v10, v2, v3
	ds_read2_b32 v[2:3], v14 offset0:128 offset1:160
	s_waitcnt lgkmcnt(2)
	v_pk_mul_f32 v[4:5], v[12:13], v[4:5]
	v_add_f32_e32 v4, v10, v4
	ds_read2_b32 v[10:11], v14 offset0:192 offset1:224
	s_mul_i32 s4, s7, s8
	s_add_i32 s5, s6, s5
	v_add_f32_e32 v4, v4, v5
	s_waitcnt lgkmcnt(1)
	v_pk_mul_f32 v[2:3], v[2:3], v[6:7]
	s_lshl_b64 s[4:5], s[4:5], 2
	v_add_f32_e32 v2, v4, v2
	s_add_u32 s4, s0, s4
	v_add_f32_e32 v4, v2, v3
	s_waitcnt lgkmcnt(0)
	v_pk_mul_f32 v[2:3], v[10:11], v[8:9]
	s_addc_u32 s5, s1, s5
	s_lshl_b64 s[0:1], s[10:11], 2
	v_add_f32_e32 v2, v4, v2
	s_add_u32 s4, s4, s0
	v_add_f32_e32 v2, v2, v3
	s_addc_u32 s5, s5, s1
	v_mul_f32_e32 v6, s24, v2
	v_mad_u64_u32 v[2:3], s[0:1], v0, s2, 0
	v_mov_b32_e32 v4, v3
	v_mad_u64_u32 v[4:5], s[0:1], v0, s3, v[4:5]
	v_mov_b32_e32 v3, v4
	v_lshlrev_b64 v[2:3], 2, v[2:3]
	v_mov_b32_e32 v0, s5
	v_add_co_u32_e32 v2, vcc, s4, v2
	v_addc_co_u32_e32 v3, vcc, v0, v3, vcc
	v_add_co_u32_e32 v0, vcc, v2, v1
	v_addc_co_u32_e32 v1, vcc, 0, v3, vcc
	global_store_dword v[0:1], v6, off
.LBB30_15:
	s_endpgm
	.section	.rodata,"a",@progbits
	.p2align	6, 0x0
	.amdhsa_kernel _ZL23rocblas_trmm_rNx_kernelILi32EfPKfS0_fEv13rocblas_fill_17rocblas_diagonal_iiT1_lPT2_llS6_llPT3_lli
		.amdhsa_group_segment_fixed_size 8192
		.amdhsa_private_segment_fixed_size 0
		.amdhsa_kernarg_size 108
		.amdhsa_user_sgpr_count 6
		.amdhsa_user_sgpr_private_segment_buffer 1
		.amdhsa_user_sgpr_dispatch_ptr 0
		.amdhsa_user_sgpr_queue_ptr 0
		.amdhsa_user_sgpr_kernarg_segment_ptr 1
		.amdhsa_user_sgpr_dispatch_id 0
		.amdhsa_user_sgpr_flat_scratch_init 0
		.amdhsa_user_sgpr_kernarg_preload_length 0
		.amdhsa_user_sgpr_kernarg_preload_offset 0
		.amdhsa_user_sgpr_private_segment_size 0
		.amdhsa_uses_dynamic_stack 0
		.amdhsa_system_sgpr_private_segment_wavefront_offset 0
		.amdhsa_system_sgpr_workgroup_id_x 1
		.amdhsa_system_sgpr_workgroup_id_y 0
		.amdhsa_system_sgpr_workgroup_id_z 1
		.amdhsa_system_sgpr_workgroup_info 0
		.amdhsa_system_vgpr_workitem_id 1
		.amdhsa_next_free_vgpr 26
		.amdhsa_next_free_sgpr 25
		.amdhsa_accum_offset 28
		.amdhsa_reserve_vcc 1
		.amdhsa_reserve_flat_scratch 0
		.amdhsa_float_round_mode_32 0
		.amdhsa_float_round_mode_16_64 0
		.amdhsa_float_denorm_mode_32 3
		.amdhsa_float_denorm_mode_16_64 3
		.amdhsa_dx10_clamp 1
		.amdhsa_ieee_mode 1
		.amdhsa_fp16_overflow 0
		.amdhsa_tg_split 0
		.amdhsa_exception_fp_ieee_invalid_op 0
		.amdhsa_exception_fp_denorm_src 0
		.amdhsa_exception_fp_ieee_div_zero 0
		.amdhsa_exception_fp_ieee_overflow 0
		.amdhsa_exception_fp_ieee_underflow 0
		.amdhsa_exception_fp_ieee_inexact 0
		.amdhsa_exception_int_div_zero 0
	.end_amdhsa_kernel
	.section	.text._ZL23rocblas_trmm_rNx_kernelILi32EfPKfS0_fEv13rocblas_fill_17rocblas_diagonal_iiT1_lPT2_llS6_llPT3_lli,"axG",@progbits,_ZL23rocblas_trmm_rNx_kernelILi32EfPKfS0_fEv13rocblas_fill_17rocblas_diagonal_iiT1_lPT2_llS6_llPT3_lli,comdat
.Lfunc_end30:
	.size	_ZL23rocblas_trmm_rNx_kernelILi32EfPKfS0_fEv13rocblas_fill_17rocblas_diagonal_iiT1_lPT2_llS6_llPT3_lli, .Lfunc_end30-_ZL23rocblas_trmm_rNx_kernelILi32EfPKfS0_fEv13rocblas_fill_17rocblas_diagonal_iiT1_lPT2_llS6_llPT3_lli
                                        ; -- End function
	.section	.AMDGPU.csdata,"",@progbits
; Kernel info:
; codeLenInByte = 1168
; NumSgprs: 29
; NumVgprs: 26
; NumAgprs: 0
; TotalNumVgprs: 26
; ScratchSize: 0
; MemoryBound: 0
; FloatMode: 240
; IeeeMode: 1
; LDSByteSize: 8192 bytes/workgroup (compile time only)
; SGPRBlocks: 3
; VGPRBlocks: 3
; NumSGPRsForWavesPerEU: 29
; NumVGPRsForWavesPerEU: 26
; AccumOffset: 28
; Occupancy: 8
; WaveLimiterHint : 0
; COMPUTE_PGM_RSRC2:SCRATCH_EN: 0
; COMPUTE_PGM_RSRC2:USER_SGPR: 6
; COMPUTE_PGM_RSRC2:TRAP_HANDLER: 0
; COMPUTE_PGM_RSRC2:TGID_X_EN: 1
; COMPUTE_PGM_RSRC2:TGID_Y_EN: 0
; COMPUTE_PGM_RSRC2:TGID_Z_EN: 1
; COMPUTE_PGM_RSRC2:TIDIG_COMP_CNT: 1
; COMPUTE_PGM_RSRC3_GFX90A:ACCUM_OFFSET: 6
; COMPUTE_PGM_RSRC3_GFX90A:TG_SPLIT: 0
	.section	.text._ZL23rocblas_trmm_rNx_kernelILi32EffKffEv13rocblas_fill_17rocblas_diagonal_iiT1_lPT2_llS5_llPT3_lli,"axG",@progbits,_ZL23rocblas_trmm_rNx_kernelILi32EffKffEv13rocblas_fill_17rocblas_diagonal_iiT1_lPT2_llS5_llPT3_lli,comdat
	.globl	_ZL23rocblas_trmm_rNx_kernelILi32EffKffEv13rocblas_fill_17rocblas_diagonal_iiT1_lPT2_llS5_llPT3_lli ; -- Begin function _ZL23rocblas_trmm_rNx_kernelILi32EffKffEv13rocblas_fill_17rocblas_diagonal_iiT1_lPT2_llS5_llPT3_lli
	.p2align	8
	.type	_ZL23rocblas_trmm_rNx_kernelILi32EffKffEv13rocblas_fill_17rocblas_diagonal_iiT1_lPT2_llS5_llPT3_lli,@function
_ZL23rocblas_trmm_rNx_kernelILi32EffKffEv13rocblas_fill_17rocblas_diagonal_iiT1_lPT2_llS5_llPT3_lli: ; @_ZL23rocblas_trmm_rNx_kernelILi32EffKffEv13rocblas_fill_17rocblas_diagonal_iiT1_lPT2_llS5_llPT3_lli
; %bb.0:
	s_load_dword s28, s[4:5], 0x10
	s_waitcnt lgkmcnt(0)
	v_cmp_eq_f32_e64 s[0:1], s28, 0
	s_and_b64 vcc, exec, s[0:1]
	s_cbranch_vccnz .LBB31_15
; %bb.1:
	s_load_dwordx4 s[24:27], s[4:5], 0x0
	s_load_dwordx16 s[8:23], s[4:5], 0x20
	v_and_b32_e32 v4, 0x3ff, v0
	v_bfe_u32 v0, v0, 10, 10
	v_lshlrev_b32_e32 v2, 5, v0
	v_add_lshl_u32 v3, v2, v4, 2
	v_mov_b32_e32 v1, 0
	s_waitcnt lgkmcnt(0)
	v_cmp_gt_i32_e32 vcc, s27, v0
	v_cmp_gt_i32_e64 s[0:1], s27, v4
	ds_write2st64_b32 v3, v1, v1 offset1:16
	s_and_b64 s[0:1], vcc, s[0:1]
	v_lshlrev_b32_e32 v1, 2, v4
	s_and_saveexec_b64 s[2:3], s[0:1]
	s_cbranch_execz .LBB31_3
; %bb.2:
	s_mul_i32 s0, s7, s13
	s_mul_hi_u32 s1, s7, s12
	s_add_i32 s1, s1, s0
	s_mul_i32 s0, s7, s12
	s_lshl_b64 s[0:1], s[0:1], 2
	s_add_u32 s8, s8, s0
	s_addc_u32 s9, s9, s1
	v_mad_u64_u32 v[6:7], s[0:1], v0, s10, 0
	v_mov_b32_e32 v8, v7
	v_mad_u64_u32 v[8:9], s[0:1], v0, s11, v[8:9]
	v_mov_b32_e32 v7, v8
	v_lshlrev_b64 v[6:7], 2, v[6:7]
	v_mov_b32_e32 v5, s9
	v_add_co_u32_e64 v6, s[0:1], s8, v6
	v_addc_co_u32_e64 v5, s[0:1], v5, v7, s[0:1]
	v_add_co_u32_e64 v6, s[0:1], v6, v1
	v_addc_co_u32_e64 v7, s[0:1], 0, v5, s[0:1]
	global_load_dword v5, v[6:7], off
	s_waitcnt vmcnt(0)
	ds_write_b32 v3, v5
.LBB31_3:
	s_or_b64 exec, exec, s[2:3]
	s_add_i32 s0, s26, -1
	s_ashr_i32 s1, s0, 31
	s_lshr_b32 s1, s1, 27
	s_add_i32 s0, s0, s1
	s_ashr_i32 s1, s0, 5
	s_andn2_b32 s0, s0, 31
	s_sub_i32 s0, s26, s0
	s_cmp_ge_i32 s6, s1
	s_cselect_b32 s0, s0, 32
	s_lshl_b32 s2, s6, 5
	v_cmp_gt_i32_e64 s[0:1], s0, v4
	s_ashr_i32 s3, s2, 31
	s_and_b64 s[0:1], vcc, s[0:1]
	s_and_saveexec_b64 s[8:9], s[0:1]
	s_cbranch_execz .LBB31_5
; %bb.4:
	s_mul_i32 s6, s7, s19
	s_mul_hi_u32 s10, s7, s18
	s_add_i32 s11, s10, s6
	s_mul_i32 s10, s7, s18
	s_lshl_b64 s[10:11], s[10:11], 2
	s_add_u32 s6, s14, s10
	s_addc_u32 s12, s15, s11
	s_lshl_b64 s[10:11], s[2:3], 2
	s_add_u32 s6, s6, s10
	s_addc_u32 s12, s12, s11
	v_mad_u64_u32 v[6:7], s[10:11], v0, s16, 0
	v_mov_b32_e32 v8, v7
	v_mad_u64_u32 v[8:9], s[10:11], v0, s17, v[8:9]
	v_mov_b32_e32 v7, v8
	v_lshlrev_b64 v[6:7], 2, v[6:7]
	v_mov_b32_e32 v5, s12
	v_add_co_u32_e32 v6, vcc, s6, v6
	v_addc_co_u32_e32 v5, vcc, v5, v7, vcc
	v_add_co_u32_e32 v6, vcc, v6, v1
	v_addc_co_u32_e32 v7, vcc, 0, v5, vcc
	global_load_dword v5, v[6:7], off
	v_add_u32_e32 v6, 0x1000, v3
	s_waitcnt vmcnt(0)
	ds_write_b32 v6, v5
.LBB31_5:
	s_or_b64 exec, exec, s[8:9]
	s_cmpk_eq_i32 s25, 0x84
	s_cselect_b64 s[8:9], -1, 0
	v_cmp_eq_u32_e32 vcc, v0, v4
	s_and_b64 s[10:11], vcc, s[8:9]
	s_and_saveexec_b64 s[8:9], s[10:11]
	s_cbranch_execz .LBB31_7
; %bb.6:
	v_mov_b32_e32 v5, 1.0
	ds_write_b32 v3, v5
.LBB31_7:
	s_or_b64 exec, exec, s[8:9]
	s_cmpk_lg_i32 s24, 0x79
	s_cbranch_scc0 .LBB31_9
; %bb.8:
	v_cmp_lt_u32_e32 vcc, v4, v0
	s_and_b64 s[8:9], vcc, exec
	s_cbranch_execz .LBB31_10
	s_branch .LBB31_11
.LBB31_9:
	s_mov_b64 s[8:9], 0
.LBB31_10:
	v_cmp_gt_u32_e32 vcc, v4, v0
	s_andn2_b64 s[8:9], s[8:9], exec
	s_and_b64 s[10:11], vcc, exec
	s_or_b64 s[8:9], s[8:9], s[10:11]
.LBB31_11:
	s_and_saveexec_b64 s[10:11], s[8:9]
	s_cbranch_execz .LBB31_13
; %bb.12:
	v_mov_b32_e32 v4, 0
	ds_write_b32 v3, v4
.LBB31_13:
	s_or_b64 exec, exec, s[10:11]
	s_waitcnt lgkmcnt(0)
	s_barrier
	s_and_saveexec_b64 s[8:9], s[0:1]
	s_cbranch_execz .LBB31_15
; %bb.14:
	v_add_u32_e32 v24, 0x1000, v1
	ds_read2_b32 v[18:19], v24 offset1:32
	v_lshlrev_b32_e32 v25, 2, v2
	ds_read_b128 v[2:5], v25
	ds_read_b128 v[6:9], v25 offset:16
	ds_read2_b32 v[20:21], v24 offset0:64 offset1:96
	ds_read_b128 v[10:13], v25 offset:32
	ds_read_b128 v[14:17], v25 offset:48
	ds_read2_b32 v[22:23], v24 offset0:128 offset1:160
	s_load_dwordx2 s[0:1], s[4:5], 0x60
	s_waitcnt lgkmcnt(0)
	v_fma_f32 v18, v18, v2, 0
	v_fmac_f32_e32 v18, v19, v3
	ds_read2_b32 v[2:3], v24 offset0:192 offset1:224
	v_fmac_f32_e32 v18, v20, v4
	v_add_u32_e32 v19, 0x1400, v1
	v_fmac_f32_e32 v18, v21, v5
	ds_read2_b32 v[4:5], v19 offset1:32
	v_fmac_f32_e32 v18, v22, v6
	v_fmac_f32_e32 v18, v23, v7
	ds_read2_b32 v[6:7], v19 offset0:64 offset1:96
	s_waitcnt lgkmcnt(2)
	v_fmac_f32_e32 v18, v2, v8
	v_fmac_f32_e32 v18, v3, v9
	ds_read2_b32 v[2:3], v19 offset0:128 offset1:160
	s_waitcnt lgkmcnt(2)
	v_fmac_f32_e32 v18, v4, v10
	v_fmac_f32_e32 v18, v5, v11
	s_waitcnt lgkmcnt(1)
	v_fmac_f32_e32 v18, v6, v12
	v_fmac_f32_e32 v18, v7, v13
	ds_read2_b32 v[6:7], v19 offset0:192 offset1:224
	s_waitcnt lgkmcnt(1)
	v_fmac_f32_e32 v18, v2, v14
	v_add_u32_e32 v19, 0x1800, v1
	v_fmac_f32_e32 v18, v3, v15
	ds_read2_b32 v[10:11], v19 offset1:32
	ds_read_b128 v[2:5], v25 offset:64
	s_waitcnt lgkmcnt(2)
	v_fmac_f32_e32 v18, v6, v16
	v_fmac_f32_e32 v18, v7, v17
	ds_read2_b32 v[12:13], v19 offset0:64 offset1:96
	ds_read_b128 v[6:9], v25 offset:80
	ds_read2_b32 v[14:15], v19 offset0:128 offset1:160
	s_waitcnt lgkmcnt(3)
	v_fmac_f32_e32 v18, v10, v2
	v_fmac_f32_e32 v18, v11, v3
	ds_read2_b32 v[2:3], v19 offset0:192 offset1:224
	s_waitcnt lgkmcnt(3)
	v_fmac_f32_e32 v18, v12, v4
	v_fmac_f32_e32 v18, v13, v5
	s_waitcnt lgkmcnt(1)
	v_pk_mul_f32 v[4:5], v[14:15], v[6:7]
	v_add_f32_e32 v4, v18, v4
	v_add_u32_e32 v14, 0x1c00, v1
	v_add_f32_e32 v12, v4, v5
	s_waitcnt lgkmcnt(0)
	v_pk_mul_f32 v[6:7], v[2:3], v[8:9]
	ds_read2_b32 v[10:11], v14 offset1:32
	ds_read_b128 v[2:5], v25 offset:96
	v_add_f32_e32 v6, v12, v6
	v_add_f32_e32 v15, v6, v7
	ds_read2_b32 v[12:13], v14 offset0:64 offset1:96
	ds_read_b128 v[6:9], v25 offset:112
	s_mul_i32 s1, s7, s1
	s_waitcnt lgkmcnt(2)
	v_pk_mul_f32 v[2:3], v[10:11], v[2:3]
	v_add_f32_e32 v2, v15, v2
	v_add_f32_e32 v10, v2, v3
	ds_read2_b32 v[2:3], v14 offset0:128 offset1:160
	s_waitcnt lgkmcnt(2)
	v_pk_mul_f32 v[4:5], v[12:13], v[4:5]
	v_add_f32_e32 v4, v10, v4
	ds_read2_b32 v[10:11], v14 offset0:192 offset1:224
	s_mul_hi_u32 s4, s7, s0
	s_mul_i32 s0, s7, s0
	s_add_i32 s1, s4, s1
	v_add_f32_e32 v4, v4, v5
	s_waitcnt lgkmcnt(1)
	v_pk_mul_f32 v[2:3], v[2:3], v[6:7]
	s_lshl_b64 s[0:1], s[0:1], 2
	v_add_f32_e32 v2, v4, v2
	s_add_u32 s4, s20, s0
	v_add_f32_e32 v4, v2, v3
	s_waitcnt lgkmcnt(0)
	v_pk_mul_f32 v[2:3], v[10:11], v[8:9]
	s_addc_u32 s5, s21, s1
	s_lshl_b64 s[0:1], s[2:3], 2
	v_add_f32_e32 v2, v4, v2
	s_add_u32 s2, s4, s0
	v_add_f32_e32 v2, v2, v3
	s_addc_u32 s3, s5, s1
	v_mul_f32_e32 v6, s28, v2
	v_mad_u64_u32 v[2:3], s[0:1], v0, s22, 0
	v_mov_b32_e32 v4, v3
	v_mad_u64_u32 v[4:5], s[0:1], v0, s23, v[4:5]
	v_mov_b32_e32 v3, v4
	v_lshlrev_b64 v[2:3], 2, v[2:3]
	v_mov_b32_e32 v0, s3
	v_add_co_u32_e32 v2, vcc, s2, v2
	v_addc_co_u32_e32 v3, vcc, v0, v3, vcc
	v_add_co_u32_e32 v0, vcc, v2, v1
	v_addc_co_u32_e32 v1, vcc, 0, v3, vcc
	global_store_dword v[0:1], v6, off
.LBB31_15:
	s_endpgm
	.section	.rodata,"a",@progbits
	.p2align	6, 0x0
	.amdhsa_kernel _ZL23rocblas_trmm_rNx_kernelILi32EffKffEv13rocblas_fill_17rocblas_diagonal_iiT1_lPT2_llS5_llPT3_lli
		.amdhsa_group_segment_fixed_size 8192
		.amdhsa_private_segment_fixed_size 0
		.amdhsa_kernarg_size 108
		.amdhsa_user_sgpr_count 6
		.amdhsa_user_sgpr_private_segment_buffer 1
		.amdhsa_user_sgpr_dispatch_ptr 0
		.amdhsa_user_sgpr_queue_ptr 0
		.amdhsa_user_sgpr_kernarg_segment_ptr 1
		.amdhsa_user_sgpr_dispatch_id 0
		.amdhsa_user_sgpr_flat_scratch_init 0
		.amdhsa_user_sgpr_kernarg_preload_length 0
		.amdhsa_user_sgpr_kernarg_preload_offset 0
		.amdhsa_user_sgpr_private_segment_size 0
		.amdhsa_uses_dynamic_stack 0
		.amdhsa_system_sgpr_private_segment_wavefront_offset 0
		.amdhsa_system_sgpr_workgroup_id_x 1
		.amdhsa_system_sgpr_workgroup_id_y 0
		.amdhsa_system_sgpr_workgroup_id_z 1
		.amdhsa_system_sgpr_workgroup_info 0
		.amdhsa_system_vgpr_workitem_id 1
		.amdhsa_next_free_vgpr 26
		.amdhsa_next_free_sgpr 29
		.amdhsa_accum_offset 28
		.amdhsa_reserve_vcc 1
		.amdhsa_reserve_flat_scratch 0
		.amdhsa_float_round_mode_32 0
		.amdhsa_float_round_mode_16_64 0
		.amdhsa_float_denorm_mode_32 3
		.amdhsa_float_denorm_mode_16_64 3
		.amdhsa_dx10_clamp 1
		.amdhsa_ieee_mode 1
		.amdhsa_fp16_overflow 0
		.amdhsa_tg_split 0
		.amdhsa_exception_fp_ieee_invalid_op 0
		.amdhsa_exception_fp_denorm_src 0
		.amdhsa_exception_fp_ieee_div_zero 0
		.amdhsa_exception_fp_ieee_overflow 0
		.amdhsa_exception_fp_ieee_underflow 0
		.amdhsa_exception_fp_ieee_inexact 0
		.amdhsa_exception_int_div_zero 0
	.end_amdhsa_kernel
	.section	.text._ZL23rocblas_trmm_rNx_kernelILi32EffKffEv13rocblas_fill_17rocblas_diagonal_iiT1_lPT2_llS5_llPT3_lli,"axG",@progbits,_ZL23rocblas_trmm_rNx_kernelILi32EffKffEv13rocblas_fill_17rocblas_diagonal_iiT1_lPT2_llS5_llPT3_lli,comdat
.Lfunc_end31:
	.size	_ZL23rocblas_trmm_rNx_kernelILi32EffKffEv13rocblas_fill_17rocblas_diagonal_iiT1_lPT2_llS5_llPT3_lli, .Lfunc_end31-_ZL23rocblas_trmm_rNx_kernelILi32EffKffEv13rocblas_fill_17rocblas_diagonal_iiT1_lPT2_llS5_llPT3_lli
                                        ; -- End function
	.section	.AMDGPU.csdata,"",@progbits
; Kernel info:
; codeLenInByte = 1128
; NumSgprs: 33
; NumVgprs: 26
; NumAgprs: 0
; TotalNumVgprs: 26
; ScratchSize: 0
; MemoryBound: 0
; FloatMode: 240
; IeeeMode: 1
; LDSByteSize: 8192 bytes/workgroup (compile time only)
; SGPRBlocks: 4
; VGPRBlocks: 3
; NumSGPRsForWavesPerEU: 33
; NumVGPRsForWavesPerEU: 26
; AccumOffset: 28
; Occupancy: 8
; WaveLimiterHint : 0
; COMPUTE_PGM_RSRC2:SCRATCH_EN: 0
; COMPUTE_PGM_RSRC2:USER_SGPR: 6
; COMPUTE_PGM_RSRC2:TRAP_HANDLER: 0
; COMPUTE_PGM_RSRC2:TGID_X_EN: 1
; COMPUTE_PGM_RSRC2:TGID_Y_EN: 0
; COMPUTE_PGM_RSRC2:TGID_Z_EN: 1
; COMPUTE_PGM_RSRC2:TIDIG_COMP_CNT: 1
; COMPUTE_PGM_RSRC3_GFX90A:ACCUM_OFFSET: 6
; COMPUTE_PGM_RSRC3_GFX90A:TG_SPLIT: 0
	.section	.text._ZL23rocblas_trmm_rTx_kernelILi32ELb0EfPKfS0_fEv13rocblas_fill_17rocblas_diagonal_iiT2_lPT3_llS6_llPT4_lli,"axG",@progbits,_ZL23rocblas_trmm_rTx_kernelILi32ELb0EfPKfS0_fEv13rocblas_fill_17rocblas_diagonal_iiT2_lPT3_llS6_llPT4_lli,comdat
	.globl	_ZL23rocblas_trmm_rTx_kernelILi32ELb0EfPKfS0_fEv13rocblas_fill_17rocblas_diagonal_iiT2_lPT3_llS6_llPT4_lli ; -- Begin function _ZL23rocblas_trmm_rTx_kernelILi32ELb0EfPKfS0_fEv13rocblas_fill_17rocblas_diagonal_iiT2_lPT3_llS6_llPT4_lli
	.p2align	8
	.type	_ZL23rocblas_trmm_rTx_kernelILi32ELb0EfPKfS0_fEv13rocblas_fill_17rocblas_diagonal_iiT2_lPT3_llS6_llPT4_lli,@function
_ZL23rocblas_trmm_rTx_kernelILi32ELb0EfPKfS0_fEv13rocblas_fill_17rocblas_diagonal_iiT2_lPT3_llS6_llPT4_lli: ; @_ZL23rocblas_trmm_rTx_kernelILi32ELb0EfPKfS0_fEv13rocblas_fill_17rocblas_diagonal_iiT2_lPT3_llS6_llPT4_lli
; %bb.0:
	s_load_dwordx16 s[8:23], s[4:5], 0x10
	s_waitcnt lgkmcnt(0)
	s_mul_i32 s0, s7, s11
	s_mul_hi_u32 s1, s7, s10
	s_add_i32 s1, s1, s0
	s_mul_i32 s0, s7, s10
	s_lshl_b64 s[0:1], s[0:1], 2
	s_add_u32 s0, s8, s0
	s_addc_u32 s1, s9, s1
	s_load_dword s24, s[0:1], 0x0
	s_waitcnt lgkmcnt(0)
	v_cmp_eq_f32_e64 s[0:1], s24, 0
	s_and_b64 vcc, exec, s[0:1]
	s_cbranch_vccnz .LBB32_15
; %bb.1:
	s_load_dwordx4 s[8:11], s[4:5], 0x0
	v_and_b32_e32 v3, 0x3ff, v0
	v_bfe_u32 v0, v0, 10, 10
	v_lshlrev_b32_e32 v1, 5, v0
	v_add_lshl_u32 v2, v1, v3, 2
	v_mov_b32_e32 v1, 0
	s_waitcnt lgkmcnt(0)
	v_cmp_gt_i32_e32 vcc, s11, v0
	v_cmp_gt_i32_e64 s[0:1], s11, v3
	ds_write2st64_b32 v2, v1, v1 offset1:16
	s_and_b64 s[0:1], vcc, s[0:1]
	v_lshlrev_b32_e32 v1, 2, v3
	s_and_saveexec_b64 s[2:3], s[0:1]
	s_cbranch_execz .LBB32_3
; %bb.2:
	s_mul_i32 s0, s7, s17
	s_mul_hi_u32 s1, s7, s16
	s_add_i32 s1, s1, s0
	s_mul_i32 s0, s7, s16
	s_lshl_b64 s[0:1], s[0:1], 2
	s_add_u32 s11, s12, s0
	s_addc_u32 s12, s13, s1
	v_mad_u64_u32 v[4:5], s[0:1], v0, s14, 0
	v_mov_b32_e32 v6, v5
	v_mad_u64_u32 v[6:7], s[0:1], v0, s15, v[6:7]
	v_mov_b32_e32 v5, v6
	v_lshlrev_b64 v[4:5], 2, v[4:5]
	v_mov_b32_e32 v6, s12
	v_add_co_u32_e64 v4, s[0:1], s11, v4
	v_addc_co_u32_e64 v5, s[0:1], v6, v5, s[0:1]
	v_add_co_u32_e64 v4, s[0:1], v4, v1
	v_addc_co_u32_e64 v5, s[0:1], 0, v5, s[0:1]
	global_load_dword v4, v[4:5], off
	s_waitcnt vmcnt(0)
	ds_write_b32 v2, v4
.LBB32_3:
	s_or_b64 exec, exec, s[2:3]
	s_add_i32 s0, s10, -1
	s_ashr_i32 s1, s0, 31
	s_lshr_b32 s1, s1, 27
	s_add_i32 s0, s0, s1
	s_ashr_i32 s1, s0, 5
	s_andn2_b32 s0, s0, 31
	s_sub_i32 s0, s10, s0
	s_cmp_ge_i32 s6, s1
	s_cselect_b32 s0, s0, 32
	s_lshl_b32 s10, s6, 5
	v_cmp_gt_i32_e64 s[0:1], s0, v3
	s_ashr_i32 s11, s10, 31
	s_and_b64 s[0:1], vcc, s[0:1]
	s_and_saveexec_b64 s[2:3], s[0:1]
	s_cbranch_execz .LBB32_5
; %bb.4:
	s_mul_i32 s6, s7, s23
	s_mul_hi_u32 s12, s7, s22
	s_add_i32 s13, s12, s6
	s_mul_i32 s12, s7, s22
	s_lshl_b64 s[12:13], s[12:13], 2
	s_add_u32 s6, s18, s12
	s_addc_u32 s14, s19, s13
	s_lshl_b64 s[12:13], s[10:11], 2
	s_add_u32 s6, s6, s12
	s_addc_u32 s14, s14, s13
	v_mad_u64_u32 v[4:5], s[12:13], v0, s20, 0
	v_mov_b32_e32 v6, v5
	v_mad_u64_u32 v[6:7], s[12:13], v0, s21, v[6:7]
	v_mov_b32_e32 v5, v6
	v_lshlrev_b64 v[4:5], 2, v[4:5]
	v_mov_b32_e32 v6, s14
	v_add_co_u32_e32 v4, vcc, s6, v4
	v_addc_co_u32_e32 v5, vcc, v6, v5, vcc
	v_add_co_u32_e32 v4, vcc, v4, v1
	v_addc_co_u32_e32 v5, vcc, 0, v5, vcc
	global_load_dword v4, v[4:5], off
	v_add_u32_e32 v5, 0x1000, v2
	s_waitcnt vmcnt(0)
	ds_write_b32 v5, v4
.LBB32_5:
	s_or_b64 exec, exec, s[2:3]
	s_cmpk_eq_i32 s9, 0x84
	s_cselect_b64 s[2:3], -1, 0
	v_cmp_eq_u32_e32 vcc, v0, v3
	s_and_b64 s[12:13], vcc, s[2:3]
	s_and_saveexec_b64 s[2:3], s[12:13]
	s_cbranch_execz .LBB32_7
; %bb.6:
	v_mov_b32_e32 v4, 1.0
	ds_write_b32 v2, v4
.LBB32_7:
	s_or_b64 exec, exec, s[2:3]
	s_cmpk_lg_i32 s8, 0x79
	s_cbranch_scc0 .LBB32_9
; %bb.8:
	v_cmp_lt_u32_e32 vcc, v3, v0
	s_and_b64 s[2:3], vcc, exec
	s_cbranch_execz .LBB32_10
	s_branch .LBB32_11
.LBB32_9:
	s_mov_b64 s[2:3], 0
.LBB32_10:
	v_cmp_gt_u32_e32 vcc, v3, v0
	s_andn2_b64 s[2:3], s[2:3], exec
	s_and_b64 s[8:9], vcc, exec
	s_or_b64 s[2:3], s[2:3], s[8:9]
.LBB32_11:
	s_and_saveexec_b64 s[8:9], s[2:3]
	s_cbranch_execz .LBB32_13
; %bb.12:
	v_mov_b32_e32 v3, 0
	ds_write_b32 v2, v3
.LBB32_13:
	s_or_b64 exec, exec, s[8:9]
	s_waitcnt lgkmcnt(0)
	s_barrier
	s_and_saveexec_b64 s[2:3], s[0:1]
	s_cbranch_execz .LBB32_15
; %bb.14:
	v_add_u32_e32 v10, 0x1000, v1
	v_lshlrev_b32_e32 v14, 2, v0
	s_load_dwordx2 s[8:9], s[4:5], 0x60
	s_load_dwordx4 s[0:3], s[4:5], 0x50
	ds_read2_b32 v[2:3], v10 offset1:32
	ds_read2_b32 v[4:5], v14 offset1:32
	v_add_u32_e32 v16, 0x1400, v1
	v_add_u32_e32 v17, 0x400, v14
	s_waitcnt lgkmcnt(0)
	s_mul_i32 s5, s7, s9
	s_mul_hi_u32 s6, s7, s8
	v_fma_f32 v15, v2, v4, 0
	v_fmac_f32_e32 v15, v3, v5
	ds_read2_b32 v[2:3], v10 offset0:64 offset1:96
	ds_read2_b32 v[4:5], v14 offset0:64 offset1:96
	;; [unrolled: 1-line block ×6, first 2 shown]
	s_waitcnt lgkmcnt(4)
	v_fmac_f32_e32 v15, v2, v4
	v_fmac_f32_e32 v15, v3, v5
	ds_read2_b32 v[2:3], v16 offset1:32
	s_waitcnt lgkmcnt(3)
	v_fmac_f32_e32 v15, v6, v8
	v_fmac_f32_e32 v15, v7, v9
	s_waitcnt lgkmcnt(1)
	v_fmac_f32_e32 v15, v10, v12
	v_fmac_f32_e32 v15, v11, v13
	ds_read2_b32 v[4:5], v17 offset1:32
	ds_read2_b32 v[6:7], v16 offset0:64 offset1:96
	ds_read2_b32 v[8:9], v17 offset0:64 offset1:96
	;; [unrolled: 1-line block ×4, first 2 shown]
	s_waitcnt lgkmcnt(4)
	v_fmac_f32_e32 v15, v2, v4
	v_fmac_f32_e32 v15, v3, v5
	ds_read2_b32 v[2:3], v16 offset0:192 offset1:224
	ds_read2_b32 v[4:5], v17 offset0:192 offset1:224
	s_waitcnt lgkmcnt(4)
	v_fmac_f32_e32 v15, v6, v8
	v_add_u32_e32 v16, 0x1800, v1
	v_fmac_f32_e32 v15, v7, v9
	ds_read2_b32 v[6:7], v16 offset1:32
	s_waitcnt lgkmcnt(3)
	v_fmac_f32_e32 v15, v10, v12
	v_add_u32_e32 v17, 0x800, v14
	v_fmac_f32_e32 v15, v11, v13
	ds_read2_b32 v[8:9], v17 offset1:32
	ds_read2_b32 v[10:11], v16 offset0:64 offset1:96
	ds_read2_b32 v[12:13], v17 offset0:64 offset1:96
	s_waitcnt lgkmcnt(4)
	v_fmac_f32_e32 v15, v2, v4
	v_fmac_f32_e32 v15, v3, v5
	s_waitcnt lgkmcnt(2)
	v_fmac_f32_e32 v15, v6, v8
	v_fmac_f32_e32 v15, v7, v9
	ds_read2_b32 v[2:3], v16 offset0:128 offset1:160
	ds_read2_b32 v[4:5], v17 offset0:128 offset1:160
	;; [unrolled: 1-line block ×4, first 2 shown]
	s_waitcnt lgkmcnt(4)
	v_fmac_f32_e32 v15, v10, v12
	v_add_u32_e32 v16, 0x1c00, v1
	v_add_u32_e32 v14, 0xc00, v14
	v_fmac_f32_e32 v15, v11, v13
	ds_read2_b32 v[10:11], v16 offset1:32
	ds_read2_b32 v[12:13], v14 offset1:32
	s_waitcnt lgkmcnt(4)
	v_fmac_f32_e32 v15, v2, v4
	v_fmac_f32_e32 v15, v3, v5
	s_mul_i32 s4, s7, s8
	s_add_i32 s5, s6, s5
	s_waitcnt lgkmcnt(2)
	v_fmac_f32_e32 v15, v6, v8
	s_lshl_b64 s[4:5], s[4:5], 2
	v_fmac_f32_e32 v15, v7, v9
	s_add_u32 s4, s0, s4
	s_waitcnt lgkmcnt(0)
	v_fmac_f32_e32 v15, v10, v12
	s_addc_u32 s5, s1, s5
	s_lshl_b64 s[0:1], s[10:11], 2
	v_fmac_f32_e32 v15, v11, v13
	ds_read2_b32 v[2:3], v16 offset0:64 offset1:96
	ds_read2_b32 v[4:5], v14 offset0:64 offset1:96
	ds_read2_b32 v[6:7], v16 offset0:128 offset1:160
	ds_read2_b32 v[8:9], v14 offset0:128 offset1:160
	ds_read2_b32 v[10:11], v16 offset0:192 offset1:224
	ds_read2_b32 v[12:13], v14 offset0:192 offset1:224
	s_add_u32 s4, s4, s0
	s_waitcnt lgkmcnt(4)
	v_fmac_f32_e32 v15, v2, v4
	s_addc_u32 s5, s5, s1
	v_fmac_f32_e32 v15, v3, v5
	v_mad_u64_u32 v[2:3], s[0:1], v0, s2, 0
	v_mov_b32_e32 v4, v3
	v_mad_u64_u32 v[4:5], s[0:1], v0, s3, v[4:5]
	v_mov_b32_e32 v3, v4
	s_waitcnt lgkmcnt(2)
	v_fmac_f32_e32 v15, v6, v8
	v_lshlrev_b64 v[2:3], 2, v[2:3]
	v_fmac_f32_e32 v15, v7, v9
	v_mov_b32_e32 v0, s5
	v_add_co_u32_e32 v2, vcc, s4, v2
	s_waitcnt lgkmcnt(0)
	v_fmac_f32_e32 v15, v10, v12
	v_addc_co_u32_e32 v3, vcc, v0, v3, vcc
	v_fmac_f32_e32 v15, v11, v13
	v_add_co_u32_e32 v0, vcc, v2, v1
	v_mul_f32_e32 v6, s24, v15
	v_addc_co_u32_e32 v1, vcc, 0, v3, vcc
	global_store_dword v[0:1], v6, off
.LBB32_15:
	s_endpgm
	.section	.rodata,"a",@progbits
	.p2align	6, 0x0
	.amdhsa_kernel _ZL23rocblas_trmm_rTx_kernelILi32ELb0EfPKfS0_fEv13rocblas_fill_17rocblas_diagonal_iiT2_lPT3_llS6_llPT4_lli
		.amdhsa_group_segment_fixed_size 8192
		.amdhsa_private_segment_fixed_size 0
		.amdhsa_kernarg_size 108
		.amdhsa_user_sgpr_count 6
		.amdhsa_user_sgpr_private_segment_buffer 1
		.amdhsa_user_sgpr_dispatch_ptr 0
		.amdhsa_user_sgpr_queue_ptr 0
		.amdhsa_user_sgpr_kernarg_segment_ptr 1
		.amdhsa_user_sgpr_dispatch_id 0
		.amdhsa_user_sgpr_flat_scratch_init 0
		.amdhsa_user_sgpr_kernarg_preload_length 0
		.amdhsa_user_sgpr_kernarg_preload_offset 0
		.amdhsa_user_sgpr_private_segment_size 0
		.amdhsa_uses_dynamic_stack 0
		.amdhsa_system_sgpr_private_segment_wavefront_offset 0
		.amdhsa_system_sgpr_workgroup_id_x 1
		.amdhsa_system_sgpr_workgroup_id_y 0
		.amdhsa_system_sgpr_workgroup_id_z 1
		.amdhsa_system_sgpr_workgroup_info 0
		.amdhsa_system_vgpr_workitem_id 1
		.amdhsa_next_free_vgpr 18
		.amdhsa_next_free_sgpr 25
		.amdhsa_accum_offset 20
		.amdhsa_reserve_vcc 1
		.amdhsa_reserve_flat_scratch 0
		.amdhsa_float_round_mode_32 0
		.amdhsa_float_round_mode_16_64 0
		.amdhsa_float_denorm_mode_32 3
		.amdhsa_float_denorm_mode_16_64 3
		.amdhsa_dx10_clamp 1
		.amdhsa_ieee_mode 1
		.amdhsa_fp16_overflow 0
		.amdhsa_tg_split 0
		.amdhsa_exception_fp_ieee_invalid_op 0
		.amdhsa_exception_fp_denorm_src 0
		.amdhsa_exception_fp_ieee_div_zero 0
		.amdhsa_exception_fp_ieee_overflow 0
		.amdhsa_exception_fp_ieee_underflow 0
		.amdhsa_exception_fp_ieee_inexact 0
		.amdhsa_exception_int_div_zero 0
	.end_amdhsa_kernel
	.section	.text._ZL23rocblas_trmm_rTx_kernelILi32ELb0EfPKfS0_fEv13rocblas_fill_17rocblas_diagonal_iiT2_lPT3_llS6_llPT4_lli,"axG",@progbits,_ZL23rocblas_trmm_rTx_kernelILi32ELb0EfPKfS0_fEv13rocblas_fill_17rocblas_diagonal_iiT2_lPT3_llS6_llPT4_lli,comdat
.Lfunc_end32:
	.size	_ZL23rocblas_trmm_rTx_kernelILi32ELb0EfPKfS0_fEv13rocblas_fill_17rocblas_diagonal_iiT2_lPT3_llS6_llPT4_lli, .Lfunc_end32-_ZL23rocblas_trmm_rTx_kernelILi32ELb0EfPKfS0_fEv13rocblas_fill_17rocblas_diagonal_iiT2_lPT3_llS6_llPT4_lli
                                        ; -- End function
	.section	.AMDGPU.csdata,"",@progbits
; Kernel info:
; codeLenInByte = 1216
; NumSgprs: 29
; NumVgprs: 18
; NumAgprs: 0
; TotalNumVgprs: 18
; ScratchSize: 0
; MemoryBound: 0
; FloatMode: 240
; IeeeMode: 1
; LDSByteSize: 8192 bytes/workgroup (compile time only)
; SGPRBlocks: 3
; VGPRBlocks: 2
; NumSGPRsForWavesPerEU: 29
; NumVGPRsForWavesPerEU: 18
; AccumOffset: 20
; Occupancy: 8
; WaveLimiterHint : 0
; COMPUTE_PGM_RSRC2:SCRATCH_EN: 0
; COMPUTE_PGM_RSRC2:USER_SGPR: 6
; COMPUTE_PGM_RSRC2:TRAP_HANDLER: 0
; COMPUTE_PGM_RSRC2:TGID_X_EN: 1
; COMPUTE_PGM_RSRC2:TGID_Y_EN: 0
; COMPUTE_PGM_RSRC2:TGID_Z_EN: 1
; COMPUTE_PGM_RSRC2:TIDIG_COMP_CNT: 1
; COMPUTE_PGM_RSRC3_GFX90A:ACCUM_OFFSET: 4
; COMPUTE_PGM_RSRC3_GFX90A:TG_SPLIT: 0
	.section	.text._ZL23rocblas_trmm_rTx_kernelILi32ELb0EffKffEv13rocblas_fill_17rocblas_diagonal_iiT2_lPT3_llS5_llPT4_lli,"axG",@progbits,_ZL23rocblas_trmm_rTx_kernelILi32ELb0EffKffEv13rocblas_fill_17rocblas_diagonal_iiT2_lPT3_llS5_llPT4_lli,comdat
	.globl	_ZL23rocblas_trmm_rTx_kernelILi32ELb0EffKffEv13rocblas_fill_17rocblas_diagonal_iiT2_lPT3_llS5_llPT4_lli ; -- Begin function _ZL23rocblas_trmm_rTx_kernelILi32ELb0EffKffEv13rocblas_fill_17rocblas_diagonal_iiT2_lPT3_llS5_llPT4_lli
	.p2align	8
	.type	_ZL23rocblas_trmm_rTx_kernelILi32ELb0EffKffEv13rocblas_fill_17rocblas_diagonal_iiT2_lPT3_llS5_llPT4_lli,@function
_ZL23rocblas_trmm_rTx_kernelILi32ELb0EffKffEv13rocblas_fill_17rocblas_diagonal_iiT2_lPT3_llS5_llPT4_lli: ; @_ZL23rocblas_trmm_rTx_kernelILi32ELb0EffKffEv13rocblas_fill_17rocblas_diagonal_iiT2_lPT3_llS5_llPT4_lli
; %bb.0:
	s_load_dword s28, s[4:5], 0x10
	s_waitcnt lgkmcnt(0)
	v_cmp_eq_f32_e64 s[0:1], s28, 0
	s_and_b64 vcc, exec, s[0:1]
	s_cbranch_vccnz .LBB33_15
; %bb.1:
	s_load_dwordx4 s[24:27], s[4:5], 0x0
	s_load_dwordx16 s[8:23], s[4:5], 0x20
	v_and_b32_e32 v3, 0x3ff, v0
	v_bfe_u32 v0, v0, 10, 10
	v_lshlrev_b32_e32 v1, 5, v0
	v_add_lshl_u32 v2, v1, v3, 2
	v_mov_b32_e32 v1, 0
	s_waitcnt lgkmcnt(0)
	v_cmp_gt_i32_e32 vcc, s27, v0
	v_cmp_gt_i32_e64 s[0:1], s27, v3
	ds_write2st64_b32 v2, v1, v1 offset1:16
	s_and_b64 s[0:1], vcc, s[0:1]
	v_lshlrev_b32_e32 v1, 2, v3
	s_and_saveexec_b64 s[2:3], s[0:1]
	s_cbranch_execz .LBB33_3
; %bb.2:
	s_mul_i32 s0, s7, s13
	s_mul_hi_u32 s1, s7, s12
	s_add_i32 s1, s1, s0
	s_mul_i32 s0, s7, s12
	s_lshl_b64 s[0:1], s[0:1], 2
	s_add_u32 s8, s8, s0
	s_addc_u32 s9, s9, s1
	v_mad_u64_u32 v[4:5], s[0:1], v0, s10, 0
	v_mov_b32_e32 v6, v5
	v_mad_u64_u32 v[6:7], s[0:1], v0, s11, v[6:7]
	v_mov_b32_e32 v5, v6
	v_lshlrev_b64 v[4:5], 2, v[4:5]
	v_mov_b32_e32 v6, s9
	v_add_co_u32_e64 v4, s[0:1], s8, v4
	v_addc_co_u32_e64 v5, s[0:1], v6, v5, s[0:1]
	v_add_co_u32_e64 v4, s[0:1], v4, v1
	v_addc_co_u32_e64 v5, s[0:1], 0, v5, s[0:1]
	global_load_dword v4, v[4:5], off
	s_waitcnt vmcnt(0)
	ds_write_b32 v2, v4
.LBB33_3:
	s_or_b64 exec, exec, s[2:3]
	s_add_i32 s0, s26, -1
	s_ashr_i32 s1, s0, 31
	s_lshr_b32 s1, s1, 27
	s_add_i32 s0, s0, s1
	s_ashr_i32 s1, s0, 5
	s_andn2_b32 s0, s0, 31
	s_sub_i32 s0, s26, s0
	s_cmp_ge_i32 s6, s1
	s_cselect_b32 s0, s0, 32
	s_lshl_b32 s2, s6, 5
	v_cmp_gt_i32_e64 s[0:1], s0, v3
	s_ashr_i32 s3, s2, 31
	s_and_b64 s[0:1], vcc, s[0:1]
	s_and_saveexec_b64 s[8:9], s[0:1]
	s_cbranch_execz .LBB33_5
; %bb.4:
	s_mul_i32 s6, s7, s19
	s_mul_hi_u32 s10, s7, s18
	s_add_i32 s11, s10, s6
	s_mul_i32 s10, s7, s18
	s_lshl_b64 s[10:11], s[10:11], 2
	s_add_u32 s6, s14, s10
	s_addc_u32 s12, s15, s11
	s_lshl_b64 s[10:11], s[2:3], 2
	s_add_u32 s6, s6, s10
	s_addc_u32 s12, s12, s11
	v_mad_u64_u32 v[4:5], s[10:11], v0, s16, 0
	v_mov_b32_e32 v6, v5
	v_mad_u64_u32 v[6:7], s[10:11], v0, s17, v[6:7]
	v_mov_b32_e32 v5, v6
	v_lshlrev_b64 v[4:5], 2, v[4:5]
	v_mov_b32_e32 v6, s12
	v_add_co_u32_e32 v4, vcc, s6, v4
	v_addc_co_u32_e32 v5, vcc, v6, v5, vcc
	v_add_co_u32_e32 v4, vcc, v4, v1
	v_addc_co_u32_e32 v5, vcc, 0, v5, vcc
	global_load_dword v4, v[4:5], off
	v_add_u32_e32 v5, 0x1000, v2
	s_waitcnt vmcnt(0)
	ds_write_b32 v5, v4
.LBB33_5:
	s_or_b64 exec, exec, s[8:9]
	s_cmpk_eq_i32 s25, 0x84
	s_cselect_b64 s[8:9], -1, 0
	v_cmp_eq_u32_e32 vcc, v0, v3
	s_and_b64 s[10:11], vcc, s[8:9]
	s_and_saveexec_b64 s[8:9], s[10:11]
	s_cbranch_execz .LBB33_7
; %bb.6:
	v_mov_b32_e32 v4, 1.0
	ds_write_b32 v2, v4
.LBB33_7:
	s_or_b64 exec, exec, s[8:9]
	s_cmpk_lg_i32 s24, 0x79
	s_cbranch_scc0 .LBB33_9
; %bb.8:
	v_cmp_lt_u32_e32 vcc, v3, v0
	s_and_b64 s[8:9], vcc, exec
	s_cbranch_execz .LBB33_10
	s_branch .LBB33_11
.LBB33_9:
	s_mov_b64 s[8:9], 0
.LBB33_10:
	v_cmp_gt_u32_e32 vcc, v3, v0
	s_andn2_b64 s[8:9], s[8:9], exec
	s_and_b64 s[10:11], vcc, exec
	s_or_b64 s[8:9], s[8:9], s[10:11]
.LBB33_11:
	s_and_saveexec_b64 s[10:11], s[8:9]
	s_cbranch_execz .LBB33_13
; %bb.12:
	v_mov_b32_e32 v3, 0
	ds_write_b32 v2, v3
.LBB33_13:
	s_or_b64 exec, exec, s[10:11]
	s_waitcnt lgkmcnt(0)
	s_barrier
	s_and_saveexec_b64 s[8:9], s[0:1]
	s_cbranch_execz .LBB33_15
; %bb.14:
	v_add_u32_e32 v10, 0x1000, v1
	v_lshlrev_b32_e32 v14, 2, v0
	ds_read2_b32 v[2:3], v10 offset1:32
	ds_read2_b32 v[4:5], v14 offset1:32
	v_add_u32_e32 v16, 0x1400, v1
	v_add_u32_e32 v17, 0x400, v14
	s_load_dwordx2 s[0:1], s[4:5], 0x60
	s_waitcnt lgkmcnt(0)
	v_fma_f32 v15, v2, v4, 0
	v_fmac_f32_e32 v15, v3, v5
	ds_read2_b32 v[2:3], v10 offset0:64 offset1:96
	ds_read2_b32 v[4:5], v14 offset0:64 offset1:96
	;; [unrolled: 1-line block ×6, first 2 shown]
	s_waitcnt lgkmcnt(4)
	v_fmac_f32_e32 v15, v2, v4
	v_fmac_f32_e32 v15, v3, v5
	ds_read2_b32 v[2:3], v16 offset1:32
	s_waitcnt lgkmcnt(3)
	v_fmac_f32_e32 v15, v6, v8
	v_fmac_f32_e32 v15, v7, v9
	s_waitcnt lgkmcnt(1)
	v_fmac_f32_e32 v15, v10, v12
	v_fmac_f32_e32 v15, v11, v13
	ds_read2_b32 v[4:5], v17 offset1:32
	ds_read2_b32 v[6:7], v16 offset0:64 offset1:96
	ds_read2_b32 v[8:9], v17 offset0:64 offset1:96
	;; [unrolled: 1-line block ×4, first 2 shown]
	s_waitcnt lgkmcnt(4)
	v_fmac_f32_e32 v15, v2, v4
	v_fmac_f32_e32 v15, v3, v5
	ds_read2_b32 v[2:3], v16 offset0:192 offset1:224
	ds_read2_b32 v[4:5], v17 offset0:192 offset1:224
	s_waitcnt lgkmcnt(4)
	v_fmac_f32_e32 v15, v6, v8
	v_add_u32_e32 v16, 0x1800, v1
	v_fmac_f32_e32 v15, v7, v9
	ds_read2_b32 v[6:7], v16 offset1:32
	s_waitcnt lgkmcnt(3)
	v_fmac_f32_e32 v15, v10, v12
	v_add_u32_e32 v17, 0x800, v14
	v_fmac_f32_e32 v15, v11, v13
	ds_read2_b32 v[8:9], v17 offset1:32
	ds_read2_b32 v[10:11], v16 offset0:64 offset1:96
	ds_read2_b32 v[12:13], v17 offset0:64 offset1:96
	s_waitcnt lgkmcnt(4)
	v_fmac_f32_e32 v15, v2, v4
	v_fmac_f32_e32 v15, v3, v5
	s_waitcnt lgkmcnt(2)
	v_fmac_f32_e32 v15, v6, v8
	v_fmac_f32_e32 v15, v7, v9
	ds_read2_b32 v[2:3], v16 offset0:128 offset1:160
	ds_read2_b32 v[4:5], v17 offset0:128 offset1:160
	;; [unrolled: 1-line block ×4, first 2 shown]
	s_waitcnt lgkmcnt(4)
	v_fmac_f32_e32 v15, v10, v12
	v_add_u32_e32 v16, 0x1c00, v1
	v_add_u32_e32 v14, 0xc00, v14
	v_fmac_f32_e32 v15, v11, v13
	ds_read2_b32 v[10:11], v16 offset1:32
	ds_read2_b32 v[12:13], v14 offset1:32
	s_waitcnt lgkmcnt(4)
	v_fmac_f32_e32 v15, v2, v4
	s_mul_i32 s1, s7, s1
	s_mul_hi_u32 s4, s7, s0
	v_fmac_f32_e32 v15, v3, v5
	s_mul_i32 s0, s7, s0
	s_add_i32 s1, s4, s1
	s_waitcnt lgkmcnt(2)
	v_fmac_f32_e32 v15, v6, v8
	s_lshl_b64 s[0:1], s[0:1], 2
	v_fmac_f32_e32 v15, v7, v9
	s_add_u32 s4, s20, s0
	s_waitcnt lgkmcnt(0)
	v_fmac_f32_e32 v15, v10, v12
	s_addc_u32 s5, s21, s1
	s_lshl_b64 s[0:1], s[2:3], 2
	v_fmac_f32_e32 v15, v11, v13
	ds_read2_b32 v[2:3], v16 offset0:64 offset1:96
	ds_read2_b32 v[4:5], v14 offset0:64 offset1:96
	;; [unrolled: 1-line block ×6, first 2 shown]
	s_add_u32 s2, s4, s0
	s_waitcnt lgkmcnt(4)
	v_fmac_f32_e32 v15, v2, v4
	s_addc_u32 s3, s5, s1
	v_fmac_f32_e32 v15, v3, v5
	v_mad_u64_u32 v[2:3], s[0:1], v0, s22, 0
	v_mov_b32_e32 v4, v3
	v_mad_u64_u32 v[4:5], s[0:1], v0, s23, v[4:5]
	v_mov_b32_e32 v3, v4
	s_waitcnt lgkmcnt(2)
	v_fmac_f32_e32 v15, v6, v8
	v_lshlrev_b64 v[2:3], 2, v[2:3]
	v_fmac_f32_e32 v15, v7, v9
	v_mov_b32_e32 v0, s3
	v_add_co_u32_e32 v2, vcc, s2, v2
	s_waitcnt lgkmcnt(0)
	v_fmac_f32_e32 v15, v10, v12
	v_addc_co_u32_e32 v3, vcc, v0, v3, vcc
	v_fmac_f32_e32 v15, v11, v13
	v_add_co_u32_e32 v0, vcc, v2, v1
	v_mul_f32_e32 v6, s28, v15
	v_addc_co_u32_e32 v1, vcc, 0, v3, vcc
	global_store_dword v[0:1], v6, off
.LBB33_15:
	s_endpgm
	.section	.rodata,"a",@progbits
	.p2align	6, 0x0
	.amdhsa_kernel _ZL23rocblas_trmm_rTx_kernelILi32ELb0EffKffEv13rocblas_fill_17rocblas_diagonal_iiT2_lPT3_llS5_llPT4_lli
		.amdhsa_group_segment_fixed_size 8192
		.amdhsa_private_segment_fixed_size 0
		.amdhsa_kernarg_size 108
		.amdhsa_user_sgpr_count 6
		.amdhsa_user_sgpr_private_segment_buffer 1
		.amdhsa_user_sgpr_dispatch_ptr 0
		.amdhsa_user_sgpr_queue_ptr 0
		.amdhsa_user_sgpr_kernarg_segment_ptr 1
		.amdhsa_user_sgpr_dispatch_id 0
		.amdhsa_user_sgpr_flat_scratch_init 0
		.amdhsa_user_sgpr_kernarg_preload_length 0
		.amdhsa_user_sgpr_kernarg_preload_offset 0
		.amdhsa_user_sgpr_private_segment_size 0
		.amdhsa_uses_dynamic_stack 0
		.amdhsa_system_sgpr_private_segment_wavefront_offset 0
		.amdhsa_system_sgpr_workgroup_id_x 1
		.amdhsa_system_sgpr_workgroup_id_y 0
		.amdhsa_system_sgpr_workgroup_id_z 1
		.amdhsa_system_sgpr_workgroup_info 0
		.amdhsa_system_vgpr_workitem_id 1
		.amdhsa_next_free_vgpr 18
		.amdhsa_next_free_sgpr 29
		.amdhsa_accum_offset 20
		.amdhsa_reserve_vcc 1
		.amdhsa_reserve_flat_scratch 0
		.amdhsa_float_round_mode_32 0
		.amdhsa_float_round_mode_16_64 0
		.amdhsa_float_denorm_mode_32 3
		.amdhsa_float_denorm_mode_16_64 3
		.amdhsa_dx10_clamp 1
		.amdhsa_ieee_mode 1
		.amdhsa_fp16_overflow 0
		.amdhsa_tg_split 0
		.amdhsa_exception_fp_ieee_invalid_op 0
		.amdhsa_exception_fp_denorm_src 0
		.amdhsa_exception_fp_ieee_div_zero 0
		.amdhsa_exception_fp_ieee_overflow 0
		.amdhsa_exception_fp_ieee_underflow 0
		.amdhsa_exception_fp_ieee_inexact 0
		.amdhsa_exception_int_div_zero 0
	.end_amdhsa_kernel
	.section	.text._ZL23rocblas_trmm_rTx_kernelILi32ELb0EffKffEv13rocblas_fill_17rocblas_diagonal_iiT2_lPT3_llS5_llPT4_lli,"axG",@progbits,_ZL23rocblas_trmm_rTx_kernelILi32ELb0EffKffEv13rocblas_fill_17rocblas_diagonal_iiT2_lPT3_llS5_llPT4_lli,comdat
.Lfunc_end33:
	.size	_ZL23rocblas_trmm_rTx_kernelILi32ELb0EffKffEv13rocblas_fill_17rocblas_diagonal_iiT2_lPT3_llS5_llPT4_lli, .Lfunc_end33-_ZL23rocblas_trmm_rTx_kernelILi32ELb0EffKffEv13rocblas_fill_17rocblas_diagonal_iiT2_lPT3_llS5_llPT4_lli
                                        ; -- End function
	.section	.AMDGPU.csdata,"",@progbits
; Kernel info:
; codeLenInByte = 1176
; NumSgprs: 33
; NumVgprs: 18
; NumAgprs: 0
; TotalNumVgprs: 18
; ScratchSize: 0
; MemoryBound: 0
; FloatMode: 240
; IeeeMode: 1
; LDSByteSize: 8192 bytes/workgroup (compile time only)
; SGPRBlocks: 4
; VGPRBlocks: 2
; NumSGPRsForWavesPerEU: 33
; NumVGPRsForWavesPerEU: 18
; AccumOffset: 20
; Occupancy: 8
; WaveLimiterHint : 0
; COMPUTE_PGM_RSRC2:SCRATCH_EN: 0
; COMPUTE_PGM_RSRC2:USER_SGPR: 6
; COMPUTE_PGM_RSRC2:TRAP_HANDLER: 0
; COMPUTE_PGM_RSRC2:TGID_X_EN: 1
; COMPUTE_PGM_RSRC2:TGID_Y_EN: 0
; COMPUTE_PGM_RSRC2:TGID_Z_EN: 1
; COMPUTE_PGM_RSRC2:TIDIG_COMP_CNT: 1
; COMPUTE_PGM_RSRC3_GFX90A:ACCUM_OFFSET: 4
; COMPUTE_PGM_RSRC3_GFX90A:TG_SPLIT: 0
	.section	.text._ZL23rocblas_trmm_rTx_kernelILi32ELb1EfPKfS0_fEv13rocblas_fill_17rocblas_diagonal_iiT2_lPT3_llS6_llPT4_lli,"axG",@progbits,_ZL23rocblas_trmm_rTx_kernelILi32ELb1EfPKfS0_fEv13rocblas_fill_17rocblas_diagonal_iiT2_lPT3_llS6_llPT4_lli,comdat
	.globl	_ZL23rocblas_trmm_rTx_kernelILi32ELb1EfPKfS0_fEv13rocblas_fill_17rocblas_diagonal_iiT2_lPT3_llS6_llPT4_lli ; -- Begin function _ZL23rocblas_trmm_rTx_kernelILi32ELb1EfPKfS0_fEv13rocblas_fill_17rocblas_diagonal_iiT2_lPT3_llS6_llPT4_lli
	.p2align	8
	.type	_ZL23rocblas_trmm_rTx_kernelILi32ELb1EfPKfS0_fEv13rocblas_fill_17rocblas_diagonal_iiT2_lPT3_llS6_llPT4_lli,@function
_ZL23rocblas_trmm_rTx_kernelILi32ELb1EfPKfS0_fEv13rocblas_fill_17rocblas_diagonal_iiT2_lPT3_llS6_llPT4_lli: ; @_ZL23rocblas_trmm_rTx_kernelILi32ELb1EfPKfS0_fEv13rocblas_fill_17rocblas_diagonal_iiT2_lPT3_llS6_llPT4_lli
; %bb.0:
	s_load_dwordx16 s[8:23], s[4:5], 0x10
	s_waitcnt lgkmcnt(0)
	s_mul_i32 s0, s7, s11
	s_mul_hi_u32 s1, s7, s10
	s_add_i32 s1, s1, s0
	s_mul_i32 s0, s7, s10
	s_lshl_b64 s[0:1], s[0:1], 2
	s_add_u32 s0, s8, s0
	s_addc_u32 s1, s9, s1
	s_load_dword s24, s[0:1], 0x0
	s_waitcnt lgkmcnt(0)
	v_cmp_eq_f32_e64 s[0:1], s24, 0
	s_and_b64 vcc, exec, s[0:1]
	s_cbranch_vccnz .LBB34_15
; %bb.1:
	s_load_dwordx4 s[8:11], s[4:5], 0x0
	v_and_b32_e32 v3, 0x3ff, v0
	v_bfe_u32 v0, v0, 10, 10
	v_lshlrev_b32_e32 v1, 5, v0
	v_add_lshl_u32 v2, v1, v3, 2
	v_mov_b32_e32 v1, 0
	s_waitcnt lgkmcnt(0)
	v_cmp_gt_i32_e32 vcc, s11, v0
	v_cmp_gt_i32_e64 s[0:1], s11, v3
	ds_write2st64_b32 v2, v1, v1 offset1:16
	s_and_b64 s[0:1], vcc, s[0:1]
	v_lshlrev_b32_e32 v1, 2, v3
	s_and_saveexec_b64 s[2:3], s[0:1]
	s_cbranch_execz .LBB34_3
; %bb.2:
	s_mul_i32 s0, s7, s17
	s_mul_hi_u32 s1, s7, s16
	s_add_i32 s1, s1, s0
	s_mul_i32 s0, s7, s16
	s_lshl_b64 s[0:1], s[0:1], 2
	s_add_u32 s11, s12, s0
	s_addc_u32 s12, s13, s1
	v_mad_u64_u32 v[4:5], s[0:1], v0, s14, 0
	v_mov_b32_e32 v6, v5
	v_mad_u64_u32 v[6:7], s[0:1], v0, s15, v[6:7]
	v_mov_b32_e32 v5, v6
	v_lshlrev_b64 v[4:5], 2, v[4:5]
	v_mov_b32_e32 v6, s12
	v_add_co_u32_e64 v4, s[0:1], s11, v4
	v_addc_co_u32_e64 v5, s[0:1], v6, v5, s[0:1]
	v_add_co_u32_e64 v4, s[0:1], v4, v1
	v_addc_co_u32_e64 v5, s[0:1], 0, v5, s[0:1]
	global_load_dword v4, v[4:5], off
	s_waitcnt vmcnt(0)
	ds_write_b32 v2, v4
.LBB34_3:
	s_or_b64 exec, exec, s[2:3]
	s_add_i32 s0, s10, -1
	s_ashr_i32 s1, s0, 31
	s_lshr_b32 s1, s1, 27
	s_add_i32 s0, s0, s1
	s_ashr_i32 s1, s0, 5
	s_andn2_b32 s0, s0, 31
	s_sub_i32 s0, s10, s0
	s_cmp_ge_i32 s6, s1
	s_cselect_b32 s0, s0, 32
	s_lshl_b32 s10, s6, 5
	v_cmp_gt_i32_e64 s[0:1], s0, v3
	s_ashr_i32 s11, s10, 31
	s_and_b64 s[0:1], vcc, s[0:1]
	s_and_saveexec_b64 s[2:3], s[0:1]
	s_cbranch_execz .LBB34_5
; %bb.4:
	s_mul_i32 s6, s7, s23
	s_mul_hi_u32 s12, s7, s22
	s_add_i32 s13, s12, s6
	s_mul_i32 s12, s7, s22
	s_lshl_b64 s[12:13], s[12:13], 2
	s_add_u32 s6, s18, s12
	s_addc_u32 s14, s19, s13
	s_lshl_b64 s[12:13], s[10:11], 2
	s_add_u32 s6, s6, s12
	s_addc_u32 s14, s14, s13
	v_mad_u64_u32 v[4:5], s[12:13], v0, s20, 0
	v_mov_b32_e32 v6, v5
	v_mad_u64_u32 v[6:7], s[12:13], v0, s21, v[6:7]
	v_mov_b32_e32 v5, v6
	v_lshlrev_b64 v[4:5], 2, v[4:5]
	v_mov_b32_e32 v6, s14
	v_add_co_u32_e32 v4, vcc, s6, v4
	v_addc_co_u32_e32 v5, vcc, v6, v5, vcc
	v_add_co_u32_e32 v4, vcc, v4, v1
	v_addc_co_u32_e32 v5, vcc, 0, v5, vcc
	global_load_dword v4, v[4:5], off
	v_add_u32_e32 v5, 0x1000, v2
	s_waitcnt vmcnt(0)
	ds_write_b32 v5, v4
.LBB34_5:
	s_or_b64 exec, exec, s[2:3]
	s_cmpk_eq_i32 s9, 0x84
	s_cselect_b64 s[2:3], -1, 0
	v_cmp_eq_u32_e32 vcc, v0, v3
	s_and_b64 s[12:13], vcc, s[2:3]
	s_and_saveexec_b64 s[2:3], s[12:13]
	s_cbranch_execz .LBB34_7
; %bb.6:
	v_mov_b32_e32 v4, 1.0
	ds_write_b32 v2, v4
.LBB34_7:
	s_or_b64 exec, exec, s[2:3]
	s_cmpk_lg_i32 s8, 0x79
	s_cbranch_scc0 .LBB34_9
; %bb.8:
	v_cmp_lt_u32_e32 vcc, v3, v0
	s_and_b64 s[2:3], vcc, exec
	s_cbranch_execz .LBB34_10
	s_branch .LBB34_11
.LBB34_9:
	s_mov_b64 s[2:3], 0
.LBB34_10:
	v_cmp_gt_u32_e32 vcc, v3, v0
	s_andn2_b64 s[2:3], s[2:3], exec
	s_and_b64 s[8:9], vcc, exec
	s_or_b64 s[2:3], s[2:3], s[8:9]
.LBB34_11:
	s_and_saveexec_b64 s[8:9], s[2:3]
	s_cbranch_execz .LBB34_13
; %bb.12:
	v_mov_b32_e32 v3, 0
	ds_write_b32 v2, v3
.LBB34_13:
	s_or_b64 exec, exec, s[8:9]
	s_waitcnt lgkmcnt(0)
	s_barrier
	s_and_saveexec_b64 s[2:3], s[0:1]
	s_cbranch_execz .LBB34_15
; %bb.14:
	v_add_u32_e32 v10, 0x1000, v1
	v_lshlrev_b32_e32 v14, 2, v0
	s_load_dwordx2 s[8:9], s[4:5], 0x60
	s_load_dwordx4 s[0:3], s[4:5], 0x50
	ds_read2_b32 v[2:3], v10 offset1:32
	ds_read2_b32 v[4:5], v14 offset1:32
	v_add_u32_e32 v16, 0x1400, v1
	v_add_u32_e32 v17, 0x400, v14
	s_waitcnt lgkmcnt(0)
	s_mul_i32 s5, s7, s9
	s_mul_hi_u32 s6, s7, s8
	v_fma_f32 v15, v2, v4, 0
	v_fmac_f32_e32 v15, v3, v5
	ds_read2_b32 v[2:3], v10 offset0:64 offset1:96
	ds_read2_b32 v[4:5], v14 offset0:64 offset1:96
	;; [unrolled: 1-line block ×6, first 2 shown]
	s_waitcnt lgkmcnt(4)
	v_fmac_f32_e32 v15, v2, v4
	v_fmac_f32_e32 v15, v3, v5
	ds_read2_b32 v[2:3], v16 offset1:32
	s_waitcnt lgkmcnt(3)
	v_fmac_f32_e32 v15, v6, v8
	v_fmac_f32_e32 v15, v7, v9
	s_waitcnt lgkmcnt(1)
	v_fmac_f32_e32 v15, v10, v12
	v_fmac_f32_e32 v15, v11, v13
	ds_read2_b32 v[4:5], v17 offset1:32
	ds_read2_b32 v[6:7], v16 offset0:64 offset1:96
	ds_read2_b32 v[8:9], v17 offset0:64 offset1:96
	;; [unrolled: 1-line block ×4, first 2 shown]
	s_waitcnt lgkmcnt(4)
	v_fmac_f32_e32 v15, v2, v4
	v_fmac_f32_e32 v15, v3, v5
	ds_read2_b32 v[2:3], v16 offset0:192 offset1:224
	ds_read2_b32 v[4:5], v17 offset0:192 offset1:224
	s_waitcnt lgkmcnt(4)
	v_fmac_f32_e32 v15, v6, v8
	v_add_u32_e32 v16, 0x1800, v1
	v_fmac_f32_e32 v15, v7, v9
	ds_read2_b32 v[6:7], v16 offset1:32
	s_waitcnt lgkmcnt(3)
	v_fmac_f32_e32 v15, v10, v12
	v_add_u32_e32 v17, 0x800, v14
	v_fmac_f32_e32 v15, v11, v13
	ds_read2_b32 v[8:9], v17 offset1:32
	ds_read2_b32 v[10:11], v16 offset0:64 offset1:96
	ds_read2_b32 v[12:13], v17 offset0:64 offset1:96
	s_waitcnt lgkmcnt(4)
	v_fmac_f32_e32 v15, v2, v4
	v_fmac_f32_e32 v15, v3, v5
	s_waitcnt lgkmcnt(2)
	v_fmac_f32_e32 v15, v6, v8
	v_fmac_f32_e32 v15, v7, v9
	ds_read2_b32 v[2:3], v16 offset0:128 offset1:160
	ds_read2_b32 v[4:5], v17 offset0:128 offset1:160
	;; [unrolled: 1-line block ×4, first 2 shown]
	s_waitcnt lgkmcnt(4)
	v_fmac_f32_e32 v15, v10, v12
	v_add_u32_e32 v16, 0x1c00, v1
	v_add_u32_e32 v14, 0xc00, v14
	v_fmac_f32_e32 v15, v11, v13
	ds_read2_b32 v[10:11], v16 offset1:32
	ds_read2_b32 v[12:13], v14 offset1:32
	s_waitcnt lgkmcnt(4)
	v_fmac_f32_e32 v15, v2, v4
	v_fmac_f32_e32 v15, v3, v5
	s_mul_i32 s4, s7, s8
	s_add_i32 s5, s6, s5
	s_waitcnt lgkmcnt(2)
	v_fmac_f32_e32 v15, v6, v8
	s_lshl_b64 s[4:5], s[4:5], 2
	v_fmac_f32_e32 v15, v7, v9
	s_add_u32 s4, s0, s4
	s_waitcnt lgkmcnt(0)
	v_fmac_f32_e32 v15, v10, v12
	s_addc_u32 s5, s1, s5
	s_lshl_b64 s[0:1], s[10:11], 2
	v_fmac_f32_e32 v15, v11, v13
	ds_read2_b32 v[2:3], v16 offset0:64 offset1:96
	ds_read2_b32 v[4:5], v14 offset0:64 offset1:96
	ds_read2_b32 v[6:7], v16 offset0:128 offset1:160
	ds_read2_b32 v[8:9], v14 offset0:128 offset1:160
	ds_read2_b32 v[10:11], v16 offset0:192 offset1:224
	ds_read2_b32 v[12:13], v14 offset0:192 offset1:224
	s_add_u32 s4, s4, s0
	s_waitcnt lgkmcnt(4)
	v_fmac_f32_e32 v15, v2, v4
	s_addc_u32 s5, s5, s1
	v_fmac_f32_e32 v15, v3, v5
	v_mad_u64_u32 v[2:3], s[0:1], v0, s2, 0
	v_mov_b32_e32 v4, v3
	v_mad_u64_u32 v[4:5], s[0:1], v0, s3, v[4:5]
	v_mov_b32_e32 v3, v4
	s_waitcnt lgkmcnt(2)
	v_fmac_f32_e32 v15, v6, v8
	v_lshlrev_b64 v[2:3], 2, v[2:3]
	v_fmac_f32_e32 v15, v7, v9
	v_mov_b32_e32 v0, s5
	v_add_co_u32_e32 v2, vcc, s4, v2
	s_waitcnt lgkmcnt(0)
	v_fmac_f32_e32 v15, v10, v12
	v_addc_co_u32_e32 v3, vcc, v0, v3, vcc
	v_fmac_f32_e32 v15, v11, v13
	v_add_co_u32_e32 v0, vcc, v2, v1
	v_mul_f32_e32 v6, s24, v15
	v_addc_co_u32_e32 v1, vcc, 0, v3, vcc
	global_store_dword v[0:1], v6, off
.LBB34_15:
	s_endpgm
	.section	.rodata,"a",@progbits
	.p2align	6, 0x0
	.amdhsa_kernel _ZL23rocblas_trmm_rTx_kernelILi32ELb1EfPKfS0_fEv13rocblas_fill_17rocblas_diagonal_iiT2_lPT3_llS6_llPT4_lli
		.amdhsa_group_segment_fixed_size 8192
		.amdhsa_private_segment_fixed_size 0
		.amdhsa_kernarg_size 108
		.amdhsa_user_sgpr_count 6
		.amdhsa_user_sgpr_private_segment_buffer 1
		.amdhsa_user_sgpr_dispatch_ptr 0
		.amdhsa_user_sgpr_queue_ptr 0
		.amdhsa_user_sgpr_kernarg_segment_ptr 1
		.amdhsa_user_sgpr_dispatch_id 0
		.amdhsa_user_sgpr_flat_scratch_init 0
		.amdhsa_user_sgpr_kernarg_preload_length 0
		.amdhsa_user_sgpr_kernarg_preload_offset 0
		.amdhsa_user_sgpr_private_segment_size 0
		.amdhsa_uses_dynamic_stack 0
		.amdhsa_system_sgpr_private_segment_wavefront_offset 0
		.amdhsa_system_sgpr_workgroup_id_x 1
		.amdhsa_system_sgpr_workgroup_id_y 0
		.amdhsa_system_sgpr_workgroup_id_z 1
		.amdhsa_system_sgpr_workgroup_info 0
		.amdhsa_system_vgpr_workitem_id 1
		.amdhsa_next_free_vgpr 18
		.amdhsa_next_free_sgpr 25
		.amdhsa_accum_offset 20
		.amdhsa_reserve_vcc 1
		.amdhsa_reserve_flat_scratch 0
		.amdhsa_float_round_mode_32 0
		.amdhsa_float_round_mode_16_64 0
		.amdhsa_float_denorm_mode_32 3
		.amdhsa_float_denorm_mode_16_64 3
		.amdhsa_dx10_clamp 1
		.amdhsa_ieee_mode 1
		.amdhsa_fp16_overflow 0
		.amdhsa_tg_split 0
		.amdhsa_exception_fp_ieee_invalid_op 0
		.amdhsa_exception_fp_denorm_src 0
		.amdhsa_exception_fp_ieee_div_zero 0
		.amdhsa_exception_fp_ieee_overflow 0
		.amdhsa_exception_fp_ieee_underflow 0
		.amdhsa_exception_fp_ieee_inexact 0
		.amdhsa_exception_int_div_zero 0
	.end_amdhsa_kernel
	.section	.text._ZL23rocblas_trmm_rTx_kernelILi32ELb1EfPKfS0_fEv13rocblas_fill_17rocblas_diagonal_iiT2_lPT3_llS6_llPT4_lli,"axG",@progbits,_ZL23rocblas_trmm_rTx_kernelILi32ELb1EfPKfS0_fEv13rocblas_fill_17rocblas_diagonal_iiT2_lPT3_llS6_llPT4_lli,comdat
.Lfunc_end34:
	.size	_ZL23rocblas_trmm_rTx_kernelILi32ELb1EfPKfS0_fEv13rocblas_fill_17rocblas_diagonal_iiT2_lPT3_llS6_llPT4_lli, .Lfunc_end34-_ZL23rocblas_trmm_rTx_kernelILi32ELb1EfPKfS0_fEv13rocblas_fill_17rocblas_diagonal_iiT2_lPT3_llS6_llPT4_lli
                                        ; -- End function
	.section	.AMDGPU.csdata,"",@progbits
; Kernel info:
; codeLenInByte = 1216
; NumSgprs: 29
; NumVgprs: 18
; NumAgprs: 0
; TotalNumVgprs: 18
; ScratchSize: 0
; MemoryBound: 0
; FloatMode: 240
; IeeeMode: 1
; LDSByteSize: 8192 bytes/workgroup (compile time only)
; SGPRBlocks: 3
; VGPRBlocks: 2
; NumSGPRsForWavesPerEU: 29
; NumVGPRsForWavesPerEU: 18
; AccumOffset: 20
; Occupancy: 8
; WaveLimiterHint : 0
; COMPUTE_PGM_RSRC2:SCRATCH_EN: 0
; COMPUTE_PGM_RSRC2:USER_SGPR: 6
; COMPUTE_PGM_RSRC2:TRAP_HANDLER: 0
; COMPUTE_PGM_RSRC2:TGID_X_EN: 1
; COMPUTE_PGM_RSRC2:TGID_Y_EN: 0
; COMPUTE_PGM_RSRC2:TGID_Z_EN: 1
; COMPUTE_PGM_RSRC2:TIDIG_COMP_CNT: 1
; COMPUTE_PGM_RSRC3_GFX90A:ACCUM_OFFSET: 4
; COMPUTE_PGM_RSRC3_GFX90A:TG_SPLIT: 0
	.section	.text._ZL23rocblas_trmm_rTx_kernelILi32ELb1EffKffEv13rocblas_fill_17rocblas_diagonal_iiT2_lPT3_llS5_llPT4_lli,"axG",@progbits,_ZL23rocblas_trmm_rTx_kernelILi32ELb1EffKffEv13rocblas_fill_17rocblas_diagonal_iiT2_lPT3_llS5_llPT4_lli,comdat
	.globl	_ZL23rocblas_trmm_rTx_kernelILi32ELb1EffKffEv13rocblas_fill_17rocblas_diagonal_iiT2_lPT3_llS5_llPT4_lli ; -- Begin function _ZL23rocblas_trmm_rTx_kernelILi32ELb1EffKffEv13rocblas_fill_17rocblas_diagonal_iiT2_lPT3_llS5_llPT4_lli
	.p2align	8
	.type	_ZL23rocblas_trmm_rTx_kernelILi32ELb1EffKffEv13rocblas_fill_17rocblas_diagonal_iiT2_lPT3_llS5_llPT4_lli,@function
_ZL23rocblas_trmm_rTx_kernelILi32ELb1EffKffEv13rocblas_fill_17rocblas_diagonal_iiT2_lPT3_llS5_llPT4_lli: ; @_ZL23rocblas_trmm_rTx_kernelILi32ELb1EffKffEv13rocblas_fill_17rocblas_diagonal_iiT2_lPT3_llS5_llPT4_lli
; %bb.0:
	s_load_dword s28, s[4:5], 0x10
	s_waitcnt lgkmcnt(0)
	v_cmp_eq_f32_e64 s[0:1], s28, 0
	s_and_b64 vcc, exec, s[0:1]
	s_cbranch_vccnz .LBB35_15
; %bb.1:
	s_load_dwordx4 s[24:27], s[4:5], 0x0
	s_load_dwordx16 s[8:23], s[4:5], 0x20
	v_and_b32_e32 v3, 0x3ff, v0
	v_bfe_u32 v0, v0, 10, 10
	v_lshlrev_b32_e32 v1, 5, v0
	v_add_lshl_u32 v2, v1, v3, 2
	v_mov_b32_e32 v1, 0
	s_waitcnt lgkmcnt(0)
	v_cmp_gt_i32_e32 vcc, s27, v0
	v_cmp_gt_i32_e64 s[0:1], s27, v3
	ds_write2st64_b32 v2, v1, v1 offset1:16
	s_and_b64 s[0:1], vcc, s[0:1]
	v_lshlrev_b32_e32 v1, 2, v3
	s_and_saveexec_b64 s[2:3], s[0:1]
	s_cbranch_execz .LBB35_3
; %bb.2:
	s_mul_i32 s0, s7, s13
	s_mul_hi_u32 s1, s7, s12
	s_add_i32 s1, s1, s0
	s_mul_i32 s0, s7, s12
	s_lshl_b64 s[0:1], s[0:1], 2
	s_add_u32 s8, s8, s0
	s_addc_u32 s9, s9, s1
	v_mad_u64_u32 v[4:5], s[0:1], v0, s10, 0
	v_mov_b32_e32 v6, v5
	v_mad_u64_u32 v[6:7], s[0:1], v0, s11, v[6:7]
	v_mov_b32_e32 v5, v6
	v_lshlrev_b64 v[4:5], 2, v[4:5]
	v_mov_b32_e32 v6, s9
	v_add_co_u32_e64 v4, s[0:1], s8, v4
	v_addc_co_u32_e64 v5, s[0:1], v6, v5, s[0:1]
	v_add_co_u32_e64 v4, s[0:1], v4, v1
	v_addc_co_u32_e64 v5, s[0:1], 0, v5, s[0:1]
	global_load_dword v4, v[4:5], off
	s_waitcnt vmcnt(0)
	ds_write_b32 v2, v4
.LBB35_3:
	s_or_b64 exec, exec, s[2:3]
	s_add_i32 s0, s26, -1
	s_ashr_i32 s1, s0, 31
	s_lshr_b32 s1, s1, 27
	s_add_i32 s0, s0, s1
	s_ashr_i32 s1, s0, 5
	s_andn2_b32 s0, s0, 31
	s_sub_i32 s0, s26, s0
	s_cmp_ge_i32 s6, s1
	s_cselect_b32 s0, s0, 32
	s_lshl_b32 s2, s6, 5
	v_cmp_gt_i32_e64 s[0:1], s0, v3
	s_ashr_i32 s3, s2, 31
	s_and_b64 s[0:1], vcc, s[0:1]
	s_and_saveexec_b64 s[8:9], s[0:1]
	s_cbranch_execz .LBB35_5
; %bb.4:
	s_mul_i32 s6, s7, s19
	s_mul_hi_u32 s10, s7, s18
	s_add_i32 s11, s10, s6
	s_mul_i32 s10, s7, s18
	s_lshl_b64 s[10:11], s[10:11], 2
	s_add_u32 s6, s14, s10
	s_addc_u32 s12, s15, s11
	s_lshl_b64 s[10:11], s[2:3], 2
	s_add_u32 s6, s6, s10
	s_addc_u32 s12, s12, s11
	v_mad_u64_u32 v[4:5], s[10:11], v0, s16, 0
	v_mov_b32_e32 v6, v5
	v_mad_u64_u32 v[6:7], s[10:11], v0, s17, v[6:7]
	v_mov_b32_e32 v5, v6
	v_lshlrev_b64 v[4:5], 2, v[4:5]
	v_mov_b32_e32 v6, s12
	v_add_co_u32_e32 v4, vcc, s6, v4
	v_addc_co_u32_e32 v5, vcc, v6, v5, vcc
	v_add_co_u32_e32 v4, vcc, v4, v1
	v_addc_co_u32_e32 v5, vcc, 0, v5, vcc
	global_load_dword v4, v[4:5], off
	v_add_u32_e32 v5, 0x1000, v2
	s_waitcnt vmcnt(0)
	ds_write_b32 v5, v4
.LBB35_5:
	s_or_b64 exec, exec, s[8:9]
	s_cmpk_eq_i32 s25, 0x84
	s_cselect_b64 s[8:9], -1, 0
	v_cmp_eq_u32_e32 vcc, v0, v3
	s_and_b64 s[10:11], vcc, s[8:9]
	s_and_saveexec_b64 s[8:9], s[10:11]
	s_cbranch_execz .LBB35_7
; %bb.6:
	v_mov_b32_e32 v4, 1.0
	ds_write_b32 v2, v4
.LBB35_7:
	s_or_b64 exec, exec, s[8:9]
	s_cmpk_lg_i32 s24, 0x79
	s_cbranch_scc0 .LBB35_9
; %bb.8:
	v_cmp_lt_u32_e32 vcc, v3, v0
	s_and_b64 s[8:9], vcc, exec
	s_cbranch_execz .LBB35_10
	s_branch .LBB35_11
.LBB35_9:
	s_mov_b64 s[8:9], 0
.LBB35_10:
	v_cmp_gt_u32_e32 vcc, v3, v0
	s_andn2_b64 s[8:9], s[8:9], exec
	s_and_b64 s[10:11], vcc, exec
	s_or_b64 s[8:9], s[8:9], s[10:11]
.LBB35_11:
	s_and_saveexec_b64 s[10:11], s[8:9]
	s_cbranch_execz .LBB35_13
; %bb.12:
	v_mov_b32_e32 v3, 0
	ds_write_b32 v2, v3
.LBB35_13:
	s_or_b64 exec, exec, s[10:11]
	s_waitcnt lgkmcnt(0)
	s_barrier
	s_and_saveexec_b64 s[8:9], s[0:1]
	s_cbranch_execz .LBB35_15
; %bb.14:
	v_add_u32_e32 v10, 0x1000, v1
	v_lshlrev_b32_e32 v14, 2, v0
	ds_read2_b32 v[2:3], v10 offset1:32
	ds_read2_b32 v[4:5], v14 offset1:32
	v_add_u32_e32 v16, 0x1400, v1
	v_add_u32_e32 v17, 0x400, v14
	s_load_dwordx2 s[0:1], s[4:5], 0x60
	s_waitcnt lgkmcnt(0)
	v_fma_f32 v15, v2, v4, 0
	v_fmac_f32_e32 v15, v3, v5
	ds_read2_b32 v[2:3], v10 offset0:64 offset1:96
	ds_read2_b32 v[4:5], v14 offset0:64 offset1:96
	;; [unrolled: 1-line block ×6, first 2 shown]
	s_waitcnt lgkmcnt(4)
	v_fmac_f32_e32 v15, v2, v4
	v_fmac_f32_e32 v15, v3, v5
	ds_read2_b32 v[2:3], v16 offset1:32
	s_waitcnt lgkmcnt(3)
	v_fmac_f32_e32 v15, v6, v8
	v_fmac_f32_e32 v15, v7, v9
	s_waitcnt lgkmcnt(1)
	v_fmac_f32_e32 v15, v10, v12
	v_fmac_f32_e32 v15, v11, v13
	ds_read2_b32 v[4:5], v17 offset1:32
	ds_read2_b32 v[6:7], v16 offset0:64 offset1:96
	ds_read2_b32 v[8:9], v17 offset0:64 offset1:96
	;; [unrolled: 1-line block ×4, first 2 shown]
	s_waitcnt lgkmcnt(4)
	v_fmac_f32_e32 v15, v2, v4
	v_fmac_f32_e32 v15, v3, v5
	ds_read2_b32 v[2:3], v16 offset0:192 offset1:224
	ds_read2_b32 v[4:5], v17 offset0:192 offset1:224
	s_waitcnt lgkmcnt(4)
	v_fmac_f32_e32 v15, v6, v8
	v_add_u32_e32 v16, 0x1800, v1
	v_fmac_f32_e32 v15, v7, v9
	ds_read2_b32 v[6:7], v16 offset1:32
	s_waitcnt lgkmcnt(3)
	v_fmac_f32_e32 v15, v10, v12
	v_add_u32_e32 v17, 0x800, v14
	v_fmac_f32_e32 v15, v11, v13
	ds_read2_b32 v[8:9], v17 offset1:32
	ds_read2_b32 v[10:11], v16 offset0:64 offset1:96
	ds_read2_b32 v[12:13], v17 offset0:64 offset1:96
	s_waitcnt lgkmcnt(4)
	v_fmac_f32_e32 v15, v2, v4
	v_fmac_f32_e32 v15, v3, v5
	s_waitcnt lgkmcnt(2)
	v_fmac_f32_e32 v15, v6, v8
	v_fmac_f32_e32 v15, v7, v9
	ds_read2_b32 v[2:3], v16 offset0:128 offset1:160
	ds_read2_b32 v[4:5], v17 offset0:128 offset1:160
	;; [unrolled: 1-line block ×4, first 2 shown]
	s_waitcnt lgkmcnt(4)
	v_fmac_f32_e32 v15, v10, v12
	v_add_u32_e32 v16, 0x1c00, v1
	v_add_u32_e32 v14, 0xc00, v14
	v_fmac_f32_e32 v15, v11, v13
	ds_read2_b32 v[10:11], v16 offset1:32
	ds_read2_b32 v[12:13], v14 offset1:32
	s_waitcnt lgkmcnt(4)
	v_fmac_f32_e32 v15, v2, v4
	s_mul_i32 s1, s7, s1
	s_mul_hi_u32 s4, s7, s0
	v_fmac_f32_e32 v15, v3, v5
	s_mul_i32 s0, s7, s0
	s_add_i32 s1, s4, s1
	s_waitcnt lgkmcnt(2)
	v_fmac_f32_e32 v15, v6, v8
	s_lshl_b64 s[0:1], s[0:1], 2
	v_fmac_f32_e32 v15, v7, v9
	s_add_u32 s4, s20, s0
	s_waitcnt lgkmcnt(0)
	v_fmac_f32_e32 v15, v10, v12
	s_addc_u32 s5, s21, s1
	s_lshl_b64 s[0:1], s[2:3], 2
	v_fmac_f32_e32 v15, v11, v13
	ds_read2_b32 v[2:3], v16 offset0:64 offset1:96
	ds_read2_b32 v[4:5], v14 offset0:64 offset1:96
	;; [unrolled: 1-line block ×6, first 2 shown]
	s_add_u32 s2, s4, s0
	s_waitcnt lgkmcnt(4)
	v_fmac_f32_e32 v15, v2, v4
	s_addc_u32 s3, s5, s1
	v_fmac_f32_e32 v15, v3, v5
	v_mad_u64_u32 v[2:3], s[0:1], v0, s22, 0
	v_mov_b32_e32 v4, v3
	v_mad_u64_u32 v[4:5], s[0:1], v0, s23, v[4:5]
	v_mov_b32_e32 v3, v4
	s_waitcnt lgkmcnt(2)
	v_fmac_f32_e32 v15, v6, v8
	v_lshlrev_b64 v[2:3], 2, v[2:3]
	v_fmac_f32_e32 v15, v7, v9
	v_mov_b32_e32 v0, s3
	v_add_co_u32_e32 v2, vcc, s2, v2
	s_waitcnt lgkmcnt(0)
	v_fmac_f32_e32 v15, v10, v12
	v_addc_co_u32_e32 v3, vcc, v0, v3, vcc
	v_fmac_f32_e32 v15, v11, v13
	v_add_co_u32_e32 v0, vcc, v2, v1
	v_mul_f32_e32 v6, s28, v15
	v_addc_co_u32_e32 v1, vcc, 0, v3, vcc
	global_store_dword v[0:1], v6, off
.LBB35_15:
	s_endpgm
	.section	.rodata,"a",@progbits
	.p2align	6, 0x0
	.amdhsa_kernel _ZL23rocblas_trmm_rTx_kernelILi32ELb1EffKffEv13rocblas_fill_17rocblas_diagonal_iiT2_lPT3_llS5_llPT4_lli
		.amdhsa_group_segment_fixed_size 8192
		.amdhsa_private_segment_fixed_size 0
		.amdhsa_kernarg_size 108
		.amdhsa_user_sgpr_count 6
		.amdhsa_user_sgpr_private_segment_buffer 1
		.amdhsa_user_sgpr_dispatch_ptr 0
		.amdhsa_user_sgpr_queue_ptr 0
		.amdhsa_user_sgpr_kernarg_segment_ptr 1
		.amdhsa_user_sgpr_dispatch_id 0
		.amdhsa_user_sgpr_flat_scratch_init 0
		.amdhsa_user_sgpr_kernarg_preload_length 0
		.amdhsa_user_sgpr_kernarg_preload_offset 0
		.amdhsa_user_sgpr_private_segment_size 0
		.amdhsa_uses_dynamic_stack 0
		.amdhsa_system_sgpr_private_segment_wavefront_offset 0
		.amdhsa_system_sgpr_workgroup_id_x 1
		.amdhsa_system_sgpr_workgroup_id_y 0
		.amdhsa_system_sgpr_workgroup_id_z 1
		.amdhsa_system_sgpr_workgroup_info 0
		.amdhsa_system_vgpr_workitem_id 1
		.amdhsa_next_free_vgpr 18
		.amdhsa_next_free_sgpr 29
		.amdhsa_accum_offset 20
		.amdhsa_reserve_vcc 1
		.amdhsa_reserve_flat_scratch 0
		.amdhsa_float_round_mode_32 0
		.amdhsa_float_round_mode_16_64 0
		.amdhsa_float_denorm_mode_32 3
		.amdhsa_float_denorm_mode_16_64 3
		.amdhsa_dx10_clamp 1
		.amdhsa_ieee_mode 1
		.amdhsa_fp16_overflow 0
		.amdhsa_tg_split 0
		.amdhsa_exception_fp_ieee_invalid_op 0
		.amdhsa_exception_fp_denorm_src 0
		.amdhsa_exception_fp_ieee_div_zero 0
		.amdhsa_exception_fp_ieee_overflow 0
		.amdhsa_exception_fp_ieee_underflow 0
		.amdhsa_exception_fp_ieee_inexact 0
		.amdhsa_exception_int_div_zero 0
	.end_amdhsa_kernel
	.section	.text._ZL23rocblas_trmm_rTx_kernelILi32ELb1EffKffEv13rocblas_fill_17rocblas_diagonal_iiT2_lPT3_llS5_llPT4_lli,"axG",@progbits,_ZL23rocblas_trmm_rTx_kernelILi32ELb1EffKffEv13rocblas_fill_17rocblas_diagonal_iiT2_lPT3_llS5_llPT4_lli,comdat
.Lfunc_end35:
	.size	_ZL23rocblas_trmm_rTx_kernelILi32ELb1EffKffEv13rocblas_fill_17rocblas_diagonal_iiT2_lPT3_llS5_llPT4_lli, .Lfunc_end35-_ZL23rocblas_trmm_rTx_kernelILi32ELb1EffKffEv13rocblas_fill_17rocblas_diagonal_iiT2_lPT3_llS5_llPT4_lli
                                        ; -- End function
	.section	.AMDGPU.csdata,"",@progbits
; Kernel info:
; codeLenInByte = 1176
; NumSgprs: 33
; NumVgprs: 18
; NumAgprs: 0
; TotalNumVgprs: 18
; ScratchSize: 0
; MemoryBound: 0
; FloatMode: 240
; IeeeMode: 1
; LDSByteSize: 8192 bytes/workgroup (compile time only)
; SGPRBlocks: 4
; VGPRBlocks: 2
; NumSGPRsForWavesPerEU: 33
; NumVGPRsForWavesPerEU: 18
; AccumOffset: 20
; Occupancy: 8
; WaveLimiterHint : 0
; COMPUTE_PGM_RSRC2:SCRATCH_EN: 0
; COMPUTE_PGM_RSRC2:USER_SGPR: 6
; COMPUTE_PGM_RSRC2:TRAP_HANDLER: 0
; COMPUTE_PGM_RSRC2:TGID_X_EN: 1
; COMPUTE_PGM_RSRC2:TGID_Y_EN: 0
; COMPUTE_PGM_RSRC2:TGID_Z_EN: 1
; COMPUTE_PGM_RSRC2:TIDIG_COMP_CNT: 1
; COMPUTE_PGM_RSRC3_GFX90A:ACCUM_OFFSET: 4
; COMPUTE_PGM_RSRC3_GFX90A:TG_SPLIT: 0
	.section	.text._ZL30rocblas_trmm_outofplace_kernelIdLi32ELi2ELb1ELb0ELb0ELb0EPKdS0_dEv17rocblas_diagonal_iiT6_lPT7_lllS5_lllPT8_llli,"axG",@progbits,_ZL30rocblas_trmm_outofplace_kernelIdLi32ELi2ELb1ELb0ELb0ELb0EPKdS0_dEv17rocblas_diagonal_iiT6_lPT7_lllS5_lllPT8_llli,comdat
	.globl	_ZL30rocblas_trmm_outofplace_kernelIdLi32ELi2ELb1ELb0ELb0ELb0EPKdS0_dEv17rocblas_diagonal_iiT6_lPT7_lllS5_lllPT8_llli ; -- Begin function _ZL30rocblas_trmm_outofplace_kernelIdLi32ELi2ELb1ELb0ELb0ELb0EPKdS0_dEv17rocblas_diagonal_iiT6_lPT7_lllS5_lllPT8_llli
	.p2align	8
	.type	_ZL30rocblas_trmm_outofplace_kernelIdLi32ELi2ELb1ELb0ELb0ELb0EPKdS0_dEv17rocblas_diagonal_iiT6_lPT7_lllS5_lllPT8_llli,@function
_ZL30rocblas_trmm_outofplace_kernelIdLi32ELi2ELb1ELb0ELb0ELb0EPKdS0_dEv17rocblas_diagonal_iiT6_lPT7_lllS5_lllPT8_llli: ; @_ZL30rocblas_trmm_outofplace_kernelIdLi32ELi2ELb1ELb0ELb0ELb0EPKdS0_dEv17rocblas_diagonal_iiT6_lPT7_lllS5_lllPT8_llli
; %bb.0:
	s_load_dwordx16 s[12:27], s[4:5], 0x10
	s_waitcnt lgkmcnt(0)
	s_mul_i32 s0, s8, s15
	s_mul_hi_u32 s1, s8, s14
	s_add_i32 s1, s1, s0
	s_mul_i32 s0, s8, s14
	s_lshl_b64 s[0:1], s[0:1], 3
	s_add_u32 s0, s12, s0
	s_addc_u32 s1, s13, s1
	s_load_dwordx2 s[34:35], s[0:1], 0x0
	s_waitcnt lgkmcnt(0)
	v_cmp_eq_f64_e64 s[0:1], s[34:35], 0
	s_and_b64 vcc, exec, s[0:1]
	s_cbranch_vccnz .LBB36_63
; %bb.1:
	s_load_dwordx4 s[28:31], s[4:5], 0x0
	s_waitcnt lgkmcnt(0)
	s_add_i32 s0, s30, -1
	s_ashr_i32 s1, s0, 31
	s_lshr_b32 s1, s1, 27
	s_add_i32 s0, s0, s1
	s_ashr_i32 s31, s0, 5
	s_cmp_gt_i32 s7, s31
	s_cbranch_scc1 .LBB36_63
; %bb.2:
	s_mul_i32 s0, s8, s23
	s_mul_hi_u32 s1, s8, s22
	s_add_i32 s1, s1, s0
	s_mul_i32 s0, s8, s22
	s_load_dwordx4 s[44:47], s[4:5], 0x70
	s_load_dword s33, s[4:5], 0x8c
	s_lshl_b64 s[10:11], s[0:1], 3
	s_add_u32 s0, s16, s10
	s_load_dwordx8 s[36:43], s[4:5], 0x50
	s_addc_u32 s1, s17, s11
	s_lshl_b64 s[12:13], s[18:19], 3
	s_add_u32 s2, s0, s12
	s_addc_u32 s3, s1, s13
	s_waitcnt lgkmcnt(0)
	s_mul_i32 s0, s8, s47
	s_mul_hi_u32 s1, s8, s46
	s_add_i32 s1, s1, s0
	s_mul_i32 s0, s8, s46
	s_lshl_b64 s[0:1], s[0:1], 3
	s_add_u32 s4, s40, s0
	s_addc_u32 s5, s41, s1
	s_lshl_b64 s[0:1], s[42:43], 3
	v_bfe_u32 v8, v0, 10, 10
	s_add_u32 s50, s4, s0
	s_addc_u32 s51, s5, s1
	v_and_b32_e32 v12, 0x3ff, v0
	v_mad_u64_u32 v[0:1], s[0:1], v8, s20, 0
	v_mov_b32_e32 v2, v1
	v_mad_u64_u32 v[2:3], s[0:1], v8, s21, v[2:3]
	v_mov_b32_e32 v1, v2
	s_lshl_b32 s52, s6, 5
	v_lshlrev_b64 v[0:1], 3, v[0:1]
	v_mov_b32_e32 v2, s3
	v_add_co_u32_e32 v16, vcc, s2, v0
	s_cmp_gt_i32 s6, -1
	v_add_u32_e32 v14, s52, v12
	v_addc_co_u32_e32 v17, vcc, v2, v1, vcc
	s_cselect_b64 s[18:19], -1, 0
	s_cmpk_eq_i32 s28, 0x84
	v_ashrrev_i32_e32 v15, 31, v14
	s_cselect_b64 s[22:23], -1, 0
	s_ashr_i32 s41, s29, 31
	s_ashr_i32 s6, s30, 31
	s_lshl_b64 s[42:43], s[20:21], 8
	v_add_co_u32_e32 v18, vcc, 16, v14
	v_addc_co_u32_e32 v19, vcc, 0, v15, vcc
	s_add_u32 s46, s29, -16
	s_mul_i32 s9, s39, s8
	s_mul_hi_u32 s28, s38, s8
	s_addc_u32 s47, s41, -1
	v_sub_co_u32_e32 v22, vcc, v14, v8
	s_add_i32 s9, s28, s9
	s_mul_i32 s8, s38, s8
	v_subbrev_co_u32_e32 v23, vcc, 0, v15, vcc
	s_lshl_b64 s[8:9], s[8:9], 3
	s_lshl_b64 s[26:27], s[26:27], 3
	v_add_co_u32_e32 v24, vcc, 16, v22
	s_add_u32 s8, s8, s26
	v_addc_co_u32_e32 v25, vcc, 0, v23, vcc
	s_addc_u32 s9, s9, s27
	v_add_co_u32_e32 v26, vcc, -16, v22
	s_add_u32 s8, s24, s8
	v_lshlrev_b32_e32 v0, 8, v8
	v_lshlrev_b32_e32 v9, 3, v12
	v_addc_co_u32_e32 v27, vcc, -1, v23, vcc
	s_addc_u32 s9, s25, s9
	v_add_u32_e32 v13, v9, v0
	v_add_u32_e32 v52, 0x2000, v0
	v_mov_b32_e32 v0, s9
	v_add_co_u32_e32 v1, vcc, s8, v9
	v_addc_co_u32_e32 v0, vcc, 0, v0, vcc
	s_movk_i32 s8, 0x80
	s_lshl_b64 s[24:25], s[36:37], 3
	s_lshl_b32 s53, s33, 5
	v_add_co_u32_e32 v28, vcc, s8, v1
	s_add_u32 s8, s16, s12
	s_addc_u32 s9, s17, s13
	s_add_u32 s8, s8, s10
	v_addc_co_u32_e32 v29, vcc, 0, v0, vcc
	v_mov_b32_e32 v0, 0x80
	s_addc_u32 s9, s9, s11
	v_lshl_add_u32 v2, v8, 3, v0
	v_pk_mov_b32 v[0:1], s[8:9], s[8:9] op_sel:[0,1]
	v_mad_u64_u32 v[34:35], s[8:9], s20, v2, v[0:1]
	v_mov_b32_e32 v0, v35
	s_mov_b32 s40, s29
	v_add_u32_e32 v20, 16, v14
	v_mad_u64_u32 v[0:1], s[8:9], s21, v2, v[0:1]
	v_mov_b32_e32 v10, 0
	v_cmp_le_i32_e64 s[0:1], s29, v14
	v_cmp_le_i64_e64 s[2:3], s[40:41], v[18:19]
	v_add_u32_e32 v53, v52, v9
	v_cmp_gt_i32_e64 s[4:5], s29, v14
	v_cmp_gt_i32_e64 s[14:15], s29, v20
	v_ashrrev_i32_e32 v21, 31, v20
	v_lshl_add_u32 v30, s7, 5, v8
	v_lshlrev_b64 v[32:33], 3, v[14:15]
	v_mov_b32_e32 v35, v0
	v_mov_b32_e32 v11, 0x3ff00000
	s_movk_i32 s54, 0x100
	s_branch .LBB36_4
.LBB36_3:                               ;   in Loop: Header=BB36_4 Depth=1
	s_or_b64 exec, exec, s[8:9]
	s_add_i32 s7, s33, s7
	s_cmp_le_i32 s7, s31
	v_add_u32_e32 v30, s53, v30
	s_cbranch_scc0 .LBB36_63
.LBB36_4:                               ; =>This Loop Header: Depth=1
                                        ;     Child Loop BB36_7 Depth 2
	v_lshl_add_u32 v54, s7, 5, v8
	v_pk_mov_b32 v[42:43], 0, 0
	v_ashrrev_i32_e32 v55, 31, v54
	s_mov_b64 s[20:21], 0
	s_andn2_b64 vcc, exec, s[18:19]
	v_pk_mov_b32 v[40:41], v[42:43], v[42:43] op_sel:[0,1]
	v_pk_mov_b32 v[38:39], v[42:43], v[42:43] op_sel:[0,1]
	;; [unrolled: 1-line block ×3, first 2 shown]
	s_cbranch_vccnz .LBB36_55
; %bb.5:                                ;   in Loop: Header=BB36_4 Depth=1
	v_ashrrev_i32_e32 v31, 31, v30
	v_mad_u64_u32 v[44:45], s[8:9], s24, v30, v[28:29]
	v_mul_lo_u32 v0, s25, v30
	v_mul_lo_u32 v1, s24, v31
	v_add3_u32 v45, v0, v45, v1
	v_lshlrev_b64 v[0:1], 3, v[30:31]
	v_add_co_u32_e32 v0, vcc, 0x80, v0
	v_addc_co_u32_e32 v1, vcc, 0, v1, vcc
	v_mul_lo_u32 v1, s36, v1
	v_mul_lo_u32 v2, s37, v0
	v_mad_u64_u32 v[46:47], s[8:9], s36, v0, v[28:29]
	v_add3_u32 v47, v2, v47, v1
	v_mov_b32_e32 v1, s6
	v_sub_co_u32_e32 v0, vcc, s30, v54
	v_subb_co_u32_e32 v1, vcc, v1, v55, vcc
	v_pk_mov_b32 v[36:37], 0, 0
	v_cmp_lt_i64_e64 s[8:9], 0, v[0:1]
	v_cmp_lt_i64_e64 s[10:11], 16, v[0:1]
	v_pk_mov_b32 v[48:49], v[34:35], v[34:35] op_sel:[0,1]
	v_pk_mov_b32 v[50:51], v[16:17], v[16:17] op_sel:[0,1]
	;; [unrolled: 1-line block ×5, first 2 shown]
	s_branch .LBB36_7
.LBB36_6:                               ;   in Loop: Header=BB36_7 Depth=2
	s_or_b64 exec, exec, s[12:13]
	s_waitcnt lgkmcnt(0)
	s_barrier
	ds_read2_b64 v[56:59], v9 offset1:16
	ds_read_b128 v[60:63], v52
	ds_read_b128 v[64:67], v52 offset:16
	ds_read_b128 v[4:7], v52 offset:32
	ds_read_b128 v[0:3], v52 offset:48
	ds_read_b128 v[68:71], v52 offset:4096
	ds_read2_b64 v[72:75], v9 offset0:32 offset1:48
	s_waitcnt lgkmcnt(5)
	v_fmac_f64_e32 v[42:43], v[56:57], v[60:61]
	v_fmac_f64_e32 v[40:41], v[58:59], v[60:61]
	ds_read_b128 v[76:79], v52 offset:4112
	s_waitcnt lgkmcnt(2)
	v_fmac_f64_e32 v[38:39], v[56:57], v[68:69]
	v_fmac_f64_e32 v[36:37], v[58:59], v[68:69]
	ds_read2_b64 v[56:59], v9 offset0:64 offset1:80
	s_waitcnt lgkmcnt(2)
	v_fmac_f64_e32 v[42:43], v[72:73], v[62:63]
	v_fmac_f64_e32 v[40:41], v[74:75], v[62:63]
	ds_read2_b64 v[60:63], v9 offset0:96 offset1:112
	v_fmac_f64_e32 v[38:39], v[72:73], v[70:71]
	v_fmac_f64_e32 v[36:37], v[74:75], v[70:71]
	ds_read_b128 v[68:71], v52 offset:4144
	s_waitcnt lgkmcnt(2)
	v_fmac_f64_e32 v[42:43], v[56:57], v[64:65]
	v_fmac_f64_e32 v[40:41], v[58:59], v[64:65]
	;; [unrolled: 1-line block ×4, first 2 shown]
	s_waitcnt lgkmcnt(1)
	v_fmac_f64_e32 v[42:43], v[60:61], v[66:67]
	ds_read2_b64 v[56:59], v9 offset0:128 offset1:144
	v_fmac_f64_e32 v[40:41], v[62:63], v[66:67]
	v_fmac_f64_e32 v[38:39], v[60:61], v[78:79]
	;; [unrolled: 1-line block ×3, first 2 shown]
	ds_read_b128 v[60:63], v52 offset:4128
	ds_read2_b64 v[64:67], v9 offset0:160 offset1:176
	s_waitcnt lgkmcnt(2)
	v_fmac_f64_e32 v[42:43], v[56:57], v[4:5]
	v_fmac_f64_e32 v[40:41], v[58:59], v[4:5]
	v_add_u32_e32 v31, 0x800, v9
	s_waitcnt lgkmcnt(1)
	v_fmac_f64_e32 v[38:39], v[56:57], v[60:61]
	v_fmac_f64_e32 v[36:37], v[58:59], v[60:61]
	ds_read2_b64 v[56:59], v9 offset0:192 offset1:208
	s_waitcnt lgkmcnt(1)
	v_fmac_f64_e32 v[42:43], v[64:65], v[6:7]
	v_fmac_f64_e32 v[40:41], v[66:67], v[6:7]
	ds_read2_b64 v[4:7], v9 offset0:224 offset1:240
	v_fmac_f64_e32 v[38:39], v[64:65], v[62:63]
	v_fmac_f64_e32 v[36:37], v[66:67], v[62:63]
	s_waitcnt lgkmcnt(1)
	v_fmac_f64_e32 v[42:43], v[56:57], v[0:1]
	v_fmac_f64_e32 v[40:41], v[58:59], v[0:1]
	;; [unrolled: 1-line block ×4, first 2 shown]
	s_waitcnt lgkmcnt(0)
	v_fmac_f64_e32 v[42:43], v[4:5], v[2:3]
	v_fmac_f64_e32 v[40:41], v[6:7], v[2:3]
	ds_read2_b64 v[0:3], v31 offset1:16
	ds_read_b128 v[56:59], v52 offset:64
	v_fmac_f64_e32 v[38:39], v[4:5], v[70:71]
	v_fmac_f64_e32 v[36:37], v[6:7], v[70:71]
	ds_read_b128 v[4:7], v52 offset:80
	ds_read_b128 v[60:63], v52 offset:4160
	ds_read2_b64 v[64:67], v31 offset0:32 offset1:48
	s_waitcnt lgkmcnt(3)
	v_fmac_f64_e32 v[42:43], v[0:1], v[56:57]
	v_fmac_f64_e32 v[40:41], v[2:3], v[56:57]
	ds_read_b128 v[68:71], v52 offset:4176
	s_waitcnt lgkmcnt(2)
	v_fmac_f64_e32 v[38:39], v[0:1], v[60:61]
	v_fmac_f64_e32 v[36:37], v[2:3], v[60:61]
	ds_read2_b64 v[0:3], v31 offset0:64 offset1:80
	s_waitcnt lgkmcnt(2)
	v_fmac_f64_e32 v[42:43], v[64:65], v[58:59]
	v_fmac_f64_e32 v[40:41], v[66:67], v[58:59]
	ds_read2_b64 v[56:59], v31 offset0:96 offset1:112
	v_fmac_f64_e32 v[38:39], v[64:65], v[62:63]
	v_fmac_f64_e32 v[36:37], v[66:67], v[62:63]
	s_waitcnt lgkmcnt(1)
	v_fmac_f64_e32 v[42:43], v[0:1], v[4:5]
	v_fmac_f64_e32 v[40:41], v[2:3], v[4:5]
	;; [unrolled: 1-line block ×4, first 2 shown]
	s_waitcnt lgkmcnt(0)
	v_fmac_f64_e32 v[42:43], v[56:57], v[6:7]
	v_fmac_f64_e32 v[40:41], v[58:59], v[6:7]
	ds_read2_b64 v[0:3], v31 offset0:128 offset1:144
	ds_read_b128 v[4:7], v52 offset:96
	v_fmac_f64_e32 v[38:39], v[56:57], v[70:71]
	v_fmac_f64_e32 v[36:37], v[58:59], v[70:71]
	ds_read_b128 v[56:59], v52 offset:112
	ds_read_b128 v[60:63], v52 offset:4192
	ds_read2_b64 v[64:67], v31 offset0:160 offset1:176
	s_waitcnt lgkmcnt(3)
	v_fmac_f64_e32 v[42:43], v[0:1], v[4:5]
	v_fmac_f64_e32 v[40:41], v[2:3], v[4:5]
	ds_read_b128 v[68:71], v52 offset:4208
	s_waitcnt lgkmcnt(2)
	v_fmac_f64_e32 v[38:39], v[0:1], v[60:61]
	v_fmac_f64_e32 v[36:37], v[2:3], v[60:61]
	ds_read2_b64 v[0:3], v31 offset0:192 offset1:208
	s_waitcnt lgkmcnt(2)
	v_fmac_f64_e32 v[42:43], v[64:65], v[6:7]
	v_fmac_f64_e32 v[40:41], v[66:67], v[6:7]
	ds_read2_b64 v[4:7], v31 offset0:224 offset1:240
	v_fmac_f64_e32 v[38:39], v[64:65], v[62:63]
	v_fmac_f64_e32 v[36:37], v[66:67], v[62:63]
	s_waitcnt lgkmcnt(1)
	v_fmac_f64_e32 v[42:43], v[0:1], v[56:57]
	v_fmac_f64_e32 v[40:41], v[2:3], v[56:57]
	;; [unrolled: 1-line block ×4, first 2 shown]
	v_add_u32_e32 v31, 0x1000, v9
	s_waitcnt lgkmcnt(0)
	v_fmac_f64_e32 v[42:43], v[4:5], v[58:59]
	v_fmac_f64_e32 v[40:41], v[6:7], v[58:59]
	ds_read2_b64 v[0:3], v31 offset1:16
	ds_read_b128 v[56:59], v52 offset:128
	v_fmac_f64_e32 v[38:39], v[4:5], v[70:71]
	v_fmac_f64_e32 v[36:37], v[6:7], v[70:71]
	ds_read_b128 v[4:7], v52 offset:144
	ds_read_b128 v[60:63], v52 offset:4224
	ds_read2_b64 v[64:67], v31 offset0:32 offset1:48
	s_waitcnt lgkmcnt(3)
	v_fmac_f64_e32 v[42:43], v[0:1], v[56:57]
	v_fmac_f64_e32 v[40:41], v[2:3], v[56:57]
	ds_read_b128 v[68:71], v52 offset:4240
	s_waitcnt lgkmcnt(2)
	v_fmac_f64_e32 v[38:39], v[0:1], v[60:61]
	v_fmac_f64_e32 v[36:37], v[2:3], v[60:61]
	ds_read2_b64 v[0:3], v31 offset0:64 offset1:80
	s_waitcnt lgkmcnt(2)
	v_fmac_f64_e32 v[42:43], v[64:65], v[58:59]
	v_fmac_f64_e32 v[40:41], v[66:67], v[58:59]
	ds_read2_b64 v[56:59], v31 offset0:96 offset1:112
	v_fmac_f64_e32 v[38:39], v[64:65], v[62:63]
	v_fmac_f64_e32 v[36:37], v[66:67], v[62:63]
	s_waitcnt lgkmcnt(1)
	v_fmac_f64_e32 v[42:43], v[0:1], v[4:5]
	v_fmac_f64_e32 v[40:41], v[2:3], v[4:5]
	;; [unrolled: 1-line block ×4, first 2 shown]
	s_waitcnt lgkmcnt(0)
	v_fmac_f64_e32 v[42:43], v[56:57], v[6:7]
	v_fmac_f64_e32 v[40:41], v[58:59], v[6:7]
	ds_read2_b64 v[0:3], v31 offset0:128 offset1:144
	ds_read_b128 v[4:7], v52 offset:160
	v_fmac_f64_e32 v[38:39], v[56:57], v[70:71]
	v_fmac_f64_e32 v[36:37], v[58:59], v[70:71]
	ds_read_b128 v[56:59], v52 offset:176
	ds_read_b128 v[60:63], v52 offset:4256
	ds_read2_b64 v[64:67], v31 offset0:160 offset1:176
	s_waitcnt lgkmcnt(3)
	v_fmac_f64_e32 v[42:43], v[0:1], v[4:5]
	v_fmac_f64_e32 v[40:41], v[2:3], v[4:5]
	ds_read_b128 v[68:71], v52 offset:4272
	s_waitcnt lgkmcnt(2)
	v_fmac_f64_e32 v[38:39], v[0:1], v[60:61]
	v_fmac_f64_e32 v[36:37], v[2:3], v[60:61]
	ds_read2_b64 v[0:3], v31 offset0:192 offset1:208
	s_waitcnt lgkmcnt(2)
	v_fmac_f64_e32 v[42:43], v[64:65], v[6:7]
	v_fmac_f64_e32 v[40:41], v[66:67], v[6:7]
	ds_read2_b64 v[4:7], v31 offset0:224 offset1:240
	v_fmac_f64_e32 v[38:39], v[64:65], v[62:63]
	v_fmac_f64_e32 v[36:37], v[66:67], v[62:63]
	s_waitcnt lgkmcnt(1)
	v_fmac_f64_e32 v[42:43], v[0:1], v[56:57]
	v_fmac_f64_e32 v[40:41], v[2:3], v[56:57]
	;; [unrolled: 1-line block ×4, first 2 shown]
	v_add_u32_e32 v31, 0x1800, v9
	s_waitcnt lgkmcnt(0)
	v_fmac_f64_e32 v[42:43], v[4:5], v[58:59]
	v_fmac_f64_e32 v[40:41], v[6:7], v[58:59]
	ds_read2_b64 v[0:3], v31 offset1:16
	ds_read_b128 v[56:59], v52 offset:192
	v_fmac_f64_e32 v[38:39], v[4:5], v[70:71]
	v_fmac_f64_e32 v[36:37], v[6:7], v[70:71]
	ds_read_b128 v[4:7], v52 offset:208
	ds_read_b128 v[60:63], v52 offset:4288
	ds_read2_b64 v[64:67], v31 offset0:32 offset1:48
	s_waitcnt lgkmcnt(3)
	v_fmac_f64_e32 v[42:43], v[0:1], v[56:57]
	v_fmac_f64_e32 v[40:41], v[2:3], v[56:57]
	ds_read_b128 v[68:71], v52 offset:4304
	s_waitcnt lgkmcnt(2)
	v_fmac_f64_e32 v[38:39], v[0:1], v[60:61]
	v_fmac_f64_e32 v[36:37], v[2:3], v[60:61]
	ds_read2_b64 v[0:3], v31 offset0:64 offset1:80
	s_waitcnt lgkmcnt(2)
	v_fmac_f64_e32 v[42:43], v[64:65], v[58:59]
	v_fmac_f64_e32 v[40:41], v[66:67], v[58:59]
	ds_read2_b64 v[56:59], v31 offset0:96 offset1:112
	v_fmac_f64_e32 v[38:39], v[64:65], v[62:63]
	v_fmac_f64_e32 v[36:37], v[66:67], v[62:63]
	s_waitcnt lgkmcnt(1)
	v_fmac_f64_e32 v[42:43], v[0:1], v[4:5]
	v_fmac_f64_e32 v[40:41], v[2:3], v[4:5]
	;; [unrolled: 1-line block ×4, first 2 shown]
	s_waitcnt lgkmcnt(0)
	v_fmac_f64_e32 v[42:43], v[56:57], v[6:7]
	v_fmac_f64_e32 v[40:41], v[58:59], v[6:7]
	ds_read2_b64 v[0:3], v31 offset0:128 offset1:144
	ds_read_b128 v[4:7], v52 offset:224
	v_fmac_f64_e32 v[38:39], v[56:57], v[70:71]
	v_fmac_f64_e32 v[36:37], v[58:59], v[70:71]
	ds_read_b128 v[56:59], v52 offset:240
	ds_read_b128 v[60:63], v52 offset:4320
	ds_read2_b64 v[64:67], v31 offset0:160 offset1:176
	s_waitcnt lgkmcnt(3)
	v_fmac_f64_e32 v[42:43], v[0:1], v[4:5]
	v_fmac_f64_e32 v[40:41], v[2:3], v[4:5]
	ds_read_b128 v[68:71], v52 offset:4336
	s_waitcnt lgkmcnt(2)
	v_fmac_f64_e32 v[38:39], v[0:1], v[60:61]
	v_fmac_f64_e32 v[36:37], v[2:3], v[60:61]
	ds_read2_b64 v[0:3], v31 offset0:192 offset1:208
	v_add_co_u32_e32 v44, vcc, s54, v44
	s_waitcnt lgkmcnt(2)
	v_fmac_f64_e32 v[42:43], v[64:65], v[6:7]
	v_fmac_f64_e32 v[38:39], v[64:65], v[62:63]
	v_addc_co_u32_e32 v45, vcc, 0, v45, vcc
	v_fmac_f64_e32 v[40:41], v[66:67], v[6:7]
	ds_read2_b64 v[4:7], v31 offset0:224 offset1:240
	s_waitcnt lgkmcnt(1)
	v_fmac_f64_e32 v[42:43], v[0:1], v[56:57]
	v_fmac_f64_e32 v[38:39], v[0:1], v[68:69]
	v_mov_b32_e32 v0, s43
	v_add_co_u32_e32 v50, vcc, s42, v50
	v_addc_co_u32_e32 v51, vcc, v51, v0, vcc
	v_add_co_u32_e32 v48, vcc, s42, v48
	v_fmac_f64_e32 v[36:37], v[66:67], v[62:63]
	s_add_u32 s20, s20, 32
	v_addc_co_u32_e32 v49, vcc, v49, v0, vcc
	v_fmac_f64_e32 v[40:41], v[2:3], v[56:57]
	v_fmac_f64_e32 v[36:37], v[2:3], v[68:69]
	s_addc_u32 s21, s21, 0
	s_sub_i32 s12, s20, 32
	v_add_co_u32_e32 v46, vcc, 0x100, v46
	s_waitcnt lgkmcnt(0)
	v_fmac_f64_e32 v[42:43], v[4:5], v[58:59]
	v_fmac_f64_e32 v[40:41], v[6:7], v[58:59]
	;; [unrolled: 1-line block ×4, first 2 shown]
	s_cmp_ge_i32 s12, s52
	v_addc_co_u32_e32 v47, vcc, 0, v47, vcc
	s_barrier
	s_cbranch_scc1 .LBB36_55
.LBB36_7:                               ;   Parent Loop BB36_4 Depth=1
                                        ; =>  This Inner Loop Header: Depth=2
	v_mov_b32_e32 v1, s21
	v_add_co_u32_e32 v0, vcc, s20, v8
	v_addc_co_u32_e32 v1, vcc, 0, v1, vcc
	v_add_co_u32_e32 v2, vcc, v50, v32
	v_addc_co_u32_e32 v3, vcc, v51, v33, vcc
	v_cmp_eq_u64_e32 vcc, s[20:21], v[22:23]
	v_cmp_le_i64_e64 s[12:13], s[40:41], v[0:1]
	s_and_b64 s[28:29], s[22:23], vcc
	v_cmp_gt_i64_e32 vcc, v[0:1], v[14:15]
	s_or_b64 s[16:17], s[12:13], vcc
	s_or_b64 s[16:17], s[16:17], s[28:29]
	s_or_b64 s[16:17], s[0:1], s[16:17]
	s_xor_b64 s[16:17], s[16:17], -1
	s_and_saveexec_b64 s[26:27], s[16:17]
	s_xor_b64 s[16:17], exec, s[26:27]
	s_cbranch_execz .LBB36_9
; %bb.8:                                ;   in Loop: Header=BB36_7 Depth=2
	global_load_dwordx2 v[4:5], v[2:3], off
	s_waitcnt vmcnt(0)
	ds_write_b64 v13, v[4:5]
.LBB36_9:                               ;   in Loop: Header=BB36_7 Depth=2
	s_or_saveexec_b64 s[16:17], s[16:17]
	s_xor_b64 s[26:27], s[28:29], -1
	s_xor_b64 exec, exec, s[16:17]
	s_cbranch_execz .LBB36_15
; %bb.10:                               ;   in Loop: Header=BB36_7 Depth=2
	s_and_saveexec_b64 s[38:39], s[26:27]
	s_xor_b64 s[38:39], exec, s[38:39]
	s_cbranch_execz .LBB36_12
; %bb.11:                               ;   in Loop: Header=BB36_7 Depth=2
	v_mov_b32_e32 v4, v10
	v_mov_b32_e32 v5, v10
	ds_write_b64 v13, v[4:5]
.LBB36_12:                              ;   in Loop: Header=BB36_7 Depth=2
	s_andn2_saveexec_b64 s[38:39], s[38:39]
	s_cbranch_execz .LBB36_14
; %bb.13:                               ;   in Loop: Header=BB36_7 Depth=2
	ds_write_b64 v13, v[10:11]
.LBB36_14:                              ;   in Loop: Header=BB36_7 Depth=2
	s_or_b64 exec, exec, s[38:39]
.LBB36_15:                              ;   in Loop: Header=BB36_7 Depth=2
	s_or_b64 exec, exec, s[16:17]
	v_cmp_eq_u64_e64 s[16:17], s[20:21], v[24:25]
	s_and_b64 s[38:39], s[22:23], s[16:17]
	v_cmp_lt_i64_e64 s[16:17], v[18:19], v[0:1]
	s_or_b64 s[12:13], s[12:13], s[16:17]
	s_or_b64 s[12:13], s[12:13], s[38:39]
	;; [unrolled: 1-line block ×3, first 2 shown]
	s_xor_b64 s[12:13], s[12:13], -1
	s_and_saveexec_b64 s[16:17], s[12:13]
	s_xor_b64 s[12:13], exec, s[16:17]
	s_cbranch_execz .LBB36_17
; %bb.16:                               ;   in Loop: Header=BB36_7 Depth=2
	global_load_dwordx2 v[2:3], v[2:3], off offset:128
	s_waitcnt vmcnt(0)
	ds_write_b64 v13, v[2:3] offset:128
.LBB36_17:                              ;   in Loop: Header=BB36_7 Depth=2
	s_andn2_saveexec_b64 s[12:13], s[12:13]
	s_cbranch_execz .LBB36_23
; %bb.18:                               ;   in Loop: Header=BB36_7 Depth=2
	s_xor_b64 s[16:17], s[38:39], -1
	s_and_saveexec_b64 s[38:39], s[16:17]
	s_xor_b64 s[16:17], exec, s[38:39]
	s_cbranch_execz .LBB36_20
; %bb.19:                               ;   in Loop: Header=BB36_7 Depth=2
	v_mov_b32_e32 v2, v10
	v_mov_b32_e32 v3, v10
	ds_write_b64 v13, v[2:3] offset:128
.LBB36_20:                              ;   in Loop: Header=BB36_7 Depth=2
	s_andn2_saveexec_b64 s[16:17], s[16:17]
	s_cbranch_execz .LBB36_22
; %bb.21:                               ;   in Loop: Header=BB36_7 Depth=2
	ds_write_b64 v13, v[10:11] offset:128
.LBB36_22:                              ;   in Loop: Header=BB36_7 Depth=2
	s_or_b64 exec, exec, s[16:17]
.LBB36_23:                              ;   in Loop: Header=BB36_7 Depth=2
	s_or_b64 exec, exec, s[12:13]
	v_add_co_u32_e64 v0, s[12:13], 16, v0
	v_addc_co_u32_e64 v1, s[12:13], 0, v1, s[12:13]
	v_cmp_eq_u64_e64 s[16:17], s[20:21], v[26:27]
	v_cmp_le_i64_e64 s[12:13], s[40:41], v[0:1]
	s_and_b64 s[38:39], s[22:23], s[16:17]
	v_cmp_gt_i64_e64 s[16:17], v[0:1], v[14:15]
	s_or_b64 s[16:17], s[12:13], s[16:17]
	s_or_b64 s[16:17], s[16:17], s[38:39]
	;; [unrolled: 1-line block ×3, first 2 shown]
	s_xor_b64 s[16:17], s[16:17], -1
	s_and_saveexec_b64 s[48:49], s[16:17]
	s_xor_b64 s[48:49], exec, s[48:49]
	s_cbranch_execz .LBB36_25
; %bb.24:                               ;   in Loop: Header=BB36_7 Depth=2
	v_add_co_u32_e64 v0, s[16:17], v48, v32
	v_addc_co_u32_e64 v1, s[16:17], v49, v33, s[16:17]
	global_load_dwordx2 v[0:1], v[0:1], off
	s_waitcnt vmcnt(0)
	ds_write_b64 v13, v[0:1] offset:4096
.LBB36_25:                              ;   in Loop: Header=BB36_7 Depth=2
	s_andn2_saveexec_b64 s[16:17], s[48:49]
	s_cbranch_execz .LBB36_31
; %bb.26:                               ;   in Loop: Header=BB36_7 Depth=2
	s_xor_b64 s[38:39], s[38:39], -1
	s_and_saveexec_b64 s[48:49], s[38:39]
	s_xor_b64 s[38:39], exec, s[48:49]
	s_cbranch_execz .LBB36_28
; %bb.27:                               ;   in Loop: Header=BB36_7 Depth=2
	v_mov_b32_e32 v0, v10
	v_mov_b32_e32 v1, v10
	ds_write_b64 v13, v[0:1] offset:4096
.LBB36_28:                              ;   in Loop: Header=BB36_7 Depth=2
	s_andn2_saveexec_b64 s[38:39], s[38:39]
	s_cbranch_execz .LBB36_30
; %bb.29:                               ;   in Loop: Header=BB36_7 Depth=2
	ds_write_b64 v13, v[10:11] offset:4096
.LBB36_30:                              ;   in Loop: Header=BB36_7 Depth=2
	s_or_b64 exec, exec, s[38:39]
.LBB36_31:                              ;   in Loop: Header=BB36_7 Depth=2
	s_or_b64 exec, exec, s[16:17]
	s_or_b64 s[12:13], s[12:13], vcc
	s_or_b64 s[12:13], s[12:13], s[28:29]
	s_or_b64 s[12:13], s[2:3], s[12:13]
	s_xor_b64 s[12:13], s[12:13], -1
	s_and_saveexec_b64 s[16:17], s[12:13]
	s_xor_b64 s[12:13], exec, s[16:17]
	s_cbranch_execz .LBB36_33
; %bb.32:                               ;   in Loop: Header=BB36_7 Depth=2
	v_add_co_u32_e32 v0, vcc, v48, v32
	v_addc_co_u32_e32 v1, vcc, v49, v33, vcc
	global_load_dwordx2 v[0:1], v[0:1], off offset:128
	s_waitcnt vmcnt(0)
	ds_write_b64 v13, v[0:1] offset:4224
.LBB36_33:                              ;   in Loop: Header=BB36_7 Depth=2
	s_andn2_saveexec_b64 s[12:13], s[12:13]
	s_cbranch_execz .LBB36_39
; %bb.34:                               ;   in Loop: Header=BB36_7 Depth=2
	s_and_saveexec_b64 s[16:17], s[26:27]
	s_xor_b64 s[16:17], exec, s[16:17]
	s_cbranch_execz .LBB36_36
; %bb.35:                               ;   in Loop: Header=BB36_7 Depth=2
	v_mov_b32_e32 v0, v10
	v_mov_b32_e32 v1, v10
	ds_write_b64 v13, v[0:1] offset:4224
.LBB36_36:                              ;   in Loop: Header=BB36_7 Depth=2
	s_andn2_saveexec_b64 s[16:17], s[16:17]
	s_cbranch_execz .LBB36_38
; %bb.37:                               ;   in Loop: Header=BB36_7 Depth=2
	ds_write_b64 v13, v[10:11] offset:4224
.LBB36_38:                              ;   in Loop: Header=BB36_7 Depth=2
	s_or_b64 exec, exec, s[16:17]
.LBB36_39:                              ;   in Loop: Header=BB36_7 Depth=2
	s_or_b64 exec, exec, s[12:13]
	v_mov_b32_e32 v1, s21
	v_add_co_u32_e32 v0, vcc, s20, v12
	v_addc_co_u32_e32 v1, vcc, 0, v1, vcc
	v_cmp_gt_i64_e32 vcc, s[40:41], v[0:1]
	s_and_b64 s[12:13], s[8:9], vcc
	s_xor_b64 s[12:13], s[12:13], -1
	s_and_saveexec_b64 s[16:17], s[12:13]
	s_xor_b64 s[12:13], exec, s[16:17]
	s_cbranch_execz .LBB36_41
; %bb.40:                               ;   in Loop: Header=BB36_7 Depth=2
	v_mov_b32_e32 v2, v10
	v_mov_b32_e32 v3, v10
	ds_write_b64 v53, v[2:3]
.LBB36_41:                              ;   in Loop: Header=BB36_7 Depth=2
	s_andn2_saveexec_b64 s[12:13], s[12:13]
	s_cbranch_execz .LBB36_43
; %bb.42:                               ;   in Loop: Header=BB36_7 Depth=2
	global_load_dwordx2 v[2:3], v[44:45], off offset:-128
	s_waitcnt vmcnt(0)
	ds_write_b64 v53, v[2:3]
.LBB36_43:                              ;   in Loop: Header=BB36_7 Depth=2
	s_or_b64 exec, exec, s[12:13]
	v_cmp_gt_i64_e64 s[12:13], s[46:47], v[0:1]
	s_and_b64 s[16:17], s[8:9], s[12:13]
	s_xor_b64 s[16:17], s[16:17], -1
	s_and_saveexec_b64 s[26:27], s[16:17]
	s_xor_b64 s[16:17], exec, s[26:27]
	s_cbranch_execz .LBB36_45
; %bb.44:                               ;   in Loop: Header=BB36_7 Depth=2
	v_mov_b32_e32 v0, v10
	v_mov_b32_e32 v1, v10
	ds_write_b64 v53, v[0:1] offset:128
.LBB36_45:                              ;   in Loop: Header=BB36_7 Depth=2
	s_andn2_saveexec_b64 s[16:17], s[16:17]
	s_cbranch_execz .LBB36_47
; %bb.46:                               ;   in Loop: Header=BB36_7 Depth=2
	global_load_dwordx2 v[0:1], v[44:45], off
	s_waitcnt vmcnt(0)
	ds_write_b64 v53, v[0:1] offset:128
.LBB36_47:                              ;   in Loop: Header=BB36_7 Depth=2
	s_or_b64 exec, exec, s[16:17]
	s_and_b64 s[16:17], s[10:11], vcc
	s_xor_b64 s[16:17], s[16:17], -1
	s_and_saveexec_b64 s[26:27], s[16:17]
	s_xor_b64 s[16:17], exec, s[26:27]
	s_cbranch_execz .LBB36_49
; %bb.48:                               ;   in Loop: Header=BB36_7 Depth=2
	v_mov_b32_e32 v0, v10
	v_mov_b32_e32 v1, v10
	ds_write_b64 v53, v[0:1] offset:4096
.LBB36_49:                              ;   in Loop: Header=BB36_7 Depth=2
	s_andn2_saveexec_b64 s[16:17], s[16:17]
	s_cbranch_execz .LBB36_51
; %bb.50:                               ;   in Loop: Header=BB36_7 Depth=2
	global_load_dwordx2 v[0:1], v[46:47], off offset:-128
	s_waitcnt vmcnt(0)
	ds_write_b64 v53, v[0:1] offset:4096
.LBB36_51:                              ;   in Loop: Header=BB36_7 Depth=2
	s_or_b64 exec, exec, s[16:17]
	s_and_b64 s[12:13], s[10:11], s[12:13]
	s_xor_b64 s[12:13], s[12:13], -1
	s_and_saveexec_b64 s[16:17], s[12:13]
	s_xor_b64 s[12:13], exec, s[16:17]
	s_cbranch_execz .LBB36_53
; %bb.52:                               ;   in Loop: Header=BB36_7 Depth=2
	v_mov_b32_e32 v0, v10
	v_mov_b32_e32 v1, v10
	ds_write_b64 v53, v[0:1] offset:4224
.LBB36_53:                              ;   in Loop: Header=BB36_7 Depth=2
	s_andn2_saveexec_b64 s[12:13], s[12:13]
	s_cbranch_execz .LBB36_6
; %bb.54:                               ;   in Loop: Header=BB36_7 Depth=2
	global_load_dwordx2 v[0:1], v[46:47], off
	s_waitcnt vmcnt(0)
	ds_write_b64 v53, v[0:1] offset:4224
	s_branch .LBB36_6
.LBB36_55:                              ;   in Loop: Header=BB36_4 Depth=1
	v_mul_lo_u32 v2, v55, s44
	v_mul_lo_u32 v3, v54, s45
	v_mad_u64_u32 v[0:1], s[8:9], v54, s44, 0
	v_add3_u32 v1, v1, v3, v2
	v_lshlrev_b64 v[0:1], 3, v[0:1]
	v_mov_b32_e32 v2, s51
	v_add_co_u32_e64 v0, s[8:9], s50, v0
	v_cmp_gt_i32_e32 vcc, s30, v54
	v_addc_co_u32_e64 v1, s[8:9], v2, v1, s[8:9]
	s_and_b64 s[8:9], s[4:5], vcc
	s_and_saveexec_b64 s[10:11], s[8:9]
	s_cbranch_execz .LBB36_57
; %bb.56:                               ;   in Loop: Header=BB36_4 Depth=1
	v_add_co_u32_e64 v2, s[8:9], v0, v32
	v_addc_co_u32_e64 v3, s[8:9], v1, v33, s[8:9]
	global_load_dwordx2 v[4:5], v[2:3], off
	s_waitcnt vmcnt(0)
	v_fmac_f64_e32 v[4:5], s[34:35], v[42:43]
	global_store_dwordx2 v[2:3], v[4:5], off
.LBB36_57:                              ;   in Loop: Header=BB36_4 Depth=1
	s_or_b64 exec, exec, s[10:11]
	s_and_b64 s[10:11], s[14:15], vcc
	s_and_saveexec_b64 s[8:9], s[10:11]
	s_cbranch_execz .LBB36_59
; %bb.58:                               ;   in Loop: Header=BB36_4 Depth=1
	v_lshlrev_b64 v[2:3], 3, v[20:21]
	v_add_co_u32_e32 v0, vcc, v0, v2
	v_addc_co_u32_e32 v1, vcc, v1, v3, vcc
	global_load_dwordx2 v[2:3], v[0:1], off
	s_waitcnt vmcnt(0)
	v_fmac_f64_e32 v[2:3], s[34:35], v[40:41]
	global_store_dwordx2 v[0:1], v[2:3], off
.LBB36_59:                              ;   in Loop: Header=BB36_4 Depth=1
	s_or_b64 exec, exec, s[8:9]
	v_add_u32_e32 v0, 16, v54
	v_ashrrev_i32_e32 v1, 31, v0
	v_cmp_gt_i32_e32 vcc, s30, v0
	v_mul_lo_u32 v2, v1, s44
	v_mul_lo_u32 v3, v0, s45
	v_mad_u64_u32 v[0:1], s[8:9], v0, s44, 0
	v_add3_u32 v1, v1, v3, v2
	v_lshlrev_b64 v[0:1], 3, v[0:1]
	v_mov_b32_e32 v2, s51
	v_add_co_u32_e64 v0, s[8:9], s50, v0
	v_addc_co_u32_e64 v1, s[8:9], v2, v1, s[8:9]
	s_and_b64 s[8:9], s[4:5], vcc
	s_and_saveexec_b64 s[10:11], s[8:9]
	s_cbranch_execz .LBB36_61
; %bb.60:                               ;   in Loop: Header=BB36_4 Depth=1
	v_add_co_u32_e64 v2, s[8:9], v0, v32
	v_addc_co_u32_e64 v3, s[8:9], v1, v33, s[8:9]
	global_load_dwordx2 v[4:5], v[2:3], off
	s_waitcnt vmcnt(0)
	v_fmac_f64_e32 v[4:5], s[34:35], v[38:39]
	global_store_dwordx2 v[2:3], v[4:5], off
.LBB36_61:                              ;   in Loop: Header=BB36_4 Depth=1
	s_or_b64 exec, exec, s[10:11]
	s_and_b64 s[10:11], s[14:15], vcc
	s_and_saveexec_b64 s[8:9], s[10:11]
	s_cbranch_execz .LBB36_3
; %bb.62:                               ;   in Loop: Header=BB36_4 Depth=1
	v_lshlrev_b64 v[2:3], 3, v[20:21]
	v_add_co_u32_e32 v0, vcc, v0, v2
	v_addc_co_u32_e32 v1, vcc, v1, v3, vcc
	global_load_dwordx2 v[2:3], v[0:1], off
	s_waitcnt vmcnt(0)
	v_fmac_f64_e32 v[2:3], s[34:35], v[36:37]
	global_store_dwordx2 v[0:1], v[2:3], off
	s_branch .LBB36_3
.LBB36_63:
	s_endpgm
	.section	.rodata,"a",@progbits
	.p2align	6, 0x0
	.amdhsa_kernel _ZL30rocblas_trmm_outofplace_kernelIdLi32ELi2ELb1ELb0ELb0ELb0EPKdS0_dEv17rocblas_diagonal_iiT6_lPT7_lllS5_lllPT8_llli
		.amdhsa_group_segment_fixed_size 16384
		.amdhsa_private_segment_fixed_size 0
		.amdhsa_kernarg_size 392
		.amdhsa_user_sgpr_count 6
		.amdhsa_user_sgpr_private_segment_buffer 1
		.amdhsa_user_sgpr_dispatch_ptr 0
		.amdhsa_user_sgpr_queue_ptr 0
		.amdhsa_user_sgpr_kernarg_segment_ptr 1
		.amdhsa_user_sgpr_dispatch_id 0
		.amdhsa_user_sgpr_flat_scratch_init 0
		.amdhsa_user_sgpr_kernarg_preload_length 0
		.amdhsa_user_sgpr_kernarg_preload_offset 0
		.amdhsa_user_sgpr_private_segment_size 0
		.amdhsa_uses_dynamic_stack 0
		.amdhsa_system_sgpr_private_segment_wavefront_offset 0
		.amdhsa_system_sgpr_workgroup_id_x 1
		.amdhsa_system_sgpr_workgroup_id_y 1
		.amdhsa_system_sgpr_workgroup_id_z 1
		.amdhsa_system_sgpr_workgroup_info 0
		.amdhsa_system_vgpr_workitem_id 1
		.amdhsa_next_free_vgpr 80
		.amdhsa_next_free_sgpr 55
		.amdhsa_accum_offset 80
		.amdhsa_reserve_vcc 1
		.amdhsa_reserve_flat_scratch 0
		.amdhsa_float_round_mode_32 0
		.amdhsa_float_round_mode_16_64 0
		.amdhsa_float_denorm_mode_32 3
		.amdhsa_float_denorm_mode_16_64 3
		.amdhsa_dx10_clamp 1
		.amdhsa_ieee_mode 1
		.amdhsa_fp16_overflow 0
		.amdhsa_tg_split 0
		.amdhsa_exception_fp_ieee_invalid_op 0
		.amdhsa_exception_fp_denorm_src 0
		.amdhsa_exception_fp_ieee_div_zero 0
		.amdhsa_exception_fp_ieee_overflow 0
		.amdhsa_exception_fp_ieee_underflow 0
		.amdhsa_exception_fp_ieee_inexact 0
		.amdhsa_exception_int_div_zero 0
	.end_amdhsa_kernel
	.section	.text._ZL30rocblas_trmm_outofplace_kernelIdLi32ELi2ELb1ELb0ELb0ELb0EPKdS0_dEv17rocblas_diagonal_iiT6_lPT7_lllS5_lllPT8_llli,"axG",@progbits,_ZL30rocblas_trmm_outofplace_kernelIdLi32ELi2ELb1ELb0ELb0ELb0EPKdS0_dEv17rocblas_diagonal_iiT6_lPT7_lllS5_lllPT8_llli,comdat
.Lfunc_end36:
	.size	_ZL30rocblas_trmm_outofplace_kernelIdLi32ELi2ELb1ELb0ELb0ELb0EPKdS0_dEv17rocblas_diagonal_iiT6_lPT7_lllS5_lllPT8_llli, .Lfunc_end36-_ZL30rocblas_trmm_outofplace_kernelIdLi32ELi2ELb1ELb0ELb0ELb0EPKdS0_dEv17rocblas_diagonal_iiT6_lPT7_lllS5_lllPT8_llli
                                        ; -- End function
	.section	.AMDGPU.csdata,"",@progbits
; Kernel info:
; codeLenInByte = 3360
; NumSgprs: 59
; NumVgprs: 80
; NumAgprs: 0
; TotalNumVgprs: 80
; ScratchSize: 0
; MemoryBound: 1
; FloatMode: 240
; IeeeMode: 1
; LDSByteSize: 16384 bytes/workgroup (compile time only)
; SGPRBlocks: 7
; VGPRBlocks: 9
; NumSGPRsForWavesPerEU: 59
; NumVGPRsForWavesPerEU: 80
; AccumOffset: 80
; Occupancy: 6
; WaveLimiterHint : 0
; COMPUTE_PGM_RSRC2:SCRATCH_EN: 0
; COMPUTE_PGM_RSRC2:USER_SGPR: 6
; COMPUTE_PGM_RSRC2:TRAP_HANDLER: 0
; COMPUTE_PGM_RSRC2:TGID_X_EN: 1
; COMPUTE_PGM_RSRC2:TGID_Y_EN: 1
; COMPUTE_PGM_RSRC2:TGID_Z_EN: 1
; COMPUTE_PGM_RSRC2:TIDIG_COMP_CNT: 1
; COMPUTE_PGM_RSRC3_GFX90A:ACCUM_OFFSET: 19
; COMPUTE_PGM_RSRC3_GFX90A:TG_SPLIT: 0
	.section	.text._ZL30rocblas_trmm_outofplace_kernelIdLi32ELi2ELb1ELb0ELb0ELb0EdKddEv17rocblas_diagonal_iiT6_lPT7_lllS4_lllPT8_llli,"axG",@progbits,_ZL30rocblas_trmm_outofplace_kernelIdLi32ELi2ELb1ELb0ELb0ELb0EdKddEv17rocblas_diagonal_iiT6_lPT7_lllS4_lllPT8_llli,comdat
	.globl	_ZL30rocblas_trmm_outofplace_kernelIdLi32ELi2ELb1ELb0ELb0ELb0EdKddEv17rocblas_diagonal_iiT6_lPT7_lllS4_lllPT8_llli ; -- Begin function _ZL30rocblas_trmm_outofplace_kernelIdLi32ELi2ELb1ELb0ELb0ELb0EdKddEv17rocblas_diagonal_iiT6_lPT7_lllS4_lllPT8_llli
	.p2align	8
	.type	_ZL30rocblas_trmm_outofplace_kernelIdLi32ELi2ELb1ELb0ELb0ELb0EdKddEv17rocblas_diagonal_iiT6_lPT7_lllS4_lllPT8_llli,@function
_ZL30rocblas_trmm_outofplace_kernelIdLi32ELi2ELb1ELb0ELb0ELb0EdKddEv17rocblas_diagonal_iiT6_lPT7_lllS4_lllPT8_llli: ; @_ZL30rocblas_trmm_outofplace_kernelIdLi32ELi2ELb1ELb0ELb0ELb0EdKddEv17rocblas_diagonal_iiT6_lPT7_lllS4_lllPT8_llli
; %bb.0:
	s_load_dwordx2 s[34:35], s[4:5], 0x10
	s_waitcnt lgkmcnt(0)
	v_cmp_eq_f64_e64 s[0:1], s[34:35], 0
	s_and_b64 vcc, exec, s[0:1]
	s_cbranch_vccnz .LBB37_63
; %bb.1:
	s_load_dwordx4 s[28:31], s[4:5], 0x0
	s_waitcnt lgkmcnt(0)
	s_add_i32 s0, s30, -1
	s_ashr_i32 s1, s0, 31
	s_lshr_b32 s1, s1, 27
	s_add_i32 s0, s0, s1
	s_ashr_i32 s31, s0, 5
	s_cmp_gt_i32 s7, s31
	s_cbranch_scc1 .LBB37_63
; %bb.2:
	s_load_dwordx16 s[12:27], s[4:5], 0x20
	s_load_dwordx8 s[36:43], s[4:5], 0x60
	v_bfe_u32 v8, v0, 10, 10
	v_and_b32_e32 v12, 0x3ff, v0
	s_load_dword s52, s[4:5], 0x8c
	s_waitcnt lgkmcnt(0)
	s_mul_i32 s1, s8, s19
	s_mul_hi_u32 s2, s8, s18
	s_mul_i32 s0, s8, s18
	s_add_i32 s1, s2, s1
	s_lshl_b64 s[10:11], s[0:1], 3
	s_add_u32 s0, s12, s10
	s_addc_u32 s1, s13, s11
	s_lshl_b64 s[46:47], s[14:15], 3
	s_add_u32 s2, s0, s46
	s_addc_u32 s3, s1, s47
	s_mul_i32 s0, s8, s43
	s_mul_hi_u32 s1, s8, s42
	s_add_i32 s1, s1, s0
	s_mul_i32 s0, s8, s42
	s_lshl_b64 s[0:1], s[0:1], 3
	s_add_u32 s9, s36, s0
	s_addc_u32 s14, s37, s1
	s_lshl_b64 s[0:1], s[38:39], 3
	s_add_u32 s33, s9, s0
	s_addc_u32 s50, s14, s1
	v_mad_u64_u32 v[0:1], s[0:1], v8, s16, 0
	v_mov_b32_e32 v2, v1
	v_mad_u64_u32 v[2:3], s[0:1], v8, s17, v[2:3]
	v_mov_b32_e32 v1, v2
	s_lshl_b32 s51, s6, 5
	v_lshlrev_b64 v[0:1], 3, v[0:1]
	v_mov_b32_e32 v2, s3
	v_add_co_u32_e32 v16, vcc, s2, v0
	s_cmp_gt_i32 s6, -1
	v_add_u32_e32 v14, s51, v12
	v_addc_co_u32_e32 v17, vcc, v2, v1, vcc
	s_cselect_b64 s[18:19], -1, 0
	s_cmpk_eq_i32 s28, 0x84
	v_ashrrev_i32_e32 v15, 31, v14
	s_cselect_b64 s[36:37], -1, 0
	s_ashr_i32 s39, s29, 31
	s_ashr_i32 s6, s30, 31
	s_lshl_b64 s[42:43], s[16:17], 8
	v_add_co_u32_e32 v18, vcc, 16, v14
	v_addc_co_u32_e32 v19, vcc, 0, v15, vcc
	s_add_u32 s44, s29, -16
	s_mul_i32 s9, s27, s8
	s_mul_hi_u32 s27, s26, s8
	s_addc_u32 s45, s39, -1
	v_sub_co_u32_e32 v22, vcc, v14, v8
	s_add_i32 s9, s27, s9
	s_mul_i32 s8, s26, s8
	v_subbrev_co_u32_e32 v23, vcc, 0, v15, vcc
	s_lshl_b64 s[8:9], s[8:9], 3
	s_lshl_b64 s[22:23], s[22:23], 3
	v_add_co_u32_e32 v24, vcc, 16, v22
	s_add_u32 s8, s8, s22
	v_addc_co_u32_e32 v25, vcc, 0, v23, vcc
	s_addc_u32 s9, s9, s23
	v_add_co_u32_e32 v26, vcc, -16, v22
	s_add_u32 s8, s20, s8
	v_lshlrev_b32_e32 v0, 8, v8
	v_lshlrev_b32_e32 v9, 3, v12
	v_addc_co_u32_e32 v27, vcc, -1, v23, vcc
	s_addc_u32 s9, s21, s9
	v_add_u32_e32 v13, v9, v0
	v_add_u32_e32 v52, 0x2000, v0
	v_mov_b32_e32 v0, s9
	v_add_co_u32_e32 v1, vcc, s8, v9
	v_addc_co_u32_e32 v0, vcc, 0, v0, vcc
	s_movk_i32 s8, 0x80
	s_lshl_b64 s[20:21], s[24:25], 3
	s_lshl_b32 s53, s52, 5
	v_add_co_u32_e32 v28, vcc, s8, v1
	s_add_u32 s8, s12, s46
	s_addc_u32 s9, s13, s47
	s_add_u32 s8, s8, s10
	v_addc_co_u32_e32 v29, vcc, 0, v0, vcc
	v_mov_b32_e32 v0, 0x80
	s_addc_u32 s9, s9, s11
	v_lshl_add_u32 v2, v8, 3, v0
	v_pk_mov_b32 v[0:1], s[8:9], s[8:9] op_sel:[0,1]
	v_mad_u64_u32 v[34:35], s[8:9], s16, v2, v[0:1]
	v_mov_b32_e32 v0, v35
	s_mov_b32 s38, s29
	v_add_u32_e32 v20, 16, v14
	v_mad_u64_u32 v[0:1], s[8:9], s17, v2, v[0:1]
	v_mov_b32_e32 v10, 0
	v_cmp_le_i32_e64 s[0:1], s29, v14
	v_cmp_le_i64_e64 s[2:3], s[38:39], v[18:19]
	v_add_u32_e32 v53, v52, v9
	v_cmp_gt_i32_e64 s[4:5], s29, v14
	v_cmp_gt_i32_e64 s[14:15], s29, v20
	v_ashrrev_i32_e32 v21, 31, v20
	v_lshl_add_u32 v30, s7, 5, v8
	v_lshlrev_b64 v[32:33], 3, v[14:15]
	v_mov_b32_e32 v35, v0
	v_mov_b32_e32 v11, 0x3ff00000
	s_movk_i32 s54, 0x100
	s_branch .LBB37_4
.LBB37_3:                               ;   in Loop: Header=BB37_4 Depth=1
	s_or_b64 exec, exec, s[8:9]
	s_add_i32 s7, s52, s7
	s_cmp_le_i32 s7, s31
	v_add_u32_e32 v30, s53, v30
	s_cbranch_scc0 .LBB37_63
.LBB37_4:                               ; =>This Loop Header: Depth=1
                                        ;     Child Loop BB37_7 Depth 2
	v_lshl_add_u32 v54, s7, 5, v8
	v_pk_mov_b32 v[42:43], 0, 0
	v_ashrrev_i32_e32 v55, 31, v54
	s_mov_b64 s[22:23], 0
	s_andn2_b64 vcc, exec, s[18:19]
	v_pk_mov_b32 v[40:41], v[42:43], v[42:43] op_sel:[0,1]
	v_pk_mov_b32 v[38:39], v[42:43], v[42:43] op_sel:[0,1]
	;; [unrolled: 1-line block ×3, first 2 shown]
	s_cbranch_vccnz .LBB37_55
; %bb.5:                                ;   in Loop: Header=BB37_4 Depth=1
	v_ashrrev_i32_e32 v31, 31, v30
	v_mad_u64_u32 v[44:45], s[8:9], s20, v30, v[28:29]
	v_mul_lo_u32 v0, s21, v30
	v_mul_lo_u32 v1, s20, v31
	v_add3_u32 v45, v0, v45, v1
	v_lshlrev_b64 v[0:1], 3, v[30:31]
	v_add_co_u32_e32 v0, vcc, 0x80, v0
	v_addc_co_u32_e32 v1, vcc, 0, v1, vcc
	v_mul_lo_u32 v1, s24, v1
	v_mul_lo_u32 v2, s25, v0
	v_mad_u64_u32 v[46:47], s[8:9], s24, v0, v[28:29]
	v_add3_u32 v47, v2, v47, v1
	v_mov_b32_e32 v1, s6
	v_sub_co_u32_e32 v0, vcc, s30, v54
	v_subb_co_u32_e32 v1, vcc, v1, v55, vcc
	v_pk_mov_b32 v[36:37], 0, 0
	v_cmp_lt_i64_e64 s[8:9], 0, v[0:1]
	v_cmp_lt_i64_e64 s[10:11], 16, v[0:1]
	v_pk_mov_b32 v[48:49], v[34:35], v[34:35] op_sel:[0,1]
	v_pk_mov_b32 v[50:51], v[16:17], v[16:17] op_sel:[0,1]
	;; [unrolled: 1-line block ×5, first 2 shown]
	s_branch .LBB37_7
.LBB37_6:                               ;   in Loop: Header=BB37_7 Depth=2
	s_or_b64 exec, exec, s[12:13]
	s_waitcnt lgkmcnt(0)
	s_barrier
	ds_read2_b64 v[56:59], v9 offset1:16
	ds_read_b128 v[60:63], v52
	ds_read_b128 v[64:67], v52 offset:16
	ds_read_b128 v[4:7], v52 offset:32
	;; [unrolled: 1-line block ×4, first 2 shown]
	ds_read2_b64 v[72:75], v9 offset0:32 offset1:48
	s_waitcnt lgkmcnt(5)
	v_fmac_f64_e32 v[42:43], v[56:57], v[60:61]
	v_fmac_f64_e32 v[40:41], v[58:59], v[60:61]
	ds_read_b128 v[76:79], v52 offset:4112
	s_waitcnt lgkmcnt(2)
	v_fmac_f64_e32 v[38:39], v[56:57], v[68:69]
	v_fmac_f64_e32 v[36:37], v[58:59], v[68:69]
	ds_read2_b64 v[56:59], v9 offset0:64 offset1:80
	s_waitcnt lgkmcnt(2)
	v_fmac_f64_e32 v[42:43], v[72:73], v[62:63]
	v_fmac_f64_e32 v[40:41], v[74:75], v[62:63]
	ds_read2_b64 v[60:63], v9 offset0:96 offset1:112
	v_fmac_f64_e32 v[38:39], v[72:73], v[70:71]
	v_fmac_f64_e32 v[36:37], v[74:75], v[70:71]
	ds_read_b128 v[68:71], v52 offset:4144
	s_waitcnt lgkmcnt(2)
	v_fmac_f64_e32 v[42:43], v[56:57], v[64:65]
	v_fmac_f64_e32 v[40:41], v[58:59], v[64:65]
	;; [unrolled: 1-line block ×4, first 2 shown]
	s_waitcnt lgkmcnt(1)
	v_fmac_f64_e32 v[42:43], v[60:61], v[66:67]
	ds_read2_b64 v[56:59], v9 offset0:128 offset1:144
	v_fmac_f64_e32 v[40:41], v[62:63], v[66:67]
	v_fmac_f64_e32 v[38:39], v[60:61], v[78:79]
	;; [unrolled: 1-line block ×3, first 2 shown]
	ds_read_b128 v[60:63], v52 offset:4128
	ds_read2_b64 v[64:67], v9 offset0:160 offset1:176
	s_waitcnt lgkmcnt(2)
	v_fmac_f64_e32 v[42:43], v[56:57], v[4:5]
	v_fmac_f64_e32 v[40:41], v[58:59], v[4:5]
	v_add_u32_e32 v31, 0x800, v9
	s_waitcnt lgkmcnt(1)
	v_fmac_f64_e32 v[38:39], v[56:57], v[60:61]
	v_fmac_f64_e32 v[36:37], v[58:59], v[60:61]
	ds_read2_b64 v[56:59], v9 offset0:192 offset1:208
	s_waitcnt lgkmcnt(1)
	v_fmac_f64_e32 v[42:43], v[64:65], v[6:7]
	v_fmac_f64_e32 v[40:41], v[66:67], v[6:7]
	ds_read2_b64 v[4:7], v9 offset0:224 offset1:240
	v_fmac_f64_e32 v[38:39], v[64:65], v[62:63]
	v_fmac_f64_e32 v[36:37], v[66:67], v[62:63]
	s_waitcnt lgkmcnt(1)
	v_fmac_f64_e32 v[42:43], v[56:57], v[0:1]
	v_fmac_f64_e32 v[40:41], v[58:59], v[0:1]
	;; [unrolled: 1-line block ×4, first 2 shown]
	s_waitcnt lgkmcnt(0)
	v_fmac_f64_e32 v[42:43], v[4:5], v[2:3]
	v_fmac_f64_e32 v[40:41], v[6:7], v[2:3]
	ds_read2_b64 v[0:3], v31 offset1:16
	ds_read_b128 v[56:59], v52 offset:64
	v_fmac_f64_e32 v[38:39], v[4:5], v[70:71]
	v_fmac_f64_e32 v[36:37], v[6:7], v[70:71]
	ds_read_b128 v[4:7], v52 offset:80
	ds_read_b128 v[60:63], v52 offset:4160
	ds_read2_b64 v[64:67], v31 offset0:32 offset1:48
	s_waitcnt lgkmcnt(3)
	v_fmac_f64_e32 v[42:43], v[0:1], v[56:57]
	v_fmac_f64_e32 v[40:41], v[2:3], v[56:57]
	ds_read_b128 v[68:71], v52 offset:4176
	s_waitcnt lgkmcnt(2)
	v_fmac_f64_e32 v[38:39], v[0:1], v[60:61]
	v_fmac_f64_e32 v[36:37], v[2:3], v[60:61]
	ds_read2_b64 v[0:3], v31 offset0:64 offset1:80
	s_waitcnt lgkmcnt(2)
	v_fmac_f64_e32 v[42:43], v[64:65], v[58:59]
	v_fmac_f64_e32 v[40:41], v[66:67], v[58:59]
	ds_read2_b64 v[56:59], v31 offset0:96 offset1:112
	v_fmac_f64_e32 v[38:39], v[64:65], v[62:63]
	v_fmac_f64_e32 v[36:37], v[66:67], v[62:63]
	s_waitcnt lgkmcnt(1)
	v_fmac_f64_e32 v[42:43], v[0:1], v[4:5]
	v_fmac_f64_e32 v[40:41], v[2:3], v[4:5]
	;; [unrolled: 1-line block ×4, first 2 shown]
	s_waitcnt lgkmcnt(0)
	v_fmac_f64_e32 v[42:43], v[56:57], v[6:7]
	v_fmac_f64_e32 v[40:41], v[58:59], v[6:7]
	ds_read2_b64 v[0:3], v31 offset0:128 offset1:144
	ds_read_b128 v[4:7], v52 offset:96
	v_fmac_f64_e32 v[38:39], v[56:57], v[70:71]
	v_fmac_f64_e32 v[36:37], v[58:59], v[70:71]
	ds_read_b128 v[56:59], v52 offset:112
	ds_read_b128 v[60:63], v52 offset:4192
	ds_read2_b64 v[64:67], v31 offset0:160 offset1:176
	s_waitcnt lgkmcnt(3)
	v_fmac_f64_e32 v[42:43], v[0:1], v[4:5]
	v_fmac_f64_e32 v[40:41], v[2:3], v[4:5]
	ds_read_b128 v[68:71], v52 offset:4208
	s_waitcnt lgkmcnt(2)
	v_fmac_f64_e32 v[38:39], v[0:1], v[60:61]
	v_fmac_f64_e32 v[36:37], v[2:3], v[60:61]
	ds_read2_b64 v[0:3], v31 offset0:192 offset1:208
	s_waitcnt lgkmcnt(2)
	v_fmac_f64_e32 v[42:43], v[64:65], v[6:7]
	v_fmac_f64_e32 v[40:41], v[66:67], v[6:7]
	ds_read2_b64 v[4:7], v31 offset0:224 offset1:240
	v_fmac_f64_e32 v[38:39], v[64:65], v[62:63]
	v_fmac_f64_e32 v[36:37], v[66:67], v[62:63]
	s_waitcnt lgkmcnt(1)
	v_fmac_f64_e32 v[42:43], v[0:1], v[56:57]
	v_fmac_f64_e32 v[40:41], v[2:3], v[56:57]
	;; [unrolled: 1-line block ×4, first 2 shown]
	v_add_u32_e32 v31, 0x1000, v9
	s_waitcnt lgkmcnt(0)
	v_fmac_f64_e32 v[42:43], v[4:5], v[58:59]
	v_fmac_f64_e32 v[40:41], v[6:7], v[58:59]
	ds_read2_b64 v[0:3], v31 offset1:16
	ds_read_b128 v[56:59], v52 offset:128
	v_fmac_f64_e32 v[38:39], v[4:5], v[70:71]
	v_fmac_f64_e32 v[36:37], v[6:7], v[70:71]
	ds_read_b128 v[4:7], v52 offset:144
	ds_read_b128 v[60:63], v52 offset:4224
	ds_read2_b64 v[64:67], v31 offset0:32 offset1:48
	s_waitcnt lgkmcnt(3)
	v_fmac_f64_e32 v[42:43], v[0:1], v[56:57]
	v_fmac_f64_e32 v[40:41], v[2:3], v[56:57]
	ds_read_b128 v[68:71], v52 offset:4240
	s_waitcnt lgkmcnt(2)
	v_fmac_f64_e32 v[38:39], v[0:1], v[60:61]
	v_fmac_f64_e32 v[36:37], v[2:3], v[60:61]
	ds_read2_b64 v[0:3], v31 offset0:64 offset1:80
	s_waitcnt lgkmcnt(2)
	v_fmac_f64_e32 v[42:43], v[64:65], v[58:59]
	v_fmac_f64_e32 v[40:41], v[66:67], v[58:59]
	ds_read2_b64 v[56:59], v31 offset0:96 offset1:112
	v_fmac_f64_e32 v[38:39], v[64:65], v[62:63]
	v_fmac_f64_e32 v[36:37], v[66:67], v[62:63]
	s_waitcnt lgkmcnt(1)
	v_fmac_f64_e32 v[42:43], v[0:1], v[4:5]
	v_fmac_f64_e32 v[40:41], v[2:3], v[4:5]
	;; [unrolled: 1-line block ×4, first 2 shown]
	s_waitcnt lgkmcnt(0)
	v_fmac_f64_e32 v[42:43], v[56:57], v[6:7]
	v_fmac_f64_e32 v[40:41], v[58:59], v[6:7]
	ds_read2_b64 v[0:3], v31 offset0:128 offset1:144
	ds_read_b128 v[4:7], v52 offset:160
	v_fmac_f64_e32 v[38:39], v[56:57], v[70:71]
	v_fmac_f64_e32 v[36:37], v[58:59], v[70:71]
	ds_read_b128 v[56:59], v52 offset:176
	ds_read_b128 v[60:63], v52 offset:4256
	ds_read2_b64 v[64:67], v31 offset0:160 offset1:176
	s_waitcnt lgkmcnt(3)
	v_fmac_f64_e32 v[42:43], v[0:1], v[4:5]
	v_fmac_f64_e32 v[40:41], v[2:3], v[4:5]
	ds_read_b128 v[68:71], v52 offset:4272
	s_waitcnt lgkmcnt(2)
	v_fmac_f64_e32 v[38:39], v[0:1], v[60:61]
	v_fmac_f64_e32 v[36:37], v[2:3], v[60:61]
	ds_read2_b64 v[0:3], v31 offset0:192 offset1:208
	s_waitcnt lgkmcnt(2)
	v_fmac_f64_e32 v[42:43], v[64:65], v[6:7]
	v_fmac_f64_e32 v[40:41], v[66:67], v[6:7]
	ds_read2_b64 v[4:7], v31 offset0:224 offset1:240
	v_fmac_f64_e32 v[38:39], v[64:65], v[62:63]
	v_fmac_f64_e32 v[36:37], v[66:67], v[62:63]
	s_waitcnt lgkmcnt(1)
	v_fmac_f64_e32 v[42:43], v[0:1], v[56:57]
	v_fmac_f64_e32 v[40:41], v[2:3], v[56:57]
	;; [unrolled: 1-line block ×4, first 2 shown]
	v_add_u32_e32 v31, 0x1800, v9
	s_waitcnt lgkmcnt(0)
	v_fmac_f64_e32 v[42:43], v[4:5], v[58:59]
	v_fmac_f64_e32 v[40:41], v[6:7], v[58:59]
	ds_read2_b64 v[0:3], v31 offset1:16
	ds_read_b128 v[56:59], v52 offset:192
	v_fmac_f64_e32 v[38:39], v[4:5], v[70:71]
	v_fmac_f64_e32 v[36:37], v[6:7], v[70:71]
	ds_read_b128 v[4:7], v52 offset:208
	ds_read_b128 v[60:63], v52 offset:4288
	ds_read2_b64 v[64:67], v31 offset0:32 offset1:48
	s_waitcnt lgkmcnt(3)
	v_fmac_f64_e32 v[42:43], v[0:1], v[56:57]
	v_fmac_f64_e32 v[40:41], v[2:3], v[56:57]
	ds_read_b128 v[68:71], v52 offset:4304
	s_waitcnt lgkmcnt(2)
	v_fmac_f64_e32 v[38:39], v[0:1], v[60:61]
	v_fmac_f64_e32 v[36:37], v[2:3], v[60:61]
	ds_read2_b64 v[0:3], v31 offset0:64 offset1:80
	s_waitcnt lgkmcnt(2)
	v_fmac_f64_e32 v[42:43], v[64:65], v[58:59]
	v_fmac_f64_e32 v[40:41], v[66:67], v[58:59]
	ds_read2_b64 v[56:59], v31 offset0:96 offset1:112
	v_fmac_f64_e32 v[38:39], v[64:65], v[62:63]
	v_fmac_f64_e32 v[36:37], v[66:67], v[62:63]
	s_waitcnt lgkmcnt(1)
	v_fmac_f64_e32 v[42:43], v[0:1], v[4:5]
	v_fmac_f64_e32 v[40:41], v[2:3], v[4:5]
	;; [unrolled: 1-line block ×4, first 2 shown]
	s_waitcnt lgkmcnt(0)
	v_fmac_f64_e32 v[42:43], v[56:57], v[6:7]
	v_fmac_f64_e32 v[40:41], v[58:59], v[6:7]
	ds_read2_b64 v[0:3], v31 offset0:128 offset1:144
	ds_read_b128 v[4:7], v52 offset:224
	v_fmac_f64_e32 v[38:39], v[56:57], v[70:71]
	v_fmac_f64_e32 v[36:37], v[58:59], v[70:71]
	ds_read_b128 v[56:59], v52 offset:240
	ds_read_b128 v[60:63], v52 offset:4320
	ds_read2_b64 v[64:67], v31 offset0:160 offset1:176
	s_waitcnt lgkmcnt(3)
	v_fmac_f64_e32 v[42:43], v[0:1], v[4:5]
	v_fmac_f64_e32 v[40:41], v[2:3], v[4:5]
	ds_read_b128 v[68:71], v52 offset:4336
	s_waitcnt lgkmcnt(2)
	v_fmac_f64_e32 v[38:39], v[0:1], v[60:61]
	v_fmac_f64_e32 v[36:37], v[2:3], v[60:61]
	ds_read2_b64 v[0:3], v31 offset0:192 offset1:208
	v_add_co_u32_e32 v44, vcc, s54, v44
	s_waitcnt lgkmcnt(2)
	v_fmac_f64_e32 v[42:43], v[64:65], v[6:7]
	v_fmac_f64_e32 v[38:39], v[64:65], v[62:63]
	v_addc_co_u32_e32 v45, vcc, 0, v45, vcc
	v_fmac_f64_e32 v[40:41], v[66:67], v[6:7]
	ds_read2_b64 v[4:7], v31 offset0:224 offset1:240
	s_waitcnt lgkmcnt(1)
	v_fmac_f64_e32 v[42:43], v[0:1], v[56:57]
	v_fmac_f64_e32 v[38:39], v[0:1], v[68:69]
	v_mov_b32_e32 v0, s43
	v_add_co_u32_e32 v50, vcc, s42, v50
	v_addc_co_u32_e32 v51, vcc, v51, v0, vcc
	v_add_co_u32_e32 v48, vcc, s42, v48
	v_fmac_f64_e32 v[36:37], v[66:67], v[62:63]
	s_add_u32 s22, s22, 32
	v_addc_co_u32_e32 v49, vcc, v49, v0, vcc
	v_fmac_f64_e32 v[40:41], v[2:3], v[56:57]
	v_fmac_f64_e32 v[36:37], v[2:3], v[68:69]
	s_addc_u32 s23, s23, 0
	s_sub_i32 s12, s22, 32
	v_add_co_u32_e32 v46, vcc, 0x100, v46
	s_waitcnt lgkmcnt(0)
	v_fmac_f64_e32 v[42:43], v[4:5], v[58:59]
	v_fmac_f64_e32 v[40:41], v[6:7], v[58:59]
	;; [unrolled: 1-line block ×4, first 2 shown]
	s_cmp_ge_i32 s12, s51
	v_addc_co_u32_e32 v47, vcc, 0, v47, vcc
	s_barrier
	s_cbranch_scc1 .LBB37_55
.LBB37_7:                               ;   Parent Loop BB37_4 Depth=1
                                        ; =>  This Inner Loop Header: Depth=2
	v_mov_b32_e32 v1, s23
	v_add_co_u32_e32 v0, vcc, s22, v8
	v_addc_co_u32_e32 v1, vcc, 0, v1, vcc
	v_add_co_u32_e32 v2, vcc, v50, v32
	v_addc_co_u32_e32 v3, vcc, v51, v33, vcc
	v_cmp_eq_u64_e32 vcc, s[22:23], v[22:23]
	v_cmp_le_i64_e64 s[12:13], s[38:39], v[0:1]
	s_and_b64 s[28:29], s[36:37], vcc
	v_cmp_gt_i64_e32 vcc, v[0:1], v[14:15]
	s_or_b64 s[16:17], s[12:13], vcc
	s_or_b64 s[16:17], s[16:17], s[28:29]
	s_or_b64 s[16:17], s[0:1], s[16:17]
	s_xor_b64 s[16:17], s[16:17], -1
	s_and_saveexec_b64 s[26:27], s[16:17]
	s_xor_b64 s[16:17], exec, s[26:27]
	s_cbranch_execz .LBB37_9
; %bb.8:                                ;   in Loop: Header=BB37_7 Depth=2
	global_load_dwordx2 v[4:5], v[2:3], off
	s_waitcnt vmcnt(0)
	ds_write_b64 v13, v[4:5]
.LBB37_9:                               ;   in Loop: Header=BB37_7 Depth=2
	s_or_saveexec_b64 s[16:17], s[16:17]
	s_xor_b64 s[26:27], s[28:29], -1
	s_xor_b64 exec, exec, s[16:17]
	s_cbranch_execz .LBB37_15
; %bb.10:                               ;   in Loop: Header=BB37_7 Depth=2
	s_and_saveexec_b64 s[46:47], s[26:27]
	s_xor_b64 s[46:47], exec, s[46:47]
	s_cbranch_execz .LBB37_12
; %bb.11:                               ;   in Loop: Header=BB37_7 Depth=2
	v_mov_b32_e32 v4, v10
	v_mov_b32_e32 v5, v10
	ds_write_b64 v13, v[4:5]
.LBB37_12:                              ;   in Loop: Header=BB37_7 Depth=2
	s_andn2_saveexec_b64 s[46:47], s[46:47]
	s_cbranch_execz .LBB37_14
; %bb.13:                               ;   in Loop: Header=BB37_7 Depth=2
	ds_write_b64 v13, v[10:11]
.LBB37_14:                              ;   in Loop: Header=BB37_7 Depth=2
	s_or_b64 exec, exec, s[46:47]
.LBB37_15:                              ;   in Loop: Header=BB37_7 Depth=2
	s_or_b64 exec, exec, s[16:17]
	v_cmp_eq_u64_e64 s[16:17], s[22:23], v[24:25]
	s_and_b64 s[46:47], s[36:37], s[16:17]
	v_cmp_lt_i64_e64 s[16:17], v[18:19], v[0:1]
	s_or_b64 s[12:13], s[12:13], s[16:17]
	s_or_b64 s[12:13], s[12:13], s[46:47]
	;; [unrolled: 1-line block ×3, first 2 shown]
	s_xor_b64 s[12:13], s[12:13], -1
	s_and_saveexec_b64 s[16:17], s[12:13]
	s_xor_b64 s[12:13], exec, s[16:17]
	s_cbranch_execz .LBB37_17
; %bb.16:                               ;   in Loop: Header=BB37_7 Depth=2
	global_load_dwordx2 v[2:3], v[2:3], off offset:128
	s_waitcnt vmcnt(0)
	ds_write_b64 v13, v[2:3] offset:128
.LBB37_17:                              ;   in Loop: Header=BB37_7 Depth=2
	s_andn2_saveexec_b64 s[12:13], s[12:13]
	s_cbranch_execz .LBB37_23
; %bb.18:                               ;   in Loop: Header=BB37_7 Depth=2
	s_xor_b64 s[16:17], s[46:47], -1
	s_and_saveexec_b64 s[46:47], s[16:17]
	s_xor_b64 s[16:17], exec, s[46:47]
	s_cbranch_execz .LBB37_20
; %bb.19:                               ;   in Loop: Header=BB37_7 Depth=2
	v_mov_b32_e32 v2, v10
	v_mov_b32_e32 v3, v10
	ds_write_b64 v13, v[2:3] offset:128
.LBB37_20:                              ;   in Loop: Header=BB37_7 Depth=2
	s_andn2_saveexec_b64 s[16:17], s[16:17]
	s_cbranch_execz .LBB37_22
; %bb.21:                               ;   in Loop: Header=BB37_7 Depth=2
	ds_write_b64 v13, v[10:11] offset:128
.LBB37_22:                              ;   in Loop: Header=BB37_7 Depth=2
	s_or_b64 exec, exec, s[16:17]
.LBB37_23:                              ;   in Loop: Header=BB37_7 Depth=2
	s_or_b64 exec, exec, s[12:13]
	v_add_co_u32_e64 v0, s[12:13], 16, v0
	v_addc_co_u32_e64 v1, s[12:13], 0, v1, s[12:13]
	v_cmp_eq_u64_e64 s[16:17], s[22:23], v[26:27]
	v_cmp_le_i64_e64 s[12:13], s[38:39], v[0:1]
	s_and_b64 s[46:47], s[36:37], s[16:17]
	v_cmp_gt_i64_e64 s[16:17], v[0:1], v[14:15]
	s_or_b64 s[16:17], s[12:13], s[16:17]
	s_or_b64 s[16:17], s[16:17], s[46:47]
	;; [unrolled: 1-line block ×3, first 2 shown]
	s_xor_b64 s[16:17], s[16:17], -1
	s_and_saveexec_b64 s[48:49], s[16:17]
	s_xor_b64 s[48:49], exec, s[48:49]
	s_cbranch_execz .LBB37_25
; %bb.24:                               ;   in Loop: Header=BB37_7 Depth=2
	v_add_co_u32_e64 v0, s[16:17], v48, v32
	v_addc_co_u32_e64 v1, s[16:17], v49, v33, s[16:17]
	global_load_dwordx2 v[0:1], v[0:1], off
	s_waitcnt vmcnt(0)
	ds_write_b64 v13, v[0:1] offset:4096
.LBB37_25:                              ;   in Loop: Header=BB37_7 Depth=2
	s_andn2_saveexec_b64 s[16:17], s[48:49]
	s_cbranch_execz .LBB37_31
; %bb.26:                               ;   in Loop: Header=BB37_7 Depth=2
	s_xor_b64 s[46:47], s[46:47], -1
	s_and_saveexec_b64 s[48:49], s[46:47]
	s_xor_b64 s[46:47], exec, s[48:49]
	s_cbranch_execz .LBB37_28
; %bb.27:                               ;   in Loop: Header=BB37_7 Depth=2
	v_mov_b32_e32 v0, v10
	v_mov_b32_e32 v1, v10
	ds_write_b64 v13, v[0:1] offset:4096
.LBB37_28:                              ;   in Loop: Header=BB37_7 Depth=2
	s_andn2_saveexec_b64 s[46:47], s[46:47]
	s_cbranch_execz .LBB37_30
; %bb.29:                               ;   in Loop: Header=BB37_7 Depth=2
	ds_write_b64 v13, v[10:11] offset:4096
.LBB37_30:                              ;   in Loop: Header=BB37_7 Depth=2
	s_or_b64 exec, exec, s[46:47]
.LBB37_31:                              ;   in Loop: Header=BB37_7 Depth=2
	s_or_b64 exec, exec, s[16:17]
	s_or_b64 s[12:13], s[12:13], vcc
	s_or_b64 s[12:13], s[12:13], s[28:29]
	s_or_b64 s[12:13], s[2:3], s[12:13]
	s_xor_b64 s[12:13], s[12:13], -1
	s_and_saveexec_b64 s[16:17], s[12:13]
	s_xor_b64 s[12:13], exec, s[16:17]
	s_cbranch_execz .LBB37_33
; %bb.32:                               ;   in Loop: Header=BB37_7 Depth=2
	v_add_co_u32_e32 v0, vcc, v48, v32
	v_addc_co_u32_e32 v1, vcc, v49, v33, vcc
	global_load_dwordx2 v[0:1], v[0:1], off offset:128
	s_waitcnt vmcnt(0)
	ds_write_b64 v13, v[0:1] offset:4224
.LBB37_33:                              ;   in Loop: Header=BB37_7 Depth=2
	s_andn2_saveexec_b64 s[12:13], s[12:13]
	s_cbranch_execz .LBB37_39
; %bb.34:                               ;   in Loop: Header=BB37_7 Depth=2
	s_and_saveexec_b64 s[16:17], s[26:27]
	s_xor_b64 s[16:17], exec, s[16:17]
	s_cbranch_execz .LBB37_36
; %bb.35:                               ;   in Loop: Header=BB37_7 Depth=2
	v_mov_b32_e32 v0, v10
	v_mov_b32_e32 v1, v10
	ds_write_b64 v13, v[0:1] offset:4224
.LBB37_36:                              ;   in Loop: Header=BB37_7 Depth=2
	s_andn2_saveexec_b64 s[16:17], s[16:17]
	s_cbranch_execz .LBB37_38
; %bb.37:                               ;   in Loop: Header=BB37_7 Depth=2
	ds_write_b64 v13, v[10:11] offset:4224
.LBB37_38:                              ;   in Loop: Header=BB37_7 Depth=2
	s_or_b64 exec, exec, s[16:17]
.LBB37_39:                              ;   in Loop: Header=BB37_7 Depth=2
	s_or_b64 exec, exec, s[12:13]
	v_mov_b32_e32 v1, s23
	v_add_co_u32_e32 v0, vcc, s22, v12
	v_addc_co_u32_e32 v1, vcc, 0, v1, vcc
	v_cmp_gt_i64_e32 vcc, s[38:39], v[0:1]
	s_and_b64 s[12:13], s[8:9], vcc
	s_xor_b64 s[12:13], s[12:13], -1
	s_and_saveexec_b64 s[16:17], s[12:13]
	s_xor_b64 s[12:13], exec, s[16:17]
	s_cbranch_execz .LBB37_41
; %bb.40:                               ;   in Loop: Header=BB37_7 Depth=2
	v_mov_b32_e32 v2, v10
	v_mov_b32_e32 v3, v10
	ds_write_b64 v53, v[2:3]
.LBB37_41:                              ;   in Loop: Header=BB37_7 Depth=2
	s_andn2_saveexec_b64 s[12:13], s[12:13]
	s_cbranch_execz .LBB37_43
; %bb.42:                               ;   in Loop: Header=BB37_7 Depth=2
	global_load_dwordx2 v[2:3], v[44:45], off offset:-128
	s_waitcnt vmcnt(0)
	ds_write_b64 v53, v[2:3]
.LBB37_43:                              ;   in Loop: Header=BB37_7 Depth=2
	s_or_b64 exec, exec, s[12:13]
	v_cmp_gt_i64_e64 s[12:13], s[44:45], v[0:1]
	s_and_b64 s[16:17], s[8:9], s[12:13]
	s_xor_b64 s[16:17], s[16:17], -1
	s_and_saveexec_b64 s[26:27], s[16:17]
	s_xor_b64 s[16:17], exec, s[26:27]
	s_cbranch_execz .LBB37_45
; %bb.44:                               ;   in Loop: Header=BB37_7 Depth=2
	v_mov_b32_e32 v0, v10
	v_mov_b32_e32 v1, v10
	ds_write_b64 v53, v[0:1] offset:128
.LBB37_45:                              ;   in Loop: Header=BB37_7 Depth=2
	s_andn2_saveexec_b64 s[16:17], s[16:17]
	s_cbranch_execz .LBB37_47
; %bb.46:                               ;   in Loop: Header=BB37_7 Depth=2
	global_load_dwordx2 v[0:1], v[44:45], off
	s_waitcnt vmcnt(0)
	ds_write_b64 v53, v[0:1] offset:128
.LBB37_47:                              ;   in Loop: Header=BB37_7 Depth=2
	s_or_b64 exec, exec, s[16:17]
	s_and_b64 s[16:17], s[10:11], vcc
	s_xor_b64 s[16:17], s[16:17], -1
	s_and_saveexec_b64 s[26:27], s[16:17]
	s_xor_b64 s[16:17], exec, s[26:27]
	s_cbranch_execz .LBB37_49
; %bb.48:                               ;   in Loop: Header=BB37_7 Depth=2
	v_mov_b32_e32 v0, v10
	v_mov_b32_e32 v1, v10
	ds_write_b64 v53, v[0:1] offset:4096
.LBB37_49:                              ;   in Loop: Header=BB37_7 Depth=2
	s_andn2_saveexec_b64 s[16:17], s[16:17]
	s_cbranch_execz .LBB37_51
; %bb.50:                               ;   in Loop: Header=BB37_7 Depth=2
	global_load_dwordx2 v[0:1], v[46:47], off offset:-128
	s_waitcnt vmcnt(0)
	ds_write_b64 v53, v[0:1] offset:4096
.LBB37_51:                              ;   in Loop: Header=BB37_7 Depth=2
	s_or_b64 exec, exec, s[16:17]
	s_and_b64 s[12:13], s[10:11], s[12:13]
	s_xor_b64 s[12:13], s[12:13], -1
	s_and_saveexec_b64 s[16:17], s[12:13]
	s_xor_b64 s[12:13], exec, s[16:17]
	s_cbranch_execz .LBB37_53
; %bb.52:                               ;   in Loop: Header=BB37_7 Depth=2
	v_mov_b32_e32 v0, v10
	v_mov_b32_e32 v1, v10
	ds_write_b64 v53, v[0:1] offset:4224
.LBB37_53:                              ;   in Loop: Header=BB37_7 Depth=2
	s_andn2_saveexec_b64 s[12:13], s[12:13]
	s_cbranch_execz .LBB37_6
; %bb.54:                               ;   in Loop: Header=BB37_7 Depth=2
	global_load_dwordx2 v[0:1], v[46:47], off
	s_waitcnt vmcnt(0)
	ds_write_b64 v53, v[0:1] offset:4224
	s_branch .LBB37_6
.LBB37_55:                              ;   in Loop: Header=BB37_4 Depth=1
	v_mul_lo_u32 v2, v55, s40
	v_mul_lo_u32 v3, v54, s41
	v_mad_u64_u32 v[0:1], s[8:9], v54, s40, 0
	v_add3_u32 v1, v1, v3, v2
	v_lshlrev_b64 v[0:1], 3, v[0:1]
	v_mov_b32_e32 v2, s50
	v_add_co_u32_e64 v0, s[8:9], s33, v0
	v_cmp_gt_i32_e32 vcc, s30, v54
	v_addc_co_u32_e64 v1, s[8:9], v2, v1, s[8:9]
	s_and_b64 s[8:9], s[4:5], vcc
	s_and_saveexec_b64 s[10:11], s[8:9]
	s_cbranch_execz .LBB37_57
; %bb.56:                               ;   in Loop: Header=BB37_4 Depth=1
	v_add_co_u32_e64 v2, s[8:9], v0, v32
	v_addc_co_u32_e64 v3, s[8:9], v1, v33, s[8:9]
	global_load_dwordx2 v[4:5], v[2:3], off
	s_waitcnt vmcnt(0)
	v_fmac_f64_e32 v[4:5], s[34:35], v[42:43]
	global_store_dwordx2 v[2:3], v[4:5], off
.LBB37_57:                              ;   in Loop: Header=BB37_4 Depth=1
	s_or_b64 exec, exec, s[10:11]
	s_and_b64 s[10:11], s[14:15], vcc
	s_and_saveexec_b64 s[8:9], s[10:11]
	s_cbranch_execz .LBB37_59
; %bb.58:                               ;   in Loop: Header=BB37_4 Depth=1
	v_lshlrev_b64 v[2:3], 3, v[20:21]
	v_add_co_u32_e32 v0, vcc, v0, v2
	v_addc_co_u32_e32 v1, vcc, v1, v3, vcc
	global_load_dwordx2 v[2:3], v[0:1], off
	s_waitcnt vmcnt(0)
	v_fmac_f64_e32 v[2:3], s[34:35], v[40:41]
	global_store_dwordx2 v[0:1], v[2:3], off
.LBB37_59:                              ;   in Loop: Header=BB37_4 Depth=1
	s_or_b64 exec, exec, s[8:9]
	v_add_u32_e32 v0, 16, v54
	v_ashrrev_i32_e32 v1, 31, v0
	v_cmp_gt_i32_e32 vcc, s30, v0
	v_mul_lo_u32 v2, v1, s40
	v_mul_lo_u32 v3, v0, s41
	v_mad_u64_u32 v[0:1], s[8:9], v0, s40, 0
	v_add3_u32 v1, v1, v3, v2
	v_lshlrev_b64 v[0:1], 3, v[0:1]
	v_mov_b32_e32 v2, s50
	v_add_co_u32_e64 v0, s[8:9], s33, v0
	v_addc_co_u32_e64 v1, s[8:9], v2, v1, s[8:9]
	s_and_b64 s[8:9], s[4:5], vcc
	s_and_saveexec_b64 s[10:11], s[8:9]
	s_cbranch_execz .LBB37_61
; %bb.60:                               ;   in Loop: Header=BB37_4 Depth=1
	v_add_co_u32_e64 v2, s[8:9], v0, v32
	v_addc_co_u32_e64 v3, s[8:9], v1, v33, s[8:9]
	global_load_dwordx2 v[4:5], v[2:3], off
	s_waitcnt vmcnt(0)
	v_fmac_f64_e32 v[4:5], s[34:35], v[38:39]
	global_store_dwordx2 v[2:3], v[4:5], off
.LBB37_61:                              ;   in Loop: Header=BB37_4 Depth=1
	s_or_b64 exec, exec, s[10:11]
	s_and_b64 s[10:11], s[14:15], vcc
	s_and_saveexec_b64 s[8:9], s[10:11]
	s_cbranch_execz .LBB37_3
; %bb.62:                               ;   in Loop: Header=BB37_4 Depth=1
	v_lshlrev_b64 v[2:3], 3, v[20:21]
	v_add_co_u32_e32 v0, vcc, v0, v2
	v_addc_co_u32_e32 v1, vcc, v1, v3, vcc
	global_load_dwordx2 v[2:3], v[0:1], off
	s_waitcnt vmcnt(0)
	v_fmac_f64_e32 v[2:3], s[34:35], v[36:37]
	global_store_dwordx2 v[0:1], v[2:3], off
	s_branch .LBB37_3
.LBB37_63:
	s_endpgm
	.section	.rodata,"a",@progbits
	.p2align	6, 0x0
	.amdhsa_kernel _ZL30rocblas_trmm_outofplace_kernelIdLi32ELi2ELb1ELb0ELb0ELb0EdKddEv17rocblas_diagonal_iiT6_lPT7_lllS4_lllPT8_llli
		.amdhsa_group_segment_fixed_size 16384
		.amdhsa_private_segment_fixed_size 0
		.amdhsa_kernarg_size 392
		.amdhsa_user_sgpr_count 6
		.amdhsa_user_sgpr_private_segment_buffer 1
		.amdhsa_user_sgpr_dispatch_ptr 0
		.amdhsa_user_sgpr_queue_ptr 0
		.amdhsa_user_sgpr_kernarg_segment_ptr 1
		.amdhsa_user_sgpr_dispatch_id 0
		.amdhsa_user_sgpr_flat_scratch_init 0
		.amdhsa_user_sgpr_kernarg_preload_length 0
		.amdhsa_user_sgpr_kernarg_preload_offset 0
		.amdhsa_user_sgpr_private_segment_size 0
		.amdhsa_uses_dynamic_stack 0
		.amdhsa_system_sgpr_private_segment_wavefront_offset 0
		.amdhsa_system_sgpr_workgroup_id_x 1
		.amdhsa_system_sgpr_workgroup_id_y 1
		.amdhsa_system_sgpr_workgroup_id_z 1
		.amdhsa_system_sgpr_workgroup_info 0
		.amdhsa_system_vgpr_workitem_id 1
		.amdhsa_next_free_vgpr 80
		.amdhsa_next_free_sgpr 55
		.amdhsa_accum_offset 80
		.amdhsa_reserve_vcc 1
		.amdhsa_reserve_flat_scratch 0
		.amdhsa_float_round_mode_32 0
		.amdhsa_float_round_mode_16_64 0
		.amdhsa_float_denorm_mode_32 3
		.amdhsa_float_denorm_mode_16_64 3
		.amdhsa_dx10_clamp 1
		.amdhsa_ieee_mode 1
		.amdhsa_fp16_overflow 0
		.amdhsa_tg_split 0
		.amdhsa_exception_fp_ieee_invalid_op 0
		.amdhsa_exception_fp_denorm_src 0
		.amdhsa_exception_fp_ieee_div_zero 0
		.amdhsa_exception_fp_ieee_overflow 0
		.amdhsa_exception_fp_ieee_underflow 0
		.amdhsa_exception_fp_ieee_inexact 0
		.amdhsa_exception_int_div_zero 0
	.end_amdhsa_kernel
	.section	.text._ZL30rocblas_trmm_outofplace_kernelIdLi32ELi2ELb1ELb0ELb0ELb0EdKddEv17rocblas_diagonal_iiT6_lPT7_lllS4_lllPT8_llli,"axG",@progbits,_ZL30rocblas_trmm_outofplace_kernelIdLi32ELi2ELb1ELb0ELb0ELb0EdKddEv17rocblas_diagonal_iiT6_lPT7_lllS4_lllPT8_llli,comdat
.Lfunc_end37:
	.size	_ZL30rocblas_trmm_outofplace_kernelIdLi32ELi2ELb1ELb0ELb0ELb0EdKddEv17rocblas_diagonal_iiT6_lPT7_lllS4_lllPT8_llli, .Lfunc_end37-_ZL30rocblas_trmm_outofplace_kernelIdLi32ELi2ELb1ELb0ELb0ELb0EdKddEv17rocblas_diagonal_iiT6_lPT7_lllS4_lllPT8_llli
                                        ; -- End function
	.section	.AMDGPU.csdata,"",@progbits
; Kernel info:
; codeLenInByte = 3320
; NumSgprs: 59
; NumVgprs: 80
; NumAgprs: 0
; TotalNumVgprs: 80
; ScratchSize: 0
; MemoryBound: 1
; FloatMode: 240
; IeeeMode: 1
; LDSByteSize: 16384 bytes/workgroup (compile time only)
; SGPRBlocks: 7
; VGPRBlocks: 9
; NumSGPRsForWavesPerEU: 59
; NumVGPRsForWavesPerEU: 80
; AccumOffset: 80
; Occupancy: 6
; WaveLimiterHint : 0
; COMPUTE_PGM_RSRC2:SCRATCH_EN: 0
; COMPUTE_PGM_RSRC2:USER_SGPR: 6
; COMPUTE_PGM_RSRC2:TRAP_HANDLER: 0
; COMPUTE_PGM_RSRC2:TGID_X_EN: 1
; COMPUTE_PGM_RSRC2:TGID_Y_EN: 1
; COMPUTE_PGM_RSRC2:TGID_Z_EN: 1
; COMPUTE_PGM_RSRC2:TIDIG_COMP_CNT: 1
; COMPUTE_PGM_RSRC3_GFX90A:ACCUM_OFFSET: 19
; COMPUTE_PGM_RSRC3_GFX90A:TG_SPLIT: 0
	.section	.text._ZL30rocblas_trmm_outofplace_kernelIdLi32ELi2ELb1ELb1ELb0ELb0EPKdS0_dEv17rocblas_diagonal_iiT6_lPT7_lllS5_lllPT8_llli,"axG",@progbits,_ZL30rocblas_trmm_outofplace_kernelIdLi32ELi2ELb1ELb1ELb0ELb0EPKdS0_dEv17rocblas_diagonal_iiT6_lPT7_lllS5_lllPT8_llli,comdat
	.globl	_ZL30rocblas_trmm_outofplace_kernelIdLi32ELi2ELb1ELb1ELb0ELb0EPKdS0_dEv17rocblas_diagonal_iiT6_lPT7_lllS5_lllPT8_llli ; -- Begin function _ZL30rocblas_trmm_outofplace_kernelIdLi32ELi2ELb1ELb1ELb0ELb0EPKdS0_dEv17rocblas_diagonal_iiT6_lPT7_lllS5_lllPT8_llli
	.p2align	8
	.type	_ZL30rocblas_trmm_outofplace_kernelIdLi32ELi2ELb1ELb1ELb0ELb0EPKdS0_dEv17rocblas_diagonal_iiT6_lPT7_lllS5_lllPT8_llli,@function
_ZL30rocblas_trmm_outofplace_kernelIdLi32ELi2ELb1ELb1ELb0ELb0EPKdS0_dEv17rocblas_diagonal_iiT6_lPT7_lllS5_lllPT8_llli: ; @_ZL30rocblas_trmm_outofplace_kernelIdLi32ELi2ELb1ELb1ELb0ELb0EPKdS0_dEv17rocblas_diagonal_iiT6_lPT7_lllS5_lllPT8_llli
; %bb.0:
	s_load_dwordx16 s[12:27], s[4:5], 0x10
	s_waitcnt lgkmcnt(0)
	s_mul_i32 s0, s8, s15
	s_mul_hi_u32 s1, s8, s14
	s_add_i32 s1, s1, s0
	s_mul_i32 s0, s8, s14
	s_lshl_b64 s[0:1], s[0:1], 3
	s_add_u32 s0, s12, s0
	s_addc_u32 s1, s13, s1
	s_load_dwordx2 s[34:35], s[0:1], 0x0
	s_waitcnt lgkmcnt(0)
	v_cmp_eq_f64_e64 s[0:1], s[34:35], 0
	s_and_b64 vcc, exec, s[0:1]
	s_cbranch_vccnz .LBB38_63
; %bb.1:
	s_load_dwordx4 s[28:31], s[4:5], 0x0
	s_waitcnt lgkmcnt(0)
	s_add_i32 s0, s30, -1
	s_ashr_i32 s1, s0, 31
	s_lshr_b32 s1, s1, 27
	s_add_i32 s0, s0, s1
	s_ashr_i32 s31, s0, 5
	s_cmp_gt_i32 s7, s31
	s_cbranch_scc1 .LBB38_63
; %bb.2:
	s_mul_i32 s0, s8, s23
	s_mul_hi_u32 s1, s8, s22
	s_add_i32 s1, s1, s0
	s_mul_i32 s0, s8, s22
	s_load_dwordx4 s[44:47], s[4:5], 0x70
	s_load_dword s33, s[4:5], 0x8c
	s_lshl_b64 s[10:11], s[0:1], 3
	s_add_u32 s0, s16, s10
	s_load_dwordx8 s[36:43], s[4:5], 0x50
	s_addc_u32 s1, s17, s11
	s_lshl_b64 s[12:13], s[18:19], 3
	s_add_u32 s2, s0, s12
	s_addc_u32 s3, s1, s13
	s_waitcnt lgkmcnt(0)
	s_mul_i32 s0, s8, s47
	s_mul_hi_u32 s1, s8, s46
	s_add_i32 s1, s1, s0
	s_mul_i32 s0, s8, s46
	s_lshl_b64 s[0:1], s[0:1], 3
	s_add_u32 s4, s40, s0
	s_addc_u32 s5, s41, s1
	s_lshl_b64 s[0:1], s[42:43], 3
	s_add_u32 s52, s4, s0
	v_bfe_u32 v48, v0, 10, 10
	s_addc_u32 s53, s5, s1
	s_lshl_b32 s4, s6, 5
	v_add_u32_e32 v8, s4, v48
	v_ashrrev_i32_e32 v9, 31, v8
	v_and_b32_e32 v2, 0x3ff, v0
	v_mul_lo_u32 v3, v9, s20
	v_mul_lo_u32 v4, v8, s21
	v_mad_u64_u32 v[0:1], s[0:1], v8, s20, 0
	s_sub_i32 s6, s29, s4
	v_add3_u32 v1, v1, v4, v3
	s_cmp_gt_i32 s6, 0
	v_lshlrev_b64 v[0:1], 3, v[0:1]
	s_cselect_b64 s[18:19], -1, 0
	s_cmpk_eq_i32 s28, 0x84
	v_mov_b32_e32 v3, s3
	v_add_co_u32_e32 v12, vcc, s2, v0
	s_cselect_b64 s[22:23], -1, 0
	s_ashr_i32 s41, s29, 31
	s_ashr_i32 s54, s30, 31
	s_lshl_b64 s[42:43], s[20:21], 8
	v_add_u32_e32 v10, s4, v2
	v_addc_co_u32_e32 v13, vcc, v3, v1, vcc
	s_add_u32 s46, s29, -16
	s_mul_i32 s9, s39, s8
	s_mul_hi_u32 s28, s38, s8
	v_ashrrev_i32_e32 v11, 31, v10
	v_add_co_u32_e32 v14, vcc, 16, v10
	s_addc_u32 s47, s41, -1
	s_add_i32 s9, s28, s9
	s_mul_i32 s8, s38, s8
	v_addc_co_u32_e32 v15, vcc, 0, v11, vcc
	s_lshl_b64 s[8:9], s[8:9], 3
	s_lshl_b64 s[26:27], s[26:27], 3
	v_sub_co_u32_e32 v18, vcc, v10, v8
	s_add_u32 s8, s8, s26
	v_subb_co_u32_e32 v19, vcc, v11, v9, vcc
	s_addc_u32 s9, s9, s27
	v_add_co_u32_e32 v20, vcc, 16, v18
	s_add_u32 s8, s8, s24
	v_addc_co_u32_e32 v21, vcc, 0, v19, vcc
	s_addc_u32 s9, s9, s25
	v_lshlrev_b32_e32 v0, 8, v48
	v_lshlrev_b32_e32 v49, 3, v2
	v_add_co_u32_e32 v22, vcc, -16, v18
	s_add_u32 s24, s8, 0x80
	v_add_u32_e32 v50, v49, v0
	v_add_u32_e32 v51, 0x2000, v0
	v_addc_co_u32_e32 v23, vcc, -1, v19, vcc
	s_addc_u32 s25, s9, 0
	s_lshl_b64 s[26:27], s[36:37], 3
	s_lshl_b32 s55, s33, 5
	v_lshlrev_b64 v[0:1], 3, v[8:9]
	s_movk_i32 s8, 0x80
	v_add_co_u32_e32 v2, vcc, s8, v0
	s_add_u32 s8, s16, s12
	s_addc_u32 s9, s17, s13
	s_add_u32 s8, s8, s10
	s_addc_u32 s9, s9, s11
	v_addc_co_u32_e32 v3, vcc, 0, v1, vcc
	v_pk_mov_b32 v[0:1], s[8:9], s[8:9] op_sel:[0,1]
	s_mov_b32 s40, s29
	v_add_u32_e32 v16, 16, v10
	v_mad_u64_u32 v[28:29], s[8:9], s20, v2, v[0:1]
	v_mul_lo_u32 v0, s20, v3
	v_mul_lo_u32 v1, s21, v2
	v_cmp_le_i32_e64 s[0:1], s29, v10
	v_cmp_le_i64_e64 s[2:3], s[40:41], v[14:15]
	v_add_u32_e32 v52, v51, v49
	v_cmp_gt_i32_e64 s[4:5], s29, v10
	v_cmp_gt_i32_e64 s[14:15], s29, v16
	v_ashrrev_i32_e32 v17, 31, v16
	v_lshlrev_b64 v[24:25], 3, v[10:11]
	v_lshl_add_u32 v26, s7, 5, v48
	v_add3_u32 v29, v1, v29, v0
	v_mov_b32_e32 v30, 0
	v_mov_b32_e32 v31, 0x3ff00000
	s_movk_i32 s56, 0x100
	s_branch .LBB38_4
.LBB38_3:                               ;   in Loop: Header=BB38_4 Depth=1
	s_or_b64 exec, exec, s[8:9]
	s_add_i32 s7, s33, s7
	s_cmp_le_i32 s7, s31
	v_add_u32_e32 v26, s55, v26
	s_cbranch_scc0 .LBB38_63
.LBB38_4:                               ; =>This Loop Header: Depth=1
                                        ;     Child Loop BB38_7 Depth 2
	v_lshl_add_u32 v53, s7, 5, v48
	v_pk_mov_b32 v[38:39], 0, 0
	v_ashrrev_i32_e32 v54, 31, v53
	s_mov_b64 s[20:21], 0
	s_andn2_b64 vcc, exec, s[18:19]
	v_pk_mov_b32 v[36:37], v[38:39], v[38:39] op_sel:[0,1]
	v_pk_mov_b32 v[34:35], v[38:39], v[38:39] op_sel:[0,1]
	;; [unrolled: 1-line block ×3, first 2 shown]
	s_cbranch_vccnz .LBB38_55
; %bb.5:                                ;   in Loop: Header=BB38_4 Depth=1
	v_ashrrev_i32_e32 v27, 31, v26
	v_pk_mov_b32 v[0:1], s[24:25], s[24:25] op_sel:[0,1]
	v_mad_u64_u32 v[40:41], s[8:9], s26, v26, v[0:1]
	v_mul_lo_u32 v2, s27, v26
	v_mul_lo_u32 v3, s26, v27
	v_add3_u32 v41, v2, v41, v3
	v_lshlrev_b64 v[2:3], 3, v[26:27]
	v_add_co_u32_e32 v2, vcc, 0x80, v2
	v_addc_co_u32_e32 v3, vcc, 0, v3, vcc
	v_mad_u64_u32 v[42:43], s[8:9], s36, v2, v[0:1]
	v_mov_b32_e32 v1, s54
	v_sub_co_u32_e32 v0, vcc, s30, v53
	v_mul_lo_u32 v3, s36, v3
	v_mul_lo_u32 v4, s37, v2
	v_subb_co_u32_e32 v1, vcc, v1, v54, vcc
	v_pk_mov_b32 v[32:33], 0, 0
	v_add3_u32 v43, v4, v43, v3
	v_cmp_lt_i64_e64 s[8:9], 0, v[0:1]
	v_cmp_lt_i64_e64 s[10:11], 16, v[0:1]
	v_pk_mov_b32 v[44:45], v[28:29], v[28:29] op_sel:[0,1]
	v_pk_mov_b32 v[46:47], v[12:13], v[12:13] op_sel:[0,1]
	;; [unrolled: 1-line block ×5, first 2 shown]
	s_branch .LBB38_7
.LBB38_6:                               ;   in Loop: Header=BB38_7 Depth=2
	s_or_b64 exec, exec, s[12:13]
	s_waitcnt lgkmcnt(0)
	s_barrier
	ds_read2_b64 v[56:59], v49 offset1:16
	ds_read_b128 v[60:63], v51
	ds_read_b128 v[64:67], v51 offset:16
	ds_read_b128 v[4:7], v51 offset:32
	;; [unrolled: 1-line block ×4, first 2 shown]
	ds_read2_b64 v[72:75], v49 offset0:32 offset1:48
	s_waitcnt lgkmcnt(5)
	v_fmac_f64_e32 v[38:39], v[56:57], v[60:61]
	v_fmac_f64_e32 v[36:37], v[58:59], v[60:61]
	ds_read_b128 v[76:79], v51 offset:4112
	s_waitcnt lgkmcnt(2)
	v_fmac_f64_e32 v[34:35], v[56:57], v[68:69]
	v_fmac_f64_e32 v[32:33], v[58:59], v[68:69]
	ds_read2_b64 v[56:59], v49 offset0:64 offset1:80
	s_waitcnt lgkmcnt(2)
	v_fmac_f64_e32 v[38:39], v[72:73], v[62:63]
	v_fmac_f64_e32 v[36:37], v[74:75], v[62:63]
	ds_read2_b64 v[60:63], v49 offset0:96 offset1:112
	v_fmac_f64_e32 v[34:35], v[72:73], v[70:71]
	v_fmac_f64_e32 v[32:33], v[74:75], v[70:71]
	ds_read_b128 v[68:71], v51 offset:4144
	s_waitcnt lgkmcnt(2)
	v_fmac_f64_e32 v[38:39], v[56:57], v[64:65]
	v_fmac_f64_e32 v[36:37], v[58:59], v[64:65]
	;; [unrolled: 1-line block ×4, first 2 shown]
	s_waitcnt lgkmcnt(1)
	v_fmac_f64_e32 v[38:39], v[60:61], v[66:67]
	ds_read2_b64 v[56:59], v49 offset0:128 offset1:144
	v_fmac_f64_e32 v[36:37], v[62:63], v[66:67]
	v_fmac_f64_e32 v[34:35], v[60:61], v[78:79]
	;; [unrolled: 1-line block ×3, first 2 shown]
	ds_read_b128 v[60:63], v51 offset:4128
	ds_read2_b64 v[64:67], v49 offset0:160 offset1:176
	s_waitcnt lgkmcnt(2)
	v_fmac_f64_e32 v[38:39], v[56:57], v[4:5]
	v_fmac_f64_e32 v[36:37], v[58:59], v[4:5]
	v_add_u32_e32 v27, 0x800, v49
	s_waitcnt lgkmcnt(1)
	v_fmac_f64_e32 v[34:35], v[56:57], v[60:61]
	v_fmac_f64_e32 v[32:33], v[58:59], v[60:61]
	ds_read2_b64 v[56:59], v49 offset0:192 offset1:208
	s_waitcnt lgkmcnt(1)
	v_fmac_f64_e32 v[38:39], v[64:65], v[6:7]
	v_fmac_f64_e32 v[36:37], v[66:67], v[6:7]
	ds_read2_b64 v[4:7], v49 offset0:224 offset1:240
	v_fmac_f64_e32 v[34:35], v[64:65], v[62:63]
	v_fmac_f64_e32 v[32:33], v[66:67], v[62:63]
	s_waitcnt lgkmcnt(1)
	v_fmac_f64_e32 v[38:39], v[56:57], v[0:1]
	v_fmac_f64_e32 v[36:37], v[58:59], v[0:1]
	;; [unrolled: 1-line block ×4, first 2 shown]
	s_waitcnt lgkmcnt(0)
	v_fmac_f64_e32 v[38:39], v[4:5], v[2:3]
	v_fmac_f64_e32 v[36:37], v[6:7], v[2:3]
	ds_read2_b64 v[0:3], v27 offset1:16
	ds_read_b128 v[56:59], v51 offset:64
	v_fmac_f64_e32 v[34:35], v[4:5], v[70:71]
	v_fmac_f64_e32 v[32:33], v[6:7], v[70:71]
	ds_read_b128 v[4:7], v51 offset:80
	ds_read_b128 v[60:63], v51 offset:4160
	ds_read2_b64 v[64:67], v27 offset0:32 offset1:48
	s_waitcnt lgkmcnt(3)
	v_fmac_f64_e32 v[38:39], v[0:1], v[56:57]
	v_fmac_f64_e32 v[36:37], v[2:3], v[56:57]
	ds_read_b128 v[68:71], v51 offset:4176
	s_waitcnt lgkmcnt(2)
	v_fmac_f64_e32 v[34:35], v[0:1], v[60:61]
	v_fmac_f64_e32 v[32:33], v[2:3], v[60:61]
	ds_read2_b64 v[0:3], v27 offset0:64 offset1:80
	s_waitcnt lgkmcnt(2)
	v_fmac_f64_e32 v[38:39], v[64:65], v[58:59]
	v_fmac_f64_e32 v[36:37], v[66:67], v[58:59]
	ds_read2_b64 v[56:59], v27 offset0:96 offset1:112
	v_fmac_f64_e32 v[34:35], v[64:65], v[62:63]
	v_fmac_f64_e32 v[32:33], v[66:67], v[62:63]
	s_waitcnt lgkmcnt(1)
	v_fmac_f64_e32 v[38:39], v[0:1], v[4:5]
	v_fmac_f64_e32 v[36:37], v[2:3], v[4:5]
	;; [unrolled: 1-line block ×4, first 2 shown]
	s_waitcnt lgkmcnt(0)
	v_fmac_f64_e32 v[38:39], v[56:57], v[6:7]
	v_fmac_f64_e32 v[36:37], v[58:59], v[6:7]
	ds_read2_b64 v[0:3], v27 offset0:128 offset1:144
	ds_read_b128 v[4:7], v51 offset:96
	v_fmac_f64_e32 v[34:35], v[56:57], v[70:71]
	v_fmac_f64_e32 v[32:33], v[58:59], v[70:71]
	ds_read_b128 v[56:59], v51 offset:112
	ds_read_b128 v[60:63], v51 offset:4192
	ds_read2_b64 v[64:67], v27 offset0:160 offset1:176
	s_waitcnt lgkmcnt(3)
	v_fmac_f64_e32 v[38:39], v[0:1], v[4:5]
	v_fmac_f64_e32 v[36:37], v[2:3], v[4:5]
	ds_read_b128 v[68:71], v51 offset:4208
	s_waitcnt lgkmcnt(2)
	v_fmac_f64_e32 v[34:35], v[0:1], v[60:61]
	v_fmac_f64_e32 v[32:33], v[2:3], v[60:61]
	ds_read2_b64 v[0:3], v27 offset0:192 offset1:208
	s_waitcnt lgkmcnt(2)
	v_fmac_f64_e32 v[38:39], v[64:65], v[6:7]
	v_fmac_f64_e32 v[36:37], v[66:67], v[6:7]
	ds_read2_b64 v[4:7], v27 offset0:224 offset1:240
	v_fmac_f64_e32 v[34:35], v[64:65], v[62:63]
	v_fmac_f64_e32 v[32:33], v[66:67], v[62:63]
	s_waitcnt lgkmcnt(1)
	v_fmac_f64_e32 v[38:39], v[0:1], v[56:57]
	v_fmac_f64_e32 v[36:37], v[2:3], v[56:57]
	;; [unrolled: 1-line block ×4, first 2 shown]
	v_add_u32_e32 v27, 0x1000, v49
	s_waitcnt lgkmcnt(0)
	v_fmac_f64_e32 v[38:39], v[4:5], v[58:59]
	v_fmac_f64_e32 v[36:37], v[6:7], v[58:59]
	ds_read2_b64 v[0:3], v27 offset1:16
	ds_read_b128 v[56:59], v51 offset:128
	v_fmac_f64_e32 v[34:35], v[4:5], v[70:71]
	v_fmac_f64_e32 v[32:33], v[6:7], v[70:71]
	ds_read_b128 v[4:7], v51 offset:144
	ds_read_b128 v[60:63], v51 offset:4224
	ds_read2_b64 v[64:67], v27 offset0:32 offset1:48
	s_waitcnt lgkmcnt(3)
	v_fmac_f64_e32 v[38:39], v[0:1], v[56:57]
	v_fmac_f64_e32 v[36:37], v[2:3], v[56:57]
	ds_read_b128 v[68:71], v51 offset:4240
	s_waitcnt lgkmcnt(2)
	v_fmac_f64_e32 v[34:35], v[0:1], v[60:61]
	v_fmac_f64_e32 v[32:33], v[2:3], v[60:61]
	ds_read2_b64 v[0:3], v27 offset0:64 offset1:80
	s_waitcnt lgkmcnt(2)
	v_fmac_f64_e32 v[38:39], v[64:65], v[58:59]
	v_fmac_f64_e32 v[36:37], v[66:67], v[58:59]
	ds_read2_b64 v[56:59], v27 offset0:96 offset1:112
	v_fmac_f64_e32 v[34:35], v[64:65], v[62:63]
	v_fmac_f64_e32 v[32:33], v[66:67], v[62:63]
	s_waitcnt lgkmcnt(1)
	v_fmac_f64_e32 v[38:39], v[0:1], v[4:5]
	v_fmac_f64_e32 v[36:37], v[2:3], v[4:5]
	;; [unrolled: 1-line block ×4, first 2 shown]
	s_waitcnt lgkmcnt(0)
	v_fmac_f64_e32 v[38:39], v[56:57], v[6:7]
	v_fmac_f64_e32 v[36:37], v[58:59], v[6:7]
	ds_read2_b64 v[0:3], v27 offset0:128 offset1:144
	ds_read_b128 v[4:7], v51 offset:160
	v_fmac_f64_e32 v[34:35], v[56:57], v[70:71]
	v_fmac_f64_e32 v[32:33], v[58:59], v[70:71]
	ds_read_b128 v[56:59], v51 offset:176
	ds_read_b128 v[60:63], v51 offset:4256
	ds_read2_b64 v[64:67], v27 offset0:160 offset1:176
	s_waitcnt lgkmcnt(3)
	v_fmac_f64_e32 v[38:39], v[0:1], v[4:5]
	v_fmac_f64_e32 v[36:37], v[2:3], v[4:5]
	ds_read_b128 v[68:71], v51 offset:4272
	s_waitcnt lgkmcnt(2)
	v_fmac_f64_e32 v[34:35], v[0:1], v[60:61]
	v_fmac_f64_e32 v[32:33], v[2:3], v[60:61]
	ds_read2_b64 v[0:3], v27 offset0:192 offset1:208
	s_waitcnt lgkmcnt(2)
	v_fmac_f64_e32 v[38:39], v[64:65], v[6:7]
	v_fmac_f64_e32 v[36:37], v[66:67], v[6:7]
	ds_read2_b64 v[4:7], v27 offset0:224 offset1:240
	v_fmac_f64_e32 v[34:35], v[64:65], v[62:63]
	v_fmac_f64_e32 v[32:33], v[66:67], v[62:63]
	s_waitcnt lgkmcnt(1)
	v_fmac_f64_e32 v[38:39], v[0:1], v[56:57]
	v_fmac_f64_e32 v[36:37], v[2:3], v[56:57]
	;; [unrolled: 1-line block ×4, first 2 shown]
	v_add_u32_e32 v27, 0x1800, v49
	s_waitcnt lgkmcnt(0)
	v_fmac_f64_e32 v[38:39], v[4:5], v[58:59]
	v_fmac_f64_e32 v[36:37], v[6:7], v[58:59]
	ds_read2_b64 v[0:3], v27 offset1:16
	ds_read_b128 v[56:59], v51 offset:192
	v_fmac_f64_e32 v[34:35], v[4:5], v[70:71]
	v_fmac_f64_e32 v[32:33], v[6:7], v[70:71]
	ds_read_b128 v[4:7], v51 offset:208
	ds_read_b128 v[60:63], v51 offset:4288
	ds_read2_b64 v[64:67], v27 offset0:32 offset1:48
	s_waitcnt lgkmcnt(3)
	v_fmac_f64_e32 v[38:39], v[0:1], v[56:57]
	v_fmac_f64_e32 v[36:37], v[2:3], v[56:57]
	ds_read_b128 v[68:71], v51 offset:4304
	s_waitcnt lgkmcnt(2)
	v_fmac_f64_e32 v[34:35], v[0:1], v[60:61]
	v_fmac_f64_e32 v[32:33], v[2:3], v[60:61]
	ds_read2_b64 v[0:3], v27 offset0:64 offset1:80
	s_waitcnt lgkmcnt(2)
	v_fmac_f64_e32 v[38:39], v[64:65], v[58:59]
	v_fmac_f64_e32 v[36:37], v[66:67], v[58:59]
	ds_read2_b64 v[56:59], v27 offset0:96 offset1:112
	v_fmac_f64_e32 v[34:35], v[64:65], v[62:63]
	v_fmac_f64_e32 v[32:33], v[66:67], v[62:63]
	s_waitcnt lgkmcnt(1)
	v_fmac_f64_e32 v[38:39], v[0:1], v[4:5]
	v_fmac_f64_e32 v[36:37], v[2:3], v[4:5]
	;; [unrolled: 1-line block ×4, first 2 shown]
	s_waitcnt lgkmcnt(0)
	v_fmac_f64_e32 v[38:39], v[56:57], v[6:7]
	v_fmac_f64_e32 v[36:37], v[58:59], v[6:7]
	ds_read2_b64 v[0:3], v27 offset0:128 offset1:144
	ds_read_b128 v[4:7], v51 offset:224
	v_fmac_f64_e32 v[34:35], v[56:57], v[70:71]
	v_fmac_f64_e32 v[32:33], v[58:59], v[70:71]
	ds_read_b128 v[56:59], v51 offset:240
	ds_read_b128 v[60:63], v51 offset:4320
	ds_read2_b64 v[64:67], v27 offset0:160 offset1:176
	s_waitcnt lgkmcnt(3)
	v_fmac_f64_e32 v[38:39], v[0:1], v[4:5]
	v_fmac_f64_e32 v[36:37], v[2:3], v[4:5]
	ds_read_b128 v[68:71], v51 offset:4336
	s_waitcnt lgkmcnt(2)
	v_fmac_f64_e32 v[34:35], v[0:1], v[60:61]
	v_fmac_f64_e32 v[32:33], v[2:3], v[60:61]
	ds_read2_b64 v[0:3], v27 offset0:192 offset1:208
	v_add_co_u32_e32 v40, vcc, s56, v40
	s_waitcnt lgkmcnt(2)
	v_fmac_f64_e32 v[38:39], v[64:65], v[6:7]
	v_fmac_f64_e32 v[34:35], v[64:65], v[62:63]
	v_addc_co_u32_e32 v41, vcc, 0, v41, vcc
	v_fmac_f64_e32 v[36:37], v[66:67], v[6:7]
	ds_read2_b64 v[4:7], v27 offset0:224 offset1:240
	s_waitcnt lgkmcnt(1)
	v_fmac_f64_e32 v[38:39], v[0:1], v[56:57]
	v_fmac_f64_e32 v[34:35], v[0:1], v[68:69]
	v_mov_b32_e32 v0, s43
	v_add_co_u32_e32 v46, vcc, s42, v46
	v_addc_co_u32_e32 v47, vcc, v47, v0, vcc
	v_add_co_u32_e32 v44, vcc, s42, v44
	v_fmac_f64_e32 v[32:33], v[66:67], v[62:63]
	s_add_u32 s20, s20, 32
	v_addc_co_u32_e32 v45, vcc, v45, v0, vcc
	v_fmac_f64_e32 v[36:37], v[2:3], v[56:57]
	v_fmac_f64_e32 v[32:33], v[2:3], v[68:69]
	s_addc_u32 s21, s21, 0
	v_add_co_u32_e32 v42, vcc, 0x100, v42
	s_waitcnt lgkmcnt(0)
	v_fmac_f64_e32 v[38:39], v[4:5], v[58:59]
	v_fmac_f64_e32 v[36:37], v[6:7], v[58:59]
	;; [unrolled: 1-line block ×4, first 2 shown]
	s_cmp_ge_i32 s20, s6
	v_addc_co_u32_e32 v43, vcc, 0, v43, vcc
	s_barrier
	s_cbranch_scc1 .LBB38_55
.LBB38_7:                               ;   Parent Loop BB38_4 Depth=1
                                        ; =>  This Inner Loop Header: Depth=2
	v_mov_b32_e32 v1, s21
	v_add_co_u32_e32 v0, vcc, s20, v8
	v_addc_co_u32_e32 v1, vcc, v9, v1, vcc
	v_add_co_u32_e32 v2, vcc, v46, v24
	v_addc_co_u32_e32 v3, vcc, v47, v25, vcc
	v_cmp_eq_u64_e32 vcc, s[20:21], v[18:19]
	v_cmp_le_i64_e64 s[12:13], s[40:41], v[0:1]
	s_and_b64 s[38:39], s[22:23], vcc
	v_cmp_lt_i64_e32 vcc, v[0:1], v[10:11]
	s_or_b64 s[16:17], s[12:13], vcc
	s_or_b64 s[16:17], s[16:17], s[38:39]
	s_or_b64 s[16:17], s[0:1], s[16:17]
	s_xor_b64 s[16:17], s[16:17], -1
	s_and_saveexec_b64 s[28:29], s[16:17]
	s_xor_b64 s[16:17], exec, s[28:29]
	s_cbranch_execz .LBB38_9
; %bb.8:                                ;   in Loop: Header=BB38_7 Depth=2
	global_load_dwordx2 v[4:5], v[2:3], off
	s_waitcnt vmcnt(0)
	ds_write_b64 v50, v[4:5]
.LBB38_9:                               ;   in Loop: Header=BB38_7 Depth=2
	s_or_saveexec_b64 s[16:17], s[16:17]
	s_xor_b64 s[28:29], s[38:39], -1
	s_xor_b64 exec, exec, s[16:17]
	s_cbranch_execz .LBB38_15
; %bb.10:                               ;   in Loop: Header=BB38_7 Depth=2
	s_and_saveexec_b64 s[48:49], s[28:29]
	s_xor_b64 s[48:49], exec, s[48:49]
	s_cbranch_execz .LBB38_12
; %bb.11:                               ;   in Loop: Header=BB38_7 Depth=2
	v_mov_b32_e32 v4, v30
	v_mov_b32_e32 v5, v30
	ds_write_b64 v50, v[4:5]
.LBB38_12:                              ;   in Loop: Header=BB38_7 Depth=2
	s_andn2_saveexec_b64 s[48:49], s[48:49]
	s_cbranch_execz .LBB38_14
; %bb.13:                               ;   in Loop: Header=BB38_7 Depth=2
	ds_write_b64 v50, v[30:31]
.LBB38_14:                              ;   in Loop: Header=BB38_7 Depth=2
	s_or_b64 exec, exec, s[48:49]
.LBB38_15:                              ;   in Loop: Header=BB38_7 Depth=2
	s_or_b64 exec, exec, s[16:17]
	v_cmp_eq_u64_e64 s[16:17], s[20:21], v[20:21]
	s_and_b64 s[48:49], s[22:23], s[16:17]
	v_cmp_gt_i64_e64 s[16:17], v[14:15], v[0:1]
	s_or_b64 s[12:13], s[12:13], s[16:17]
	s_or_b64 s[12:13], s[12:13], s[48:49]
	;; [unrolled: 1-line block ×3, first 2 shown]
	s_xor_b64 s[12:13], s[12:13], -1
	s_and_saveexec_b64 s[16:17], s[12:13]
	s_xor_b64 s[12:13], exec, s[16:17]
	s_cbranch_execz .LBB38_17
; %bb.16:                               ;   in Loop: Header=BB38_7 Depth=2
	global_load_dwordx2 v[2:3], v[2:3], off offset:128
	s_waitcnt vmcnt(0)
	ds_write_b64 v50, v[2:3] offset:128
.LBB38_17:                              ;   in Loop: Header=BB38_7 Depth=2
	s_andn2_saveexec_b64 s[12:13], s[12:13]
	s_cbranch_execz .LBB38_23
; %bb.18:                               ;   in Loop: Header=BB38_7 Depth=2
	s_xor_b64 s[16:17], s[48:49], -1
	s_and_saveexec_b64 s[48:49], s[16:17]
	s_xor_b64 s[16:17], exec, s[48:49]
	s_cbranch_execz .LBB38_20
; %bb.19:                               ;   in Loop: Header=BB38_7 Depth=2
	v_mov_b32_e32 v2, v30
	v_mov_b32_e32 v3, v30
	ds_write_b64 v50, v[2:3] offset:128
.LBB38_20:                              ;   in Loop: Header=BB38_7 Depth=2
	s_andn2_saveexec_b64 s[16:17], s[16:17]
	s_cbranch_execz .LBB38_22
; %bb.21:                               ;   in Loop: Header=BB38_7 Depth=2
	ds_write_b64 v50, v[30:31] offset:128
.LBB38_22:                              ;   in Loop: Header=BB38_7 Depth=2
	s_or_b64 exec, exec, s[16:17]
.LBB38_23:                              ;   in Loop: Header=BB38_7 Depth=2
	s_or_b64 exec, exec, s[12:13]
	v_add_co_u32_e64 v0, s[12:13], 16, v0
	v_addc_co_u32_e64 v1, s[12:13], 0, v1, s[12:13]
	v_cmp_eq_u64_e64 s[16:17], s[20:21], v[22:23]
	v_cmp_le_i64_e64 s[12:13], s[40:41], v[0:1]
	s_and_b64 s[48:49], s[22:23], s[16:17]
	v_cmp_lt_i64_e64 s[16:17], v[0:1], v[10:11]
	s_or_b64 s[16:17], s[12:13], s[16:17]
	s_or_b64 s[16:17], s[16:17], s[48:49]
	;; [unrolled: 1-line block ×3, first 2 shown]
	s_xor_b64 s[16:17], s[16:17], -1
	s_and_saveexec_b64 s[50:51], s[16:17]
	s_xor_b64 s[50:51], exec, s[50:51]
	s_cbranch_execz .LBB38_25
; %bb.24:                               ;   in Loop: Header=BB38_7 Depth=2
	v_add_co_u32_e64 v0, s[16:17], v44, v24
	v_addc_co_u32_e64 v1, s[16:17], v45, v25, s[16:17]
	global_load_dwordx2 v[0:1], v[0:1], off
	s_waitcnt vmcnt(0)
	ds_write_b64 v50, v[0:1] offset:4096
.LBB38_25:                              ;   in Loop: Header=BB38_7 Depth=2
	s_andn2_saveexec_b64 s[16:17], s[50:51]
	s_cbranch_execz .LBB38_31
; %bb.26:                               ;   in Loop: Header=BB38_7 Depth=2
	s_xor_b64 s[48:49], s[48:49], -1
	s_and_saveexec_b64 s[50:51], s[48:49]
	s_xor_b64 s[48:49], exec, s[50:51]
	s_cbranch_execz .LBB38_28
; %bb.27:                               ;   in Loop: Header=BB38_7 Depth=2
	v_mov_b32_e32 v0, v30
	v_mov_b32_e32 v1, v30
	ds_write_b64 v50, v[0:1] offset:4096
.LBB38_28:                              ;   in Loop: Header=BB38_7 Depth=2
	s_andn2_saveexec_b64 s[48:49], s[48:49]
	s_cbranch_execz .LBB38_30
; %bb.29:                               ;   in Loop: Header=BB38_7 Depth=2
	ds_write_b64 v50, v[30:31] offset:4096
.LBB38_30:                              ;   in Loop: Header=BB38_7 Depth=2
	s_or_b64 exec, exec, s[48:49]
.LBB38_31:                              ;   in Loop: Header=BB38_7 Depth=2
	s_or_b64 exec, exec, s[16:17]
	s_or_b64 s[12:13], s[12:13], vcc
	s_or_b64 s[12:13], s[12:13], s[38:39]
	s_or_b64 s[12:13], s[2:3], s[12:13]
	s_xor_b64 s[12:13], s[12:13], -1
	s_and_saveexec_b64 s[16:17], s[12:13]
	s_xor_b64 s[12:13], exec, s[16:17]
	s_cbranch_execz .LBB38_33
; %bb.32:                               ;   in Loop: Header=BB38_7 Depth=2
	v_add_co_u32_e32 v0, vcc, v44, v24
	v_addc_co_u32_e32 v1, vcc, v45, v25, vcc
	global_load_dwordx2 v[0:1], v[0:1], off offset:128
	s_waitcnt vmcnt(0)
	ds_write_b64 v50, v[0:1] offset:4224
.LBB38_33:                              ;   in Loop: Header=BB38_7 Depth=2
	s_andn2_saveexec_b64 s[12:13], s[12:13]
	s_cbranch_execz .LBB38_39
; %bb.34:                               ;   in Loop: Header=BB38_7 Depth=2
	s_and_saveexec_b64 s[16:17], s[28:29]
	s_xor_b64 s[16:17], exec, s[16:17]
	s_cbranch_execz .LBB38_36
; %bb.35:                               ;   in Loop: Header=BB38_7 Depth=2
	v_mov_b32_e32 v0, v30
	v_mov_b32_e32 v1, v30
	ds_write_b64 v50, v[0:1] offset:4224
.LBB38_36:                              ;   in Loop: Header=BB38_7 Depth=2
	s_andn2_saveexec_b64 s[16:17], s[16:17]
	s_cbranch_execz .LBB38_38
; %bb.37:                               ;   in Loop: Header=BB38_7 Depth=2
	ds_write_b64 v50, v[30:31] offset:4224
.LBB38_38:                              ;   in Loop: Header=BB38_7 Depth=2
	s_or_b64 exec, exec, s[16:17]
.LBB38_39:                              ;   in Loop: Header=BB38_7 Depth=2
	s_or_b64 exec, exec, s[12:13]
	v_mov_b32_e32 v1, s21
	v_add_co_u32_e32 v0, vcc, s20, v10
	v_addc_co_u32_e32 v1, vcc, v11, v1, vcc
	v_cmp_gt_i64_e32 vcc, s[40:41], v[0:1]
	s_and_b64 s[12:13], s[8:9], vcc
	s_xor_b64 s[12:13], s[12:13], -1
	s_and_saveexec_b64 s[16:17], s[12:13]
	s_xor_b64 s[12:13], exec, s[16:17]
	s_cbranch_execz .LBB38_41
; %bb.40:                               ;   in Loop: Header=BB38_7 Depth=2
	v_mov_b32_e32 v2, v30
	v_mov_b32_e32 v3, v30
	ds_write_b64 v52, v[2:3]
.LBB38_41:                              ;   in Loop: Header=BB38_7 Depth=2
	s_or_saveexec_b64 s[16:17], s[12:13]
	v_add_co_u32_e64 v2, s[12:13], v40, v24
	v_addc_co_u32_e64 v3, s[12:13], v41, v25, s[12:13]
	s_xor_b64 exec, exec, s[16:17]
	s_cbranch_execz .LBB38_43
; %bb.42:                               ;   in Loop: Header=BB38_7 Depth=2
	global_load_dwordx2 v[4:5], v[2:3], off offset:-128
	s_waitcnt vmcnt(0)
	ds_write_b64 v52, v[4:5]
.LBB38_43:                              ;   in Loop: Header=BB38_7 Depth=2
	s_or_b64 exec, exec, s[16:17]
	v_cmp_gt_i64_e64 s[12:13], s[46:47], v[0:1]
	s_and_b64 s[16:17], s[8:9], s[12:13]
	s_xor_b64 s[16:17], s[16:17], -1
	s_and_saveexec_b64 s[28:29], s[16:17]
	s_xor_b64 s[16:17], exec, s[28:29]
	s_cbranch_execz .LBB38_45
; %bb.44:                               ;   in Loop: Header=BB38_7 Depth=2
	v_mov_b32_e32 v0, v30
	v_mov_b32_e32 v1, v30
	ds_write_b64 v52, v[0:1] offset:128
                                        ; implicit-def: $vgpr2_vgpr3
.LBB38_45:                              ;   in Loop: Header=BB38_7 Depth=2
	s_andn2_saveexec_b64 s[16:17], s[16:17]
	s_cbranch_execz .LBB38_47
; %bb.46:                               ;   in Loop: Header=BB38_7 Depth=2
	global_load_dwordx2 v[0:1], v[2:3], off
	s_waitcnt vmcnt(0)
	ds_write_b64 v52, v[0:1] offset:128
.LBB38_47:                              ;   in Loop: Header=BB38_7 Depth=2
	s_or_b64 exec, exec, s[16:17]
	s_and_b64 s[16:17], s[10:11], vcc
	s_xor_b64 s[16:17], s[16:17], -1
	s_and_saveexec_b64 s[28:29], s[16:17]
	s_xor_b64 s[16:17], exec, s[28:29]
	s_cbranch_execz .LBB38_49
; %bb.48:                               ;   in Loop: Header=BB38_7 Depth=2
	v_mov_b32_e32 v0, v30
	v_mov_b32_e32 v1, v30
	ds_write_b64 v52, v[0:1] offset:4096
.LBB38_49:                              ;   in Loop: Header=BB38_7 Depth=2
	s_andn2_saveexec_b64 s[16:17], s[16:17]
	s_cbranch_execz .LBB38_51
; %bb.50:                               ;   in Loop: Header=BB38_7 Depth=2
	v_add_co_u32_e32 v0, vcc, v42, v24
	v_addc_co_u32_e32 v1, vcc, v43, v25, vcc
	global_load_dwordx2 v[0:1], v[0:1], off offset:-128
	s_waitcnt vmcnt(0)
	ds_write_b64 v52, v[0:1] offset:4096
.LBB38_51:                              ;   in Loop: Header=BB38_7 Depth=2
	s_or_b64 exec, exec, s[16:17]
	s_and_b64 s[12:13], s[10:11], s[12:13]
	s_xor_b64 s[12:13], s[12:13], -1
	s_and_saveexec_b64 s[16:17], s[12:13]
	s_xor_b64 s[12:13], exec, s[16:17]
	s_cbranch_execz .LBB38_53
; %bb.52:                               ;   in Loop: Header=BB38_7 Depth=2
	v_mov_b32_e32 v0, v30
	v_mov_b32_e32 v1, v30
	ds_write_b64 v52, v[0:1] offset:4224
.LBB38_53:                              ;   in Loop: Header=BB38_7 Depth=2
	s_andn2_saveexec_b64 s[12:13], s[12:13]
	s_cbranch_execz .LBB38_6
; %bb.54:                               ;   in Loop: Header=BB38_7 Depth=2
	v_add_co_u32_e32 v0, vcc, v42, v24
	v_addc_co_u32_e32 v1, vcc, v43, v25, vcc
	global_load_dwordx2 v[0:1], v[0:1], off
	s_waitcnt vmcnt(0)
	ds_write_b64 v52, v[0:1] offset:4224
	s_branch .LBB38_6
.LBB38_55:                              ;   in Loop: Header=BB38_4 Depth=1
	v_mul_lo_u32 v2, v54, s44
	v_mul_lo_u32 v3, v53, s45
	v_mad_u64_u32 v[0:1], s[8:9], v53, s44, 0
	v_add3_u32 v1, v1, v3, v2
	v_lshlrev_b64 v[0:1], 3, v[0:1]
	v_mov_b32_e32 v2, s53
	v_add_co_u32_e64 v0, s[8:9], s52, v0
	v_cmp_gt_i32_e32 vcc, s30, v53
	v_addc_co_u32_e64 v1, s[8:9], v2, v1, s[8:9]
	s_and_b64 s[8:9], s[4:5], vcc
	s_and_saveexec_b64 s[10:11], s[8:9]
	s_cbranch_execz .LBB38_57
; %bb.56:                               ;   in Loop: Header=BB38_4 Depth=1
	v_add_co_u32_e64 v2, s[8:9], v0, v24
	v_addc_co_u32_e64 v3, s[8:9], v1, v25, s[8:9]
	global_load_dwordx2 v[4:5], v[2:3], off
	s_waitcnt vmcnt(0)
	v_fmac_f64_e32 v[4:5], s[34:35], v[38:39]
	global_store_dwordx2 v[2:3], v[4:5], off
.LBB38_57:                              ;   in Loop: Header=BB38_4 Depth=1
	s_or_b64 exec, exec, s[10:11]
	s_and_b64 s[10:11], s[14:15], vcc
	s_and_saveexec_b64 s[8:9], s[10:11]
	s_cbranch_execz .LBB38_59
; %bb.58:                               ;   in Loop: Header=BB38_4 Depth=1
	v_lshlrev_b64 v[2:3], 3, v[16:17]
	v_add_co_u32_e32 v0, vcc, v0, v2
	v_addc_co_u32_e32 v1, vcc, v1, v3, vcc
	global_load_dwordx2 v[2:3], v[0:1], off
	s_waitcnt vmcnt(0)
	v_fmac_f64_e32 v[2:3], s[34:35], v[36:37]
	global_store_dwordx2 v[0:1], v[2:3], off
.LBB38_59:                              ;   in Loop: Header=BB38_4 Depth=1
	s_or_b64 exec, exec, s[8:9]
	v_add_u32_e32 v0, 16, v53
	v_ashrrev_i32_e32 v1, 31, v0
	v_cmp_gt_i32_e32 vcc, s30, v0
	v_mul_lo_u32 v2, v1, s44
	v_mul_lo_u32 v3, v0, s45
	v_mad_u64_u32 v[0:1], s[8:9], v0, s44, 0
	v_add3_u32 v1, v1, v3, v2
	v_lshlrev_b64 v[0:1], 3, v[0:1]
	v_mov_b32_e32 v2, s53
	v_add_co_u32_e64 v0, s[8:9], s52, v0
	v_addc_co_u32_e64 v1, s[8:9], v2, v1, s[8:9]
	s_and_b64 s[8:9], s[4:5], vcc
	s_and_saveexec_b64 s[10:11], s[8:9]
	s_cbranch_execz .LBB38_61
; %bb.60:                               ;   in Loop: Header=BB38_4 Depth=1
	v_add_co_u32_e64 v2, s[8:9], v0, v24
	v_addc_co_u32_e64 v3, s[8:9], v1, v25, s[8:9]
	global_load_dwordx2 v[4:5], v[2:3], off
	s_waitcnt vmcnt(0)
	v_fmac_f64_e32 v[4:5], s[34:35], v[34:35]
	global_store_dwordx2 v[2:3], v[4:5], off
.LBB38_61:                              ;   in Loop: Header=BB38_4 Depth=1
	s_or_b64 exec, exec, s[10:11]
	s_and_b64 s[10:11], s[14:15], vcc
	s_and_saveexec_b64 s[8:9], s[10:11]
	s_cbranch_execz .LBB38_3
; %bb.62:                               ;   in Loop: Header=BB38_4 Depth=1
	v_lshlrev_b64 v[2:3], 3, v[16:17]
	v_add_co_u32_e32 v0, vcc, v0, v2
	v_addc_co_u32_e32 v1, vcc, v1, v3, vcc
	global_load_dwordx2 v[2:3], v[0:1], off
	s_waitcnt vmcnt(0)
	v_fmac_f64_e32 v[2:3], s[34:35], v[32:33]
	global_store_dwordx2 v[0:1], v[2:3], off
	s_branch .LBB38_3
.LBB38_63:
	s_endpgm
	.section	.rodata,"a",@progbits
	.p2align	6, 0x0
	.amdhsa_kernel _ZL30rocblas_trmm_outofplace_kernelIdLi32ELi2ELb1ELb1ELb0ELb0EPKdS0_dEv17rocblas_diagonal_iiT6_lPT7_lllS5_lllPT8_llli
		.amdhsa_group_segment_fixed_size 16384
		.amdhsa_private_segment_fixed_size 0
		.amdhsa_kernarg_size 392
		.amdhsa_user_sgpr_count 6
		.amdhsa_user_sgpr_private_segment_buffer 1
		.amdhsa_user_sgpr_dispatch_ptr 0
		.amdhsa_user_sgpr_queue_ptr 0
		.amdhsa_user_sgpr_kernarg_segment_ptr 1
		.amdhsa_user_sgpr_dispatch_id 0
		.amdhsa_user_sgpr_flat_scratch_init 0
		.amdhsa_user_sgpr_kernarg_preload_length 0
		.amdhsa_user_sgpr_kernarg_preload_offset 0
		.amdhsa_user_sgpr_private_segment_size 0
		.amdhsa_uses_dynamic_stack 0
		.amdhsa_system_sgpr_private_segment_wavefront_offset 0
		.amdhsa_system_sgpr_workgroup_id_x 1
		.amdhsa_system_sgpr_workgroup_id_y 1
		.amdhsa_system_sgpr_workgroup_id_z 1
		.amdhsa_system_sgpr_workgroup_info 0
		.amdhsa_system_vgpr_workitem_id 1
		.amdhsa_next_free_vgpr 80
		.amdhsa_next_free_sgpr 57
		.amdhsa_accum_offset 80
		.amdhsa_reserve_vcc 1
		.amdhsa_reserve_flat_scratch 0
		.amdhsa_float_round_mode_32 0
		.amdhsa_float_round_mode_16_64 0
		.amdhsa_float_denorm_mode_32 3
		.amdhsa_float_denorm_mode_16_64 3
		.amdhsa_dx10_clamp 1
		.amdhsa_ieee_mode 1
		.amdhsa_fp16_overflow 0
		.amdhsa_tg_split 0
		.amdhsa_exception_fp_ieee_invalid_op 0
		.amdhsa_exception_fp_denorm_src 0
		.amdhsa_exception_fp_ieee_div_zero 0
		.amdhsa_exception_fp_ieee_overflow 0
		.amdhsa_exception_fp_ieee_underflow 0
		.amdhsa_exception_fp_ieee_inexact 0
		.amdhsa_exception_int_div_zero 0
	.end_amdhsa_kernel
	.section	.text._ZL30rocblas_trmm_outofplace_kernelIdLi32ELi2ELb1ELb1ELb0ELb0EPKdS0_dEv17rocblas_diagonal_iiT6_lPT7_lllS5_lllPT8_llli,"axG",@progbits,_ZL30rocblas_trmm_outofplace_kernelIdLi32ELi2ELb1ELb1ELb0ELb0EPKdS0_dEv17rocblas_diagonal_iiT6_lPT7_lllS5_lllPT8_llli,comdat
.Lfunc_end38:
	.size	_ZL30rocblas_trmm_outofplace_kernelIdLi32ELi2ELb1ELb1ELb0ELb0EPKdS0_dEv17rocblas_diagonal_iiT6_lPT7_lllS5_lllPT8_llli, .Lfunc_end38-_ZL30rocblas_trmm_outofplace_kernelIdLi32ELi2ELb1ELb1ELb0ELb0EPKdS0_dEv17rocblas_diagonal_iiT6_lPT7_lllS5_lllPT8_llli
                                        ; -- End function
	.section	.AMDGPU.csdata,"",@progbits
; Kernel info:
; codeLenInByte = 3420
; NumSgprs: 61
; NumVgprs: 80
; NumAgprs: 0
; TotalNumVgprs: 80
; ScratchSize: 0
; MemoryBound: 1
; FloatMode: 240
; IeeeMode: 1
; LDSByteSize: 16384 bytes/workgroup (compile time only)
; SGPRBlocks: 7
; VGPRBlocks: 9
; NumSGPRsForWavesPerEU: 61
; NumVGPRsForWavesPerEU: 80
; AccumOffset: 80
; Occupancy: 6
; WaveLimiterHint : 0
; COMPUTE_PGM_RSRC2:SCRATCH_EN: 0
; COMPUTE_PGM_RSRC2:USER_SGPR: 6
; COMPUTE_PGM_RSRC2:TRAP_HANDLER: 0
; COMPUTE_PGM_RSRC2:TGID_X_EN: 1
; COMPUTE_PGM_RSRC2:TGID_Y_EN: 1
; COMPUTE_PGM_RSRC2:TGID_Z_EN: 1
; COMPUTE_PGM_RSRC2:TIDIG_COMP_CNT: 1
; COMPUTE_PGM_RSRC3_GFX90A:ACCUM_OFFSET: 19
; COMPUTE_PGM_RSRC3_GFX90A:TG_SPLIT: 0
	.section	.text._ZL30rocblas_trmm_outofplace_kernelIdLi32ELi2ELb1ELb1ELb0ELb0EdKddEv17rocblas_diagonal_iiT6_lPT7_lllS4_lllPT8_llli,"axG",@progbits,_ZL30rocblas_trmm_outofplace_kernelIdLi32ELi2ELb1ELb1ELb0ELb0EdKddEv17rocblas_diagonal_iiT6_lPT7_lllS4_lllPT8_llli,comdat
	.globl	_ZL30rocblas_trmm_outofplace_kernelIdLi32ELi2ELb1ELb1ELb0ELb0EdKddEv17rocblas_diagonal_iiT6_lPT7_lllS4_lllPT8_llli ; -- Begin function _ZL30rocblas_trmm_outofplace_kernelIdLi32ELi2ELb1ELb1ELb0ELb0EdKddEv17rocblas_diagonal_iiT6_lPT7_lllS4_lllPT8_llli
	.p2align	8
	.type	_ZL30rocblas_trmm_outofplace_kernelIdLi32ELi2ELb1ELb1ELb0ELb0EdKddEv17rocblas_diagonal_iiT6_lPT7_lllS4_lllPT8_llli,@function
_ZL30rocblas_trmm_outofplace_kernelIdLi32ELi2ELb1ELb1ELb0ELb0EdKddEv17rocblas_diagonal_iiT6_lPT7_lllS4_lllPT8_llli: ; @_ZL30rocblas_trmm_outofplace_kernelIdLi32ELi2ELb1ELb1ELb0ELb0EdKddEv17rocblas_diagonal_iiT6_lPT7_lllS4_lllPT8_llli
; %bb.0:
	s_load_dwordx2 s[34:35], s[4:5], 0x10
	s_waitcnt lgkmcnt(0)
	v_cmp_eq_f64_e64 s[0:1], s[34:35], 0
	s_and_b64 vcc, exec, s[0:1]
	s_cbranch_vccnz .LBB39_63
; %bb.1:
	s_load_dwordx4 s[28:31], s[4:5], 0x0
	s_waitcnt lgkmcnt(0)
	s_add_i32 s0, s30, -1
	s_ashr_i32 s1, s0, 31
	s_lshr_b32 s1, s1, 27
	s_add_i32 s0, s0, s1
	s_ashr_i32 s31, s0, 5
	s_cmp_gt_i32 s7, s31
	s_cbranch_scc1 .LBB39_63
; %bb.2:
	s_load_dwordx16 s[12:27], s[4:5], 0x20
	s_load_dwordx8 s[36:43], s[4:5], 0x60
	v_bfe_u32 v48, v0, 10, 10
	v_and_b32_e32 v2, 0x3ff, v0
	s_load_dword s54, s[4:5], 0x8c
	s_waitcnt lgkmcnt(0)
	s_mul_i32 s1, s8, s19
	s_mul_hi_u32 s2, s8, s18
	s_mul_i32 s0, s8, s18
	s_add_i32 s1, s2, s1
	s_lshl_b64 s[10:11], s[0:1], 3
	s_add_u32 s0, s12, s10
	s_addc_u32 s1, s13, s11
	s_lshl_b64 s[46:47], s[14:15], 3
	s_add_u32 s2, s0, s46
	s_addc_u32 s3, s1, s47
	s_mul_i32 s0, s8, s43
	s_mul_hi_u32 s1, s8, s42
	s_add_i32 s1, s1, s0
	s_mul_i32 s0, s8, s42
	s_lshl_b64 s[0:1], s[0:1], 3
	s_add_u32 s9, s36, s0
	s_addc_u32 s14, s37, s1
	s_lshl_b64 s[0:1], s[38:39], 3
	s_add_u32 s33, s9, s0
	s_addc_u32 s52, s14, s1
	s_lshl_b32 s6, s6, 5
	v_add_u32_e32 v8, s6, v48
	v_ashrrev_i32_e32 v9, 31, v8
	v_add_u32_e32 v10, s6, v2
	v_mul_lo_u32 v3, v9, s16
	v_mul_lo_u32 v4, v8, s17
	v_mad_u64_u32 v[0:1], s[0:1], v8, s16, 0
	s_sub_i32 s6, s29, s6
	v_add3_u32 v1, v1, v4, v3
	s_cmp_gt_i32 s6, 0
	v_lshlrev_b64 v[0:1], 3, v[0:1]
	s_cselect_b64 s[18:19], -1, 0
	s_cmpk_eq_i32 s28, 0x84
	v_mov_b32_e32 v3, s3
	v_add_co_u32_e32 v12, vcc, s2, v0
	s_cselect_b64 s[36:37], -1, 0
	s_ashr_i32 s39, s29, 31
	s_ashr_i32 s53, s30, 31
	s_lshl_b64 s[42:43], s[16:17], 8
	v_addc_co_u32_e32 v13, vcc, v3, v1, vcc
	s_add_u32 s44, s29, -16
	s_mul_i32 s9, s27, s8
	s_mul_hi_u32 s27, s26, s8
	v_ashrrev_i32_e32 v11, 31, v10
	v_add_co_u32_e32 v14, vcc, 16, v10
	s_addc_u32 s45, s39, -1
	s_add_i32 s9, s27, s9
	s_mul_i32 s8, s26, s8
	v_addc_co_u32_e32 v15, vcc, 0, v11, vcc
	s_lshl_b64 s[8:9], s[8:9], 3
	s_lshl_b64 s[22:23], s[22:23], 3
	v_sub_co_u32_e32 v18, vcc, v10, v8
	s_add_u32 s8, s8, s22
	v_subb_co_u32_e32 v19, vcc, v11, v9, vcc
	s_addc_u32 s9, s9, s23
	v_add_co_u32_e32 v20, vcc, 16, v18
	s_add_u32 s8, s8, s20
	v_addc_co_u32_e32 v21, vcc, 0, v19, vcc
	s_addc_u32 s9, s9, s21
	v_lshlrev_b32_e32 v0, 8, v48
	v_lshlrev_b32_e32 v49, 3, v2
	v_add_co_u32_e32 v22, vcc, -16, v18
	s_add_u32 s20, s8, 0x80
	v_add_u32_e32 v50, v49, v0
	v_add_u32_e32 v51, 0x2000, v0
	v_addc_co_u32_e32 v23, vcc, -1, v19, vcc
	s_addc_u32 s21, s9, 0
	s_lshl_b64 s[22:23], s[24:25], 3
	s_lshl_b32 s55, s54, 5
	v_lshlrev_b64 v[0:1], 3, v[8:9]
	s_movk_i32 s8, 0x80
	v_add_co_u32_e32 v2, vcc, s8, v0
	s_add_u32 s8, s12, s46
	s_addc_u32 s9, s13, s47
	s_add_u32 s8, s8, s10
	s_addc_u32 s9, s9, s11
	v_addc_co_u32_e32 v3, vcc, 0, v1, vcc
	v_pk_mov_b32 v[0:1], s[8:9], s[8:9] op_sel:[0,1]
	s_mov_b32 s38, s29
	v_add_u32_e32 v16, 16, v10
	v_mad_u64_u32 v[28:29], s[8:9], s16, v2, v[0:1]
	v_mul_lo_u32 v0, s16, v3
	v_mul_lo_u32 v1, s17, v2
	v_cmp_le_i32_e64 s[0:1], s29, v10
	v_cmp_le_i64_e64 s[2:3], s[38:39], v[14:15]
	v_add_u32_e32 v52, v51, v49
	v_cmp_gt_i32_e64 s[4:5], s29, v10
	v_cmp_gt_i32_e64 s[14:15], s29, v16
	v_ashrrev_i32_e32 v17, 31, v16
	v_lshlrev_b64 v[24:25], 3, v[10:11]
	v_lshl_add_u32 v26, s7, 5, v48
	v_add3_u32 v29, v1, v29, v0
	v_mov_b32_e32 v30, 0
	v_mov_b32_e32 v31, 0x3ff00000
	s_movk_i32 s56, 0x100
	s_branch .LBB39_4
.LBB39_3:                               ;   in Loop: Header=BB39_4 Depth=1
	s_or_b64 exec, exec, s[8:9]
	s_add_i32 s7, s54, s7
	s_cmp_le_i32 s7, s31
	v_add_u32_e32 v26, s55, v26
	s_cbranch_scc0 .LBB39_63
.LBB39_4:                               ; =>This Loop Header: Depth=1
                                        ;     Child Loop BB39_7 Depth 2
	v_lshl_add_u32 v53, s7, 5, v48
	v_pk_mov_b32 v[38:39], 0, 0
	v_ashrrev_i32_e32 v54, 31, v53
	s_mov_b64 s[26:27], 0
	s_andn2_b64 vcc, exec, s[18:19]
	v_pk_mov_b32 v[36:37], v[38:39], v[38:39] op_sel:[0,1]
	v_pk_mov_b32 v[34:35], v[38:39], v[38:39] op_sel:[0,1]
	;; [unrolled: 1-line block ×3, first 2 shown]
	s_cbranch_vccnz .LBB39_55
; %bb.5:                                ;   in Loop: Header=BB39_4 Depth=1
	v_ashrrev_i32_e32 v27, 31, v26
	v_pk_mov_b32 v[0:1], s[20:21], s[20:21] op_sel:[0,1]
	v_mad_u64_u32 v[40:41], s[8:9], s22, v26, v[0:1]
	v_mul_lo_u32 v2, s23, v26
	v_mul_lo_u32 v3, s22, v27
	v_add3_u32 v41, v2, v41, v3
	v_lshlrev_b64 v[2:3], 3, v[26:27]
	v_add_co_u32_e32 v2, vcc, 0x80, v2
	v_addc_co_u32_e32 v3, vcc, 0, v3, vcc
	v_mad_u64_u32 v[42:43], s[8:9], s24, v2, v[0:1]
	v_mov_b32_e32 v1, s53
	v_sub_co_u32_e32 v0, vcc, s30, v53
	v_mul_lo_u32 v3, s24, v3
	v_mul_lo_u32 v4, s25, v2
	v_subb_co_u32_e32 v1, vcc, v1, v54, vcc
	v_pk_mov_b32 v[32:33], 0, 0
	v_add3_u32 v43, v4, v43, v3
	v_cmp_lt_i64_e64 s[8:9], 0, v[0:1]
	v_cmp_lt_i64_e64 s[10:11], 16, v[0:1]
	v_pk_mov_b32 v[44:45], v[28:29], v[28:29] op_sel:[0,1]
	v_pk_mov_b32 v[46:47], v[12:13], v[12:13] op_sel:[0,1]
	;; [unrolled: 1-line block ×5, first 2 shown]
	s_branch .LBB39_7
.LBB39_6:                               ;   in Loop: Header=BB39_7 Depth=2
	s_or_b64 exec, exec, s[12:13]
	s_waitcnt lgkmcnt(0)
	s_barrier
	ds_read2_b64 v[56:59], v49 offset1:16
	ds_read_b128 v[60:63], v51
	ds_read_b128 v[64:67], v51 offset:16
	ds_read_b128 v[4:7], v51 offset:32
	;; [unrolled: 1-line block ×4, first 2 shown]
	ds_read2_b64 v[72:75], v49 offset0:32 offset1:48
	s_waitcnt lgkmcnt(5)
	v_fmac_f64_e32 v[38:39], v[56:57], v[60:61]
	v_fmac_f64_e32 v[36:37], v[58:59], v[60:61]
	ds_read_b128 v[76:79], v51 offset:4112
	s_waitcnt lgkmcnt(2)
	v_fmac_f64_e32 v[34:35], v[56:57], v[68:69]
	v_fmac_f64_e32 v[32:33], v[58:59], v[68:69]
	ds_read2_b64 v[56:59], v49 offset0:64 offset1:80
	s_waitcnt lgkmcnt(2)
	v_fmac_f64_e32 v[38:39], v[72:73], v[62:63]
	v_fmac_f64_e32 v[36:37], v[74:75], v[62:63]
	ds_read2_b64 v[60:63], v49 offset0:96 offset1:112
	v_fmac_f64_e32 v[34:35], v[72:73], v[70:71]
	v_fmac_f64_e32 v[32:33], v[74:75], v[70:71]
	ds_read_b128 v[68:71], v51 offset:4144
	s_waitcnt lgkmcnt(2)
	v_fmac_f64_e32 v[38:39], v[56:57], v[64:65]
	v_fmac_f64_e32 v[36:37], v[58:59], v[64:65]
	;; [unrolled: 1-line block ×4, first 2 shown]
	s_waitcnt lgkmcnt(1)
	v_fmac_f64_e32 v[38:39], v[60:61], v[66:67]
	ds_read2_b64 v[56:59], v49 offset0:128 offset1:144
	v_fmac_f64_e32 v[36:37], v[62:63], v[66:67]
	v_fmac_f64_e32 v[34:35], v[60:61], v[78:79]
	;; [unrolled: 1-line block ×3, first 2 shown]
	ds_read_b128 v[60:63], v51 offset:4128
	ds_read2_b64 v[64:67], v49 offset0:160 offset1:176
	s_waitcnt lgkmcnt(2)
	v_fmac_f64_e32 v[38:39], v[56:57], v[4:5]
	v_fmac_f64_e32 v[36:37], v[58:59], v[4:5]
	v_add_u32_e32 v27, 0x800, v49
	s_waitcnt lgkmcnt(1)
	v_fmac_f64_e32 v[34:35], v[56:57], v[60:61]
	v_fmac_f64_e32 v[32:33], v[58:59], v[60:61]
	ds_read2_b64 v[56:59], v49 offset0:192 offset1:208
	s_waitcnt lgkmcnt(1)
	v_fmac_f64_e32 v[38:39], v[64:65], v[6:7]
	v_fmac_f64_e32 v[36:37], v[66:67], v[6:7]
	ds_read2_b64 v[4:7], v49 offset0:224 offset1:240
	v_fmac_f64_e32 v[34:35], v[64:65], v[62:63]
	v_fmac_f64_e32 v[32:33], v[66:67], v[62:63]
	s_waitcnt lgkmcnt(1)
	v_fmac_f64_e32 v[38:39], v[56:57], v[0:1]
	v_fmac_f64_e32 v[36:37], v[58:59], v[0:1]
	;; [unrolled: 1-line block ×4, first 2 shown]
	s_waitcnt lgkmcnt(0)
	v_fmac_f64_e32 v[38:39], v[4:5], v[2:3]
	v_fmac_f64_e32 v[36:37], v[6:7], v[2:3]
	ds_read2_b64 v[0:3], v27 offset1:16
	ds_read_b128 v[56:59], v51 offset:64
	v_fmac_f64_e32 v[34:35], v[4:5], v[70:71]
	v_fmac_f64_e32 v[32:33], v[6:7], v[70:71]
	ds_read_b128 v[4:7], v51 offset:80
	ds_read_b128 v[60:63], v51 offset:4160
	ds_read2_b64 v[64:67], v27 offset0:32 offset1:48
	s_waitcnt lgkmcnt(3)
	v_fmac_f64_e32 v[38:39], v[0:1], v[56:57]
	v_fmac_f64_e32 v[36:37], v[2:3], v[56:57]
	ds_read_b128 v[68:71], v51 offset:4176
	s_waitcnt lgkmcnt(2)
	v_fmac_f64_e32 v[34:35], v[0:1], v[60:61]
	v_fmac_f64_e32 v[32:33], v[2:3], v[60:61]
	ds_read2_b64 v[0:3], v27 offset0:64 offset1:80
	s_waitcnt lgkmcnt(2)
	v_fmac_f64_e32 v[38:39], v[64:65], v[58:59]
	v_fmac_f64_e32 v[36:37], v[66:67], v[58:59]
	ds_read2_b64 v[56:59], v27 offset0:96 offset1:112
	v_fmac_f64_e32 v[34:35], v[64:65], v[62:63]
	v_fmac_f64_e32 v[32:33], v[66:67], v[62:63]
	s_waitcnt lgkmcnt(1)
	v_fmac_f64_e32 v[38:39], v[0:1], v[4:5]
	v_fmac_f64_e32 v[36:37], v[2:3], v[4:5]
	;; [unrolled: 1-line block ×4, first 2 shown]
	s_waitcnt lgkmcnt(0)
	v_fmac_f64_e32 v[38:39], v[56:57], v[6:7]
	v_fmac_f64_e32 v[36:37], v[58:59], v[6:7]
	ds_read2_b64 v[0:3], v27 offset0:128 offset1:144
	ds_read_b128 v[4:7], v51 offset:96
	v_fmac_f64_e32 v[34:35], v[56:57], v[70:71]
	v_fmac_f64_e32 v[32:33], v[58:59], v[70:71]
	ds_read_b128 v[56:59], v51 offset:112
	ds_read_b128 v[60:63], v51 offset:4192
	ds_read2_b64 v[64:67], v27 offset0:160 offset1:176
	s_waitcnt lgkmcnt(3)
	v_fmac_f64_e32 v[38:39], v[0:1], v[4:5]
	v_fmac_f64_e32 v[36:37], v[2:3], v[4:5]
	ds_read_b128 v[68:71], v51 offset:4208
	s_waitcnt lgkmcnt(2)
	v_fmac_f64_e32 v[34:35], v[0:1], v[60:61]
	v_fmac_f64_e32 v[32:33], v[2:3], v[60:61]
	ds_read2_b64 v[0:3], v27 offset0:192 offset1:208
	s_waitcnt lgkmcnt(2)
	v_fmac_f64_e32 v[38:39], v[64:65], v[6:7]
	v_fmac_f64_e32 v[36:37], v[66:67], v[6:7]
	ds_read2_b64 v[4:7], v27 offset0:224 offset1:240
	v_fmac_f64_e32 v[34:35], v[64:65], v[62:63]
	v_fmac_f64_e32 v[32:33], v[66:67], v[62:63]
	s_waitcnt lgkmcnt(1)
	v_fmac_f64_e32 v[38:39], v[0:1], v[56:57]
	v_fmac_f64_e32 v[36:37], v[2:3], v[56:57]
	;; [unrolled: 1-line block ×4, first 2 shown]
	v_add_u32_e32 v27, 0x1000, v49
	s_waitcnt lgkmcnt(0)
	v_fmac_f64_e32 v[38:39], v[4:5], v[58:59]
	v_fmac_f64_e32 v[36:37], v[6:7], v[58:59]
	ds_read2_b64 v[0:3], v27 offset1:16
	ds_read_b128 v[56:59], v51 offset:128
	v_fmac_f64_e32 v[34:35], v[4:5], v[70:71]
	v_fmac_f64_e32 v[32:33], v[6:7], v[70:71]
	ds_read_b128 v[4:7], v51 offset:144
	ds_read_b128 v[60:63], v51 offset:4224
	ds_read2_b64 v[64:67], v27 offset0:32 offset1:48
	s_waitcnt lgkmcnt(3)
	v_fmac_f64_e32 v[38:39], v[0:1], v[56:57]
	v_fmac_f64_e32 v[36:37], v[2:3], v[56:57]
	ds_read_b128 v[68:71], v51 offset:4240
	s_waitcnt lgkmcnt(2)
	v_fmac_f64_e32 v[34:35], v[0:1], v[60:61]
	v_fmac_f64_e32 v[32:33], v[2:3], v[60:61]
	ds_read2_b64 v[0:3], v27 offset0:64 offset1:80
	s_waitcnt lgkmcnt(2)
	v_fmac_f64_e32 v[38:39], v[64:65], v[58:59]
	v_fmac_f64_e32 v[36:37], v[66:67], v[58:59]
	ds_read2_b64 v[56:59], v27 offset0:96 offset1:112
	v_fmac_f64_e32 v[34:35], v[64:65], v[62:63]
	v_fmac_f64_e32 v[32:33], v[66:67], v[62:63]
	s_waitcnt lgkmcnt(1)
	v_fmac_f64_e32 v[38:39], v[0:1], v[4:5]
	v_fmac_f64_e32 v[36:37], v[2:3], v[4:5]
	;; [unrolled: 1-line block ×4, first 2 shown]
	s_waitcnt lgkmcnt(0)
	v_fmac_f64_e32 v[38:39], v[56:57], v[6:7]
	v_fmac_f64_e32 v[36:37], v[58:59], v[6:7]
	ds_read2_b64 v[0:3], v27 offset0:128 offset1:144
	ds_read_b128 v[4:7], v51 offset:160
	v_fmac_f64_e32 v[34:35], v[56:57], v[70:71]
	v_fmac_f64_e32 v[32:33], v[58:59], v[70:71]
	ds_read_b128 v[56:59], v51 offset:176
	ds_read_b128 v[60:63], v51 offset:4256
	ds_read2_b64 v[64:67], v27 offset0:160 offset1:176
	s_waitcnt lgkmcnt(3)
	v_fmac_f64_e32 v[38:39], v[0:1], v[4:5]
	v_fmac_f64_e32 v[36:37], v[2:3], v[4:5]
	ds_read_b128 v[68:71], v51 offset:4272
	s_waitcnt lgkmcnt(2)
	v_fmac_f64_e32 v[34:35], v[0:1], v[60:61]
	v_fmac_f64_e32 v[32:33], v[2:3], v[60:61]
	ds_read2_b64 v[0:3], v27 offset0:192 offset1:208
	s_waitcnt lgkmcnt(2)
	v_fmac_f64_e32 v[38:39], v[64:65], v[6:7]
	v_fmac_f64_e32 v[36:37], v[66:67], v[6:7]
	ds_read2_b64 v[4:7], v27 offset0:224 offset1:240
	v_fmac_f64_e32 v[34:35], v[64:65], v[62:63]
	v_fmac_f64_e32 v[32:33], v[66:67], v[62:63]
	s_waitcnt lgkmcnt(1)
	v_fmac_f64_e32 v[38:39], v[0:1], v[56:57]
	v_fmac_f64_e32 v[36:37], v[2:3], v[56:57]
	;; [unrolled: 1-line block ×4, first 2 shown]
	v_add_u32_e32 v27, 0x1800, v49
	s_waitcnt lgkmcnt(0)
	v_fmac_f64_e32 v[38:39], v[4:5], v[58:59]
	v_fmac_f64_e32 v[36:37], v[6:7], v[58:59]
	ds_read2_b64 v[0:3], v27 offset1:16
	ds_read_b128 v[56:59], v51 offset:192
	v_fmac_f64_e32 v[34:35], v[4:5], v[70:71]
	v_fmac_f64_e32 v[32:33], v[6:7], v[70:71]
	ds_read_b128 v[4:7], v51 offset:208
	ds_read_b128 v[60:63], v51 offset:4288
	ds_read2_b64 v[64:67], v27 offset0:32 offset1:48
	s_waitcnt lgkmcnt(3)
	v_fmac_f64_e32 v[38:39], v[0:1], v[56:57]
	v_fmac_f64_e32 v[36:37], v[2:3], v[56:57]
	ds_read_b128 v[68:71], v51 offset:4304
	s_waitcnt lgkmcnt(2)
	v_fmac_f64_e32 v[34:35], v[0:1], v[60:61]
	v_fmac_f64_e32 v[32:33], v[2:3], v[60:61]
	ds_read2_b64 v[0:3], v27 offset0:64 offset1:80
	s_waitcnt lgkmcnt(2)
	v_fmac_f64_e32 v[38:39], v[64:65], v[58:59]
	v_fmac_f64_e32 v[36:37], v[66:67], v[58:59]
	ds_read2_b64 v[56:59], v27 offset0:96 offset1:112
	v_fmac_f64_e32 v[34:35], v[64:65], v[62:63]
	v_fmac_f64_e32 v[32:33], v[66:67], v[62:63]
	s_waitcnt lgkmcnt(1)
	v_fmac_f64_e32 v[38:39], v[0:1], v[4:5]
	v_fmac_f64_e32 v[36:37], v[2:3], v[4:5]
	;; [unrolled: 1-line block ×4, first 2 shown]
	s_waitcnt lgkmcnt(0)
	v_fmac_f64_e32 v[38:39], v[56:57], v[6:7]
	v_fmac_f64_e32 v[36:37], v[58:59], v[6:7]
	ds_read2_b64 v[0:3], v27 offset0:128 offset1:144
	ds_read_b128 v[4:7], v51 offset:224
	v_fmac_f64_e32 v[34:35], v[56:57], v[70:71]
	v_fmac_f64_e32 v[32:33], v[58:59], v[70:71]
	ds_read_b128 v[56:59], v51 offset:240
	ds_read_b128 v[60:63], v51 offset:4320
	ds_read2_b64 v[64:67], v27 offset0:160 offset1:176
	s_waitcnt lgkmcnt(3)
	v_fmac_f64_e32 v[38:39], v[0:1], v[4:5]
	v_fmac_f64_e32 v[36:37], v[2:3], v[4:5]
	ds_read_b128 v[68:71], v51 offset:4336
	s_waitcnt lgkmcnt(2)
	v_fmac_f64_e32 v[34:35], v[0:1], v[60:61]
	v_fmac_f64_e32 v[32:33], v[2:3], v[60:61]
	ds_read2_b64 v[0:3], v27 offset0:192 offset1:208
	v_add_co_u32_e32 v40, vcc, s56, v40
	s_waitcnt lgkmcnt(2)
	v_fmac_f64_e32 v[38:39], v[64:65], v[6:7]
	v_fmac_f64_e32 v[34:35], v[64:65], v[62:63]
	v_addc_co_u32_e32 v41, vcc, 0, v41, vcc
	v_fmac_f64_e32 v[36:37], v[66:67], v[6:7]
	ds_read2_b64 v[4:7], v27 offset0:224 offset1:240
	s_waitcnt lgkmcnt(1)
	v_fmac_f64_e32 v[38:39], v[0:1], v[56:57]
	v_fmac_f64_e32 v[34:35], v[0:1], v[68:69]
	v_mov_b32_e32 v0, s43
	v_add_co_u32_e32 v46, vcc, s42, v46
	v_addc_co_u32_e32 v47, vcc, v47, v0, vcc
	v_add_co_u32_e32 v44, vcc, s42, v44
	v_fmac_f64_e32 v[32:33], v[66:67], v[62:63]
	s_add_u32 s26, s26, 32
	v_addc_co_u32_e32 v45, vcc, v45, v0, vcc
	v_fmac_f64_e32 v[36:37], v[2:3], v[56:57]
	v_fmac_f64_e32 v[32:33], v[2:3], v[68:69]
	s_addc_u32 s27, s27, 0
	v_add_co_u32_e32 v42, vcc, 0x100, v42
	s_waitcnt lgkmcnt(0)
	v_fmac_f64_e32 v[38:39], v[4:5], v[58:59]
	v_fmac_f64_e32 v[36:37], v[6:7], v[58:59]
	;; [unrolled: 1-line block ×4, first 2 shown]
	s_cmp_ge_i32 s26, s6
	v_addc_co_u32_e32 v43, vcc, 0, v43, vcc
	s_barrier
	s_cbranch_scc1 .LBB39_55
.LBB39_7:                               ;   Parent Loop BB39_4 Depth=1
                                        ; =>  This Inner Loop Header: Depth=2
	v_mov_b32_e32 v1, s27
	v_add_co_u32_e32 v0, vcc, s26, v8
	v_addc_co_u32_e32 v1, vcc, v9, v1, vcc
	v_add_co_u32_e32 v2, vcc, v46, v24
	v_addc_co_u32_e32 v3, vcc, v47, v25, vcc
	v_cmp_eq_u64_e32 vcc, s[26:27], v[18:19]
	v_cmp_le_i64_e64 s[12:13], s[38:39], v[0:1]
	s_and_b64 s[46:47], s[36:37], vcc
	v_cmp_lt_i64_e32 vcc, v[0:1], v[10:11]
	s_or_b64 s[16:17], s[12:13], vcc
	s_or_b64 s[16:17], s[16:17], s[46:47]
	s_or_b64 s[16:17], s[0:1], s[16:17]
	s_xor_b64 s[16:17], s[16:17], -1
	s_and_saveexec_b64 s[28:29], s[16:17]
	s_xor_b64 s[16:17], exec, s[28:29]
	s_cbranch_execz .LBB39_9
; %bb.8:                                ;   in Loop: Header=BB39_7 Depth=2
	global_load_dwordx2 v[4:5], v[2:3], off
	s_waitcnt vmcnt(0)
	ds_write_b64 v50, v[4:5]
.LBB39_9:                               ;   in Loop: Header=BB39_7 Depth=2
	s_or_saveexec_b64 s[16:17], s[16:17]
	s_xor_b64 s[28:29], s[46:47], -1
	s_xor_b64 exec, exec, s[16:17]
	s_cbranch_execz .LBB39_15
; %bb.10:                               ;   in Loop: Header=BB39_7 Depth=2
	s_and_saveexec_b64 s[48:49], s[28:29]
	s_xor_b64 s[48:49], exec, s[48:49]
	s_cbranch_execz .LBB39_12
; %bb.11:                               ;   in Loop: Header=BB39_7 Depth=2
	v_mov_b32_e32 v4, v30
	v_mov_b32_e32 v5, v30
	ds_write_b64 v50, v[4:5]
.LBB39_12:                              ;   in Loop: Header=BB39_7 Depth=2
	s_andn2_saveexec_b64 s[48:49], s[48:49]
	s_cbranch_execz .LBB39_14
; %bb.13:                               ;   in Loop: Header=BB39_7 Depth=2
	ds_write_b64 v50, v[30:31]
.LBB39_14:                              ;   in Loop: Header=BB39_7 Depth=2
	s_or_b64 exec, exec, s[48:49]
.LBB39_15:                              ;   in Loop: Header=BB39_7 Depth=2
	s_or_b64 exec, exec, s[16:17]
	v_cmp_eq_u64_e64 s[16:17], s[26:27], v[20:21]
	s_and_b64 s[48:49], s[36:37], s[16:17]
	v_cmp_gt_i64_e64 s[16:17], v[14:15], v[0:1]
	s_or_b64 s[12:13], s[12:13], s[16:17]
	s_or_b64 s[12:13], s[12:13], s[48:49]
	;; [unrolled: 1-line block ×3, first 2 shown]
	s_xor_b64 s[12:13], s[12:13], -1
	s_and_saveexec_b64 s[16:17], s[12:13]
	s_xor_b64 s[12:13], exec, s[16:17]
	s_cbranch_execz .LBB39_17
; %bb.16:                               ;   in Loop: Header=BB39_7 Depth=2
	global_load_dwordx2 v[2:3], v[2:3], off offset:128
	s_waitcnt vmcnt(0)
	ds_write_b64 v50, v[2:3] offset:128
.LBB39_17:                              ;   in Loop: Header=BB39_7 Depth=2
	s_andn2_saveexec_b64 s[12:13], s[12:13]
	s_cbranch_execz .LBB39_23
; %bb.18:                               ;   in Loop: Header=BB39_7 Depth=2
	s_xor_b64 s[16:17], s[48:49], -1
	s_and_saveexec_b64 s[48:49], s[16:17]
	s_xor_b64 s[16:17], exec, s[48:49]
	s_cbranch_execz .LBB39_20
; %bb.19:                               ;   in Loop: Header=BB39_7 Depth=2
	v_mov_b32_e32 v2, v30
	v_mov_b32_e32 v3, v30
	ds_write_b64 v50, v[2:3] offset:128
.LBB39_20:                              ;   in Loop: Header=BB39_7 Depth=2
	s_andn2_saveexec_b64 s[16:17], s[16:17]
	s_cbranch_execz .LBB39_22
; %bb.21:                               ;   in Loop: Header=BB39_7 Depth=2
	ds_write_b64 v50, v[30:31] offset:128
.LBB39_22:                              ;   in Loop: Header=BB39_7 Depth=2
	s_or_b64 exec, exec, s[16:17]
.LBB39_23:                              ;   in Loop: Header=BB39_7 Depth=2
	s_or_b64 exec, exec, s[12:13]
	v_add_co_u32_e64 v0, s[12:13], 16, v0
	v_addc_co_u32_e64 v1, s[12:13], 0, v1, s[12:13]
	v_cmp_eq_u64_e64 s[16:17], s[26:27], v[22:23]
	v_cmp_le_i64_e64 s[12:13], s[38:39], v[0:1]
	s_and_b64 s[48:49], s[36:37], s[16:17]
	v_cmp_lt_i64_e64 s[16:17], v[0:1], v[10:11]
	s_or_b64 s[16:17], s[12:13], s[16:17]
	s_or_b64 s[16:17], s[16:17], s[48:49]
	;; [unrolled: 1-line block ×3, first 2 shown]
	s_xor_b64 s[16:17], s[16:17], -1
	s_and_saveexec_b64 s[50:51], s[16:17]
	s_xor_b64 s[50:51], exec, s[50:51]
	s_cbranch_execz .LBB39_25
; %bb.24:                               ;   in Loop: Header=BB39_7 Depth=2
	v_add_co_u32_e64 v0, s[16:17], v44, v24
	v_addc_co_u32_e64 v1, s[16:17], v45, v25, s[16:17]
	global_load_dwordx2 v[0:1], v[0:1], off
	s_waitcnt vmcnt(0)
	ds_write_b64 v50, v[0:1] offset:4096
.LBB39_25:                              ;   in Loop: Header=BB39_7 Depth=2
	s_andn2_saveexec_b64 s[16:17], s[50:51]
	s_cbranch_execz .LBB39_31
; %bb.26:                               ;   in Loop: Header=BB39_7 Depth=2
	s_xor_b64 s[48:49], s[48:49], -1
	s_and_saveexec_b64 s[50:51], s[48:49]
	s_xor_b64 s[48:49], exec, s[50:51]
	s_cbranch_execz .LBB39_28
; %bb.27:                               ;   in Loop: Header=BB39_7 Depth=2
	v_mov_b32_e32 v0, v30
	v_mov_b32_e32 v1, v30
	ds_write_b64 v50, v[0:1] offset:4096
.LBB39_28:                              ;   in Loop: Header=BB39_7 Depth=2
	s_andn2_saveexec_b64 s[48:49], s[48:49]
	s_cbranch_execz .LBB39_30
; %bb.29:                               ;   in Loop: Header=BB39_7 Depth=2
	ds_write_b64 v50, v[30:31] offset:4096
.LBB39_30:                              ;   in Loop: Header=BB39_7 Depth=2
	s_or_b64 exec, exec, s[48:49]
.LBB39_31:                              ;   in Loop: Header=BB39_7 Depth=2
	s_or_b64 exec, exec, s[16:17]
	s_or_b64 s[12:13], s[12:13], vcc
	s_or_b64 s[12:13], s[12:13], s[46:47]
	s_or_b64 s[12:13], s[2:3], s[12:13]
	s_xor_b64 s[12:13], s[12:13], -1
	s_and_saveexec_b64 s[16:17], s[12:13]
	s_xor_b64 s[12:13], exec, s[16:17]
	s_cbranch_execz .LBB39_33
; %bb.32:                               ;   in Loop: Header=BB39_7 Depth=2
	v_add_co_u32_e32 v0, vcc, v44, v24
	v_addc_co_u32_e32 v1, vcc, v45, v25, vcc
	global_load_dwordx2 v[0:1], v[0:1], off offset:128
	s_waitcnt vmcnt(0)
	ds_write_b64 v50, v[0:1] offset:4224
.LBB39_33:                              ;   in Loop: Header=BB39_7 Depth=2
	s_andn2_saveexec_b64 s[12:13], s[12:13]
	s_cbranch_execz .LBB39_39
; %bb.34:                               ;   in Loop: Header=BB39_7 Depth=2
	s_and_saveexec_b64 s[16:17], s[28:29]
	s_xor_b64 s[16:17], exec, s[16:17]
	s_cbranch_execz .LBB39_36
; %bb.35:                               ;   in Loop: Header=BB39_7 Depth=2
	v_mov_b32_e32 v0, v30
	v_mov_b32_e32 v1, v30
	ds_write_b64 v50, v[0:1] offset:4224
.LBB39_36:                              ;   in Loop: Header=BB39_7 Depth=2
	s_andn2_saveexec_b64 s[16:17], s[16:17]
	s_cbranch_execz .LBB39_38
; %bb.37:                               ;   in Loop: Header=BB39_7 Depth=2
	ds_write_b64 v50, v[30:31] offset:4224
.LBB39_38:                              ;   in Loop: Header=BB39_7 Depth=2
	s_or_b64 exec, exec, s[16:17]
.LBB39_39:                              ;   in Loop: Header=BB39_7 Depth=2
	s_or_b64 exec, exec, s[12:13]
	v_mov_b32_e32 v1, s27
	v_add_co_u32_e32 v0, vcc, s26, v10
	v_addc_co_u32_e32 v1, vcc, v11, v1, vcc
	v_cmp_gt_i64_e32 vcc, s[38:39], v[0:1]
	s_and_b64 s[12:13], s[8:9], vcc
	s_xor_b64 s[12:13], s[12:13], -1
	s_and_saveexec_b64 s[16:17], s[12:13]
	s_xor_b64 s[12:13], exec, s[16:17]
	s_cbranch_execz .LBB39_41
; %bb.40:                               ;   in Loop: Header=BB39_7 Depth=2
	v_mov_b32_e32 v2, v30
	v_mov_b32_e32 v3, v30
	ds_write_b64 v52, v[2:3]
.LBB39_41:                              ;   in Loop: Header=BB39_7 Depth=2
	s_or_saveexec_b64 s[16:17], s[12:13]
	v_add_co_u32_e64 v2, s[12:13], v40, v24
	v_addc_co_u32_e64 v3, s[12:13], v41, v25, s[12:13]
	s_xor_b64 exec, exec, s[16:17]
	s_cbranch_execz .LBB39_43
; %bb.42:                               ;   in Loop: Header=BB39_7 Depth=2
	global_load_dwordx2 v[4:5], v[2:3], off offset:-128
	s_waitcnt vmcnt(0)
	ds_write_b64 v52, v[4:5]
.LBB39_43:                              ;   in Loop: Header=BB39_7 Depth=2
	s_or_b64 exec, exec, s[16:17]
	v_cmp_gt_i64_e64 s[12:13], s[44:45], v[0:1]
	s_and_b64 s[16:17], s[8:9], s[12:13]
	s_xor_b64 s[16:17], s[16:17], -1
	s_and_saveexec_b64 s[28:29], s[16:17]
	s_xor_b64 s[16:17], exec, s[28:29]
	s_cbranch_execz .LBB39_45
; %bb.44:                               ;   in Loop: Header=BB39_7 Depth=2
	v_mov_b32_e32 v0, v30
	v_mov_b32_e32 v1, v30
	ds_write_b64 v52, v[0:1] offset:128
                                        ; implicit-def: $vgpr2_vgpr3
.LBB39_45:                              ;   in Loop: Header=BB39_7 Depth=2
	s_andn2_saveexec_b64 s[16:17], s[16:17]
	s_cbranch_execz .LBB39_47
; %bb.46:                               ;   in Loop: Header=BB39_7 Depth=2
	global_load_dwordx2 v[0:1], v[2:3], off
	s_waitcnt vmcnt(0)
	ds_write_b64 v52, v[0:1] offset:128
.LBB39_47:                              ;   in Loop: Header=BB39_7 Depth=2
	s_or_b64 exec, exec, s[16:17]
	s_and_b64 s[16:17], s[10:11], vcc
	s_xor_b64 s[16:17], s[16:17], -1
	s_and_saveexec_b64 s[28:29], s[16:17]
	s_xor_b64 s[16:17], exec, s[28:29]
	s_cbranch_execz .LBB39_49
; %bb.48:                               ;   in Loop: Header=BB39_7 Depth=2
	v_mov_b32_e32 v0, v30
	v_mov_b32_e32 v1, v30
	ds_write_b64 v52, v[0:1] offset:4096
.LBB39_49:                              ;   in Loop: Header=BB39_7 Depth=2
	s_andn2_saveexec_b64 s[16:17], s[16:17]
	s_cbranch_execz .LBB39_51
; %bb.50:                               ;   in Loop: Header=BB39_7 Depth=2
	v_add_co_u32_e32 v0, vcc, v42, v24
	v_addc_co_u32_e32 v1, vcc, v43, v25, vcc
	global_load_dwordx2 v[0:1], v[0:1], off offset:-128
	s_waitcnt vmcnt(0)
	ds_write_b64 v52, v[0:1] offset:4096
.LBB39_51:                              ;   in Loop: Header=BB39_7 Depth=2
	s_or_b64 exec, exec, s[16:17]
	s_and_b64 s[12:13], s[10:11], s[12:13]
	s_xor_b64 s[12:13], s[12:13], -1
	s_and_saveexec_b64 s[16:17], s[12:13]
	s_xor_b64 s[12:13], exec, s[16:17]
	s_cbranch_execz .LBB39_53
; %bb.52:                               ;   in Loop: Header=BB39_7 Depth=2
	v_mov_b32_e32 v0, v30
	v_mov_b32_e32 v1, v30
	ds_write_b64 v52, v[0:1] offset:4224
.LBB39_53:                              ;   in Loop: Header=BB39_7 Depth=2
	s_andn2_saveexec_b64 s[12:13], s[12:13]
	s_cbranch_execz .LBB39_6
; %bb.54:                               ;   in Loop: Header=BB39_7 Depth=2
	v_add_co_u32_e32 v0, vcc, v42, v24
	v_addc_co_u32_e32 v1, vcc, v43, v25, vcc
	global_load_dwordx2 v[0:1], v[0:1], off
	s_waitcnt vmcnt(0)
	ds_write_b64 v52, v[0:1] offset:4224
	s_branch .LBB39_6
.LBB39_55:                              ;   in Loop: Header=BB39_4 Depth=1
	v_mul_lo_u32 v2, v54, s40
	v_mul_lo_u32 v3, v53, s41
	v_mad_u64_u32 v[0:1], s[8:9], v53, s40, 0
	v_add3_u32 v1, v1, v3, v2
	v_lshlrev_b64 v[0:1], 3, v[0:1]
	v_mov_b32_e32 v2, s52
	v_add_co_u32_e64 v0, s[8:9], s33, v0
	v_cmp_gt_i32_e32 vcc, s30, v53
	v_addc_co_u32_e64 v1, s[8:9], v2, v1, s[8:9]
	s_and_b64 s[8:9], s[4:5], vcc
	s_and_saveexec_b64 s[10:11], s[8:9]
	s_cbranch_execz .LBB39_57
; %bb.56:                               ;   in Loop: Header=BB39_4 Depth=1
	v_add_co_u32_e64 v2, s[8:9], v0, v24
	v_addc_co_u32_e64 v3, s[8:9], v1, v25, s[8:9]
	global_load_dwordx2 v[4:5], v[2:3], off
	s_waitcnt vmcnt(0)
	v_fmac_f64_e32 v[4:5], s[34:35], v[38:39]
	global_store_dwordx2 v[2:3], v[4:5], off
.LBB39_57:                              ;   in Loop: Header=BB39_4 Depth=1
	s_or_b64 exec, exec, s[10:11]
	s_and_b64 s[10:11], s[14:15], vcc
	s_and_saveexec_b64 s[8:9], s[10:11]
	s_cbranch_execz .LBB39_59
; %bb.58:                               ;   in Loop: Header=BB39_4 Depth=1
	v_lshlrev_b64 v[2:3], 3, v[16:17]
	v_add_co_u32_e32 v0, vcc, v0, v2
	v_addc_co_u32_e32 v1, vcc, v1, v3, vcc
	global_load_dwordx2 v[2:3], v[0:1], off
	s_waitcnt vmcnt(0)
	v_fmac_f64_e32 v[2:3], s[34:35], v[36:37]
	global_store_dwordx2 v[0:1], v[2:3], off
.LBB39_59:                              ;   in Loop: Header=BB39_4 Depth=1
	s_or_b64 exec, exec, s[8:9]
	v_add_u32_e32 v0, 16, v53
	v_ashrrev_i32_e32 v1, 31, v0
	v_cmp_gt_i32_e32 vcc, s30, v0
	v_mul_lo_u32 v2, v1, s40
	v_mul_lo_u32 v3, v0, s41
	v_mad_u64_u32 v[0:1], s[8:9], v0, s40, 0
	v_add3_u32 v1, v1, v3, v2
	v_lshlrev_b64 v[0:1], 3, v[0:1]
	v_mov_b32_e32 v2, s52
	v_add_co_u32_e64 v0, s[8:9], s33, v0
	v_addc_co_u32_e64 v1, s[8:9], v2, v1, s[8:9]
	s_and_b64 s[8:9], s[4:5], vcc
	s_and_saveexec_b64 s[10:11], s[8:9]
	s_cbranch_execz .LBB39_61
; %bb.60:                               ;   in Loop: Header=BB39_4 Depth=1
	v_add_co_u32_e64 v2, s[8:9], v0, v24
	v_addc_co_u32_e64 v3, s[8:9], v1, v25, s[8:9]
	global_load_dwordx2 v[4:5], v[2:3], off
	s_waitcnt vmcnt(0)
	v_fmac_f64_e32 v[4:5], s[34:35], v[34:35]
	global_store_dwordx2 v[2:3], v[4:5], off
.LBB39_61:                              ;   in Loop: Header=BB39_4 Depth=1
	s_or_b64 exec, exec, s[10:11]
	s_and_b64 s[10:11], s[14:15], vcc
	s_and_saveexec_b64 s[8:9], s[10:11]
	s_cbranch_execz .LBB39_3
; %bb.62:                               ;   in Loop: Header=BB39_4 Depth=1
	v_lshlrev_b64 v[2:3], 3, v[16:17]
	v_add_co_u32_e32 v0, vcc, v0, v2
	v_addc_co_u32_e32 v1, vcc, v1, v3, vcc
	global_load_dwordx2 v[2:3], v[0:1], off
	s_waitcnt vmcnt(0)
	v_fmac_f64_e32 v[2:3], s[34:35], v[32:33]
	global_store_dwordx2 v[0:1], v[2:3], off
	s_branch .LBB39_3
.LBB39_63:
	s_endpgm
	.section	.rodata,"a",@progbits
	.p2align	6, 0x0
	.amdhsa_kernel _ZL30rocblas_trmm_outofplace_kernelIdLi32ELi2ELb1ELb1ELb0ELb0EdKddEv17rocblas_diagonal_iiT6_lPT7_lllS4_lllPT8_llli
		.amdhsa_group_segment_fixed_size 16384
		.amdhsa_private_segment_fixed_size 0
		.amdhsa_kernarg_size 392
		.amdhsa_user_sgpr_count 6
		.amdhsa_user_sgpr_private_segment_buffer 1
		.amdhsa_user_sgpr_dispatch_ptr 0
		.amdhsa_user_sgpr_queue_ptr 0
		.amdhsa_user_sgpr_kernarg_segment_ptr 1
		.amdhsa_user_sgpr_dispatch_id 0
		.amdhsa_user_sgpr_flat_scratch_init 0
		.amdhsa_user_sgpr_kernarg_preload_length 0
		.amdhsa_user_sgpr_kernarg_preload_offset 0
		.amdhsa_user_sgpr_private_segment_size 0
		.amdhsa_uses_dynamic_stack 0
		.amdhsa_system_sgpr_private_segment_wavefront_offset 0
		.amdhsa_system_sgpr_workgroup_id_x 1
		.amdhsa_system_sgpr_workgroup_id_y 1
		.amdhsa_system_sgpr_workgroup_id_z 1
		.amdhsa_system_sgpr_workgroup_info 0
		.amdhsa_system_vgpr_workitem_id 1
		.amdhsa_next_free_vgpr 80
		.amdhsa_next_free_sgpr 57
		.amdhsa_accum_offset 80
		.amdhsa_reserve_vcc 1
		.amdhsa_reserve_flat_scratch 0
		.amdhsa_float_round_mode_32 0
		.amdhsa_float_round_mode_16_64 0
		.amdhsa_float_denorm_mode_32 3
		.amdhsa_float_denorm_mode_16_64 3
		.amdhsa_dx10_clamp 1
		.amdhsa_ieee_mode 1
		.amdhsa_fp16_overflow 0
		.amdhsa_tg_split 0
		.amdhsa_exception_fp_ieee_invalid_op 0
		.amdhsa_exception_fp_denorm_src 0
		.amdhsa_exception_fp_ieee_div_zero 0
		.amdhsa_exception_fp_ieee_overflow 0
		.amdhsa_exception_fp_ieee_underflow 0
		.amdhsa_exception_fp_ieee_inexact 0
		.amdhsa_exception_int_div_zero 0
	.end_amdhsa_kernel
	.section	.text._ZL30rocblas_trmm_outofplace_kernelIdLi32ELi2ELb1ELb1ELb0ELb0EdKddEv17rocblas_diagonal_iiT6_lPT7_lllS4_lllPT8_llli,"axG",@progbits,_ZL30rocblas_trmm_outofplace_kernelIdLi32ELi2ELb1ELb1ELb0ELb0EdKddEv17rocblas_diagonal_iiT6_lPT7_lllS4_lllPT8_llli,comdat
.Lfunc_end39:
	.size	_ZL30rocblas_trmm_outofplace_kernelIdLi32ELi2ELb1ELb1ELb0ELb0EdKddEv17rocblas_diagonal_iiT6_lPT7_lllS4_lllPT8_llli, .Lfunc_end39-_ZL30rocblas_trmm_outofplace_kernelIdLi32ELi2ELb1ELb1ELb0ELb0EdKddEv17rocblas_diagonal_iiT6_lPT7_lllS4_lllPT8_llli
                                        ; -- End function
	.section	.AMDGPU.csdata,"",@progbits
; Kernel info:
; codeLenInByte = 3380
; NumSgprs: 61
; NumVgprs: 80
; NumAgprs: 0
; TotalNumVgprs: 80
; ScratchSize: 0
; MemoryBound: 1
; FloatMode: 240
; IeeeMode: 1
; LDSByteSize: 16384 bytes/workgroup (compile time only)
; SGPRBlocks: 7
; VGPRBlocks: 9
; NumSGPRsForWavesPerEU: 61
; NumVGPRsForWavesPerEU: 80
; AccumOffset: 80
; Occupancy: 6
; WaveLimiterHint : 0
; COMPUTE_PGM_RSRC2:SCRATCH_EN: 0
; COMPUTE_PGM_RSRC2:USER_SGPR: 6
; COMPUTE_PGM_RSRC2:TRAP_HANDLER: 0
; COMPUTE_PGM_RSRC2:TGID_X_EN: 1
; COMPUTE_PGM_RSRC2:TGID_Y_EN: 1
; COMPUTE_PGM_RSRC2:TGID_Z_EN: 1
; COMPUTE_PGM_RSRC2:TIDIG_COMP_CNT: 1
; COMPUTE_PGM_RSRC3_GFX90A:ACCUM_OFFSET: 19
; COMPUTE_PGM_RSRC3_GFX90A:TG_SPLIT: 0
	.section	.text._ZL30rocblas_trmm_outofplace_kernelIdLi32ELi2ELb1ELb0ELb1ELb0EPKdS0_dEv17rocblas_diagonal_iiT6_lPT7_lllS5_lllPT8_llli,"axG",@progbits,_ZL30rocblas_trmm_outofplace_kernelIdLi32ELi2ELb1ELb0ELb1ELb0EPKdS0_dEv17rocblas_diagonal_iiT6_lPT7_lllS5_lllPT8_llli,comdat
	.globl	_ZL30rocblas_trmm_outofplace_kernelIdLi32ELi2ELb1ELb0ELb1ELb0EPKdS0_dEv17rocblas_diagonal_iiT6_lPT7_lllS5_lllPT8_llli ; -- Begin function _ZL30rocblas_trmm_outofplace_kernelIdLi32ELi2ELb1ELb0ELb1ELb0EPKdS0_dEv17rocblas_diagonal_iiT6_lPT7_lllS5_lllPT8_llli
	.p2align	8
	.type	_ZL30rocblas_trmm_outofplace_kernelIdLi32ELi2ELb1ELb0ELb1ELb0EPKdS0_dEv17rocblas_diagonal_iiT6_lPT7_lllS5_lllPT8_llli,@function
_ZL30rocblas_trmm_outofplace_kernelIdLi32ELi2ELb1ELb0ELb1ELb0EPKdS0_dEv17rocblas_diagonal_iiT6_lPT7_lllS5_lllPT8_llli: ; @_ZL30rocblas_trmm_outofplace_kernelIdLi32ELi2ELb1ELb0ELb1ELb0EPKdS0_dEv17rocblas_diagonal_iiT6_lPT7_lllS5_lllPT8_llli
; %bb.0:
	s_load_dwordx16 s[12:27], s[4:5], 0x10
	s_waitcnt lgkmcnt(0)
	s_mul_i32 s0, s8, s15
	s_mul_hi_u32 s1, s8, s14
	s_add_i32 s1, s1, s0
	s_mul_i32 s0, s8, s14
	s_lshl_b64 s[0:1], s[0:1], 3
	s_add_u32 s0, s12, s0
	s_addc_u32 s1, s13, s1
	s_load_dwordx2 s[34:35], s[0:1], 0x0
	s_waitcnt lgkmcnt(0)
	v_cmp_eq_f64_e64 s[0:1], s[34:35], 0
	s_and_b64 vcc, exec, s[0:1]
	s_cbranch_vccnz .LBB40_63
; %bb.1:
	s_load_dwordx4 s[28:31], s[4:5], 0x0
	s_waitcnt lgkmcnt(0)
	s_add_i32 s0, s30, -1
	s_ashr_i32 s1, s0, 31
	s_lshr_b32 s1, s1, 27
	s_add_i32 s0, s0, s1
	s_ashr_i32 s31, s0, 5
	s_cmp_gt_i32 s7, s31
	s_cbranch_scc1 .LBB40_63
; %bb.2:
	s_mul_i32 s0, s8, s23
	s_mul_hi_u32 s1, s8, s22
	s_add_i32 s1, s1, s0
	s_mul_i32 s0, s8, s22
	s_load_dwordx4 s[44:47], s[4:5], 0x70
	s_load_dword s33, s[4:5], 0x8c
	s_lshl_b64 s[10:11], s[0:1], 3
	s_add_u32 s0, s16, s10
	s_load_dwordx8 s[36:43], s[4:5], 0x50
	s_addc_u32 s1, s17, s11
	s_lshl_b64 s[12:13], s[18:19], 3
	s_add_u32 s2, s0, s12
	s_addc_u32 s3, s1, s13
	s_waitcnt lgkmcnt(0)
	s_mul_i32 s0, s8, s47
	s_mul_hi_u32 s1, s8, s46
	s_add_i32 s1, s1, s0
	s_mul_i32 s0, s8, s46
	s_lshl_b64 s[0:1], s[0:1], 3
	s_add_u32 s4, s40, s0
	s_addc_u32 s5, s41, s1
	s_lshl_b64 s[0:1], s[42:43], 3
	s_add_u32 s48, s4, s0
	s_addc_u32 s49, s5, s1
	s_lshl_b32 s4, s6, 5
	v_and_b32_e32 v2, 0x3ff, v0
	v_add_u32_e32 v10, s4, v2
	v_ashrrev_i32_e32 v11, 31, v10
	v_bfe_u32 v42, v0, 10, 10
	v_mul_lo_u32 v3, v11, s20
	v_mul_lo_u32 v4, v10, s21
	v_mad_u64_u32 v[0:1], s[0:1], v10, s20, 0
	v_add3_u32 v1, v1, v4, v3
	v_add_u32_e32 v8, s4, v42
	v_lshlrev_b64 v[0:1], 3, v[0:1]
	v_ashrrev_i32_e32 v9, 31, v8
	v_mov_b32_e32 v3, s3
	v_add_co_u32_e32 v4, vcc, s2, v0
	v_addc_co_u32_e32 v3, vcc, v3, v1, vcc
	v_lshlrev_b64 v[0:1], 3, v[8:9]
	v_add_co_u32_e32 v43, vcc, v4, v0
	s_sub_i32 s6, s29, s4
	v_addc_co_u32_e32 v44, vcc, v3, v1, vcc
	s_cmp_gt_i32 s6, 0
	s_cselect_b64 s[18:19], -1, 0
	s_cmpk_eq_i32 s28, 0x84
	v_add_co_u32_e32 v12, vcc, 16, v10
	s_cselect_b64 s[22:23], -1, 0
	s_ashr_i32 s41, s29, 31
	s_ashr_i32 s50, s30, 31
	v_addc_co_u32_e32 v13, vcc, 0, v11, vcc
	s_add_u32 s42, s29, -16
	v_sub_co_u32_e32 v16, vcc, v10, v8
	s_mul_i32 s9, s39, s8
	s_mul_hi_u32 s28, s38, s8
	s_addc_u32 s43, s41, -1
	v_subb_co_u32_e32 v17, vcc, v11, v9, vcc
	s_add_i32 s9, s28, s9
	s_mul_i32 s8, s38, s8
	v_add_co_u32_e32 v18, vcc, 16, v16
	s_lshl_b64 s[8:9], s[8:9], 3
	s_lshl_b64 s[26:27], s[26:27], 3
	v_addc_co_u32_e32 v19, vcc, 0, v17, vcc
	s_add_u32 s8, s8, s26
	v_add_co_u32_e32 v20, vcc, -16, v16
	s_addc_u32 s9, s9, s27
	v_addc_co_u32_e32 v21, vcc, -1, v17, vcc
	v_lshlrev_b64 v[22:23], 3, v[10:11]
	s_add_u32 s8, s24, s8
	s_movk_i32 s24, 0x80
	v_add_co_u32_e32 v4, vcc, s24, v22
	v_lshlrev_b32_e32 v45, 3, v2
	s_addc_u32 s9, s25, s9
	v_addc_co_u32_e32 v2, vcc, 0, v23, vcc
	s_lshl_b64 s[24:25], s[36:37], 3
	s_lshl_b32 s51, s33, 5
	v_lshlrev_b32_e32 v3, 8, v42
	v_add_co_u32_e32 v24, vcc, s8, v4
	s_add_u32 s8, s12, s10
	v_add_u32_e32 v46, v45, v3
	v_add_u32_e32 v47, 0x2000, v3
	v_mov_b32_e32 v3, s9
	s_addc_u32 s9, s13, s11
	v_addc_co_u32_e32 v25, vcc, v2, v3, vcc
	v_mul_lo_u32 v5, s20, v2
	v_pk_mov_b32 v[2:3], s[8:9], s[8:9] op_sel:[0,1]
	v_mul_lo_u32 v6, s21, v4
	v_mad_u64_u32 v[2:3], s[8:9], s20, v4, v[2:3]
	v_add3_u32 v3, v6, v3, v5
	v_add_co_u32_e32 v0, vcc, v2, v0
	v_addc_co_u32_e32 v1, vcc, v3, v1, vcc
	s_mov_b32 s40, s29
	v_add_u32_e32 v14, 16, v10
	v_mov_b32_e32 v2, s17
	v_add_co_u32_e32 v49, vcc, s16, v0
	v_cmp_le_i32_e64 s[0:1], s29, v10
	v_cmp_le_i64_e64 s[2:3], s[40:41], v[12:13]
	v_add_u32_e32 v48, v47, v45
	v_cmp_gt_i32_e64 s[4:5], s29, v10
	v_cmp_gt_i32_e64 s[14:15], s29, v14
	v_ashrrev_i32_e32 v15, 31, v14
	v_lshl_add_u32 v26, s7, 5, v42
	v_addc_co_u32_e32 v50, vcc, v2, v1, vcc
	v_mov_b32_e32 v28, 0
	v_mov_b32_e32 v29, 0x3ff00000
	s_branch .LBB40_4
.LBB40_3:                               ;   in Loop: Header=BB40_4 Depth=1
	s_or_b64 exec, exec, s[8:9]
	s_add_i32 s7, s33, s7
	s_cmp_le_i32 s7, s31
	v_add_u32_e32 v26, s51, v26
	s_cbranch_scc0 .LBB40_63
.LBB40_4:                               ; =>This Loop Header: Depth=1
                                        ;     Child Loop BB40_7 Depth 2
	v_lshl_add_u32 v51, s7, 5, v42
	v_pk_mov_b32 v[36:37], 0, 0
	v_ashrrev_i32_e32 v52, 31, v51
	s_mov_b64 s[20:21], 0
	s_andn2_b64 vcc, exec, s[18:19]
	v_pk_mov_b32 v[34:35], v[36:37], v[36:37] op_sel:[0,1]
	v_pk_mov_b32 v[32:33], v[36:37], v[36:37] op_sel:[0,1]
	;; [unrolled: 1-line block ×3, first 2 shown]
	s_cbranch_vccnz .LBB40_55
; %bb.5:                                ;   in Loop: Header=BB40_4 Depth=1
	v_ashrrev_i32_e32 v27, 31, v26
	v_mad_u64_u32 v[38:39], s[8:9], s24, v26, v[24:25]
	v_mul_lo_u32 v0, s25, v26
	v_mul_lo_u32 v1, s24, v27
	v_add3_u32 v39, v0, v39, v1
	v_lshlrev_b64 v[0:1], 3, v[26:27]
	v_add_co_u32_e32 v0, vcc, 0x80, v0
	v_addc_co_u32_e32 v1, vcc, 0, v1, vcc
	v_mul_lo_u32 v1, s36, v1
	v_mul_lo_u32 v2, s37, v0
	v_mad_u64_u32 v[40:41], s[8:9], s36, v0, v[24:25]
	v_add3_u32 v41, v2, v41, v1
	v_mov_b32_e32 v1, s50
	v_sub_co_u32_e32 v0, vcc, s30, v51
	v_subb_co_u32_e32 v1, vcc, v1, v52, vcc
	v_pk_mov_b32 v[30:31], 0, 0
	v_cmp_lt_i64_e32 vcc, 0, v[0:1]
	v_cmp_lt_i64_e64 s[8:9], 16, v[0:1]
	s_mov_b64 s[26:27], 0
	v_pk_mov_b32 v[32:33], v[30:31], v[30:31] op_sel:[0,1]
	v_pk_mov_b32 v[34:35], v[30:31], v[30:31] op_sel:[0,1]
	;; [unrolled: 1-line block ×3, first 2 shown]
	s_branch .LBB40_7
.LBB40_6:                               ;   in Loop: Header=BB40_7 Depth=2
	s_or_b64 exec, exec, s[12:13]
	s_waitcnt lgkmcnt(0)
	s_barrier
	ds_read2_b64 v[54:57], v45 offset1:16
	ds_read_b128 v[58:61], v47
	ds_read_b128 v[62:65], v47 offset:16
	ds_read_b128 v[4:7], v47 offset:32
	;; [unrolled: 1-line block ×4, first 2 shown]
	ds_read2_b64 v[70:73], v45 offset0:32 offset1:48
	s_waitcnt lgkmcnt(5)
	v_fmac_f64_e32 v[36:37], v[54:55], v[58:59]
	v_fmac_f64_e32 v[34:35], v[56:57], v[58:59]
	ds_read_b128 v[74:77], v47 offset:4112
	s_waitcnt lgkmcnt(2)
	v_fmac_f64_e32 v[32:33], v[54:55], v[66:67]
	v_fmac_f64_e32 v[30:31], v[56:57], v[66:67]
	ds_read2_b64 v[54:57], v45 offset0:64 offset1:80
	s_waitcnt lgkmcnt(2)
	v_fmac_f64_e32 v[36:37], v[70:71], v[60:61]
	v_fmac_f64_e32 v[34:35], v[72:73], v[60:61]
	ds_read2_b64 v[58:61], v45 offset0:96 offset1:112
	v_fmac_f64_e32 v[32:33], v[70:71], v[68:69]
	v_fmac_f64_e32 v[30:31], v[72:73], v[68:69]
	ds_read_b128 v[66:69], v47 offset:4144
	s_waitcnt lgkmcnt(2)
	v_fmac_f64_e32 v[36:37], v[54:55], v[62:63]
	v_fmac_f64_e32 v[34:35], v[56:57], v[62:63]
	;; [unrolled: 1-line block ×4, first 2 shown]
	s_waitcnt lgkmcnt(1)
	v_fmac_f64_e32 v[36:37], v[58:59], v[64:65]
	ds_read2_b64 v[54:57], v45 offset0:128 offset1:144
	v_fmac_f64_e32 v[34:35], v[60:61], v[64:65]
	v_fmac_f64_e32 v[32:33], v[58:59], v[76:77]
	;; [unrolled: 1-line block ×3, first 2 shown]
	ds_read_b128 v[58:61], v47 offset:4128
	ds_read2_b64 v[62:65], v45 offset0:160 offset1:176
	s_waitcnt lgkmcnt(2)
	v_fmac_f64_e32 v[36:37], v[54:55], v[4:5]
	v_fmac_f64_e32 v[34:35], v[56:57], v[4:5]
	v_add_u32_e32 v27, 0x800, v45
	s_waitcnt lgkmcnt(1)
	v_fmac_f64_e32 v[32:33], v[54:55], v[58:59]
	v_fmac_f64_e32 v[30:31], v[56:57], v[58:59]
	ds_read2_b64 v[54:57], v45 offset0:192 offset1:208
	s_waitcnt lgkmcnt(1)
	v_fmac_f64_e32 v[36:37], v[62:63], v[6:7]
	v_fmac_f64_e32 v[34:35], v[64:65], v[6:7]
	ds_read2_b64 v[4:7], v45 offset0:224 offset1:240
	v_fmac_f64_e32 v[32:33], v[62:63], v[60:61]
	v_fmac_f64_e32 v[30:31], v[64:65], v[60:61]
	s_waitcnt lgkmcnt(1)
	v_fmac_f64_e32 v[36:37], v[54:55], v[0:1]
	v_fmac_f64_e32 v[34:35], v[56:57], v[0:1]
	v_fmac_f64_e32 v[32:33], v[54:55], v[66:67]
	v_fmac_f64_e32 v[30:31], v[56:57], v[66:67]
	s_waitcnt lgkmcnt(0)
	v_fmac_f64_e32 v[36:37], v[4:5], v[2:3]
	v_fmac_f64_e32 v[34:35], v[6:7], v[2:3]
	ds_read2_b64 v[0:3], v27 offset1:16
	ds_read_b128 v[54:57], v47 offset:64
	v_fmac_f64_e32 v[32:33], v[4:5], v[68:69]
	v_fmac_f64_e32 v[30:31], v[6:7], v[68:69]
	ds_read_b128 v[4:7], v47 offset:80
	ds_read_b128 v[58:61], v47 offset:4160
	ds_read2_b64 v[62:65], v27 offset0:32 offset1:48
	s_waitcnt lgkmcnt(3)
	v_fmac_f64_e32 v[36:37], v[0:1], v[54:55]
	v_fmac_f64_e32 v[34:35], v[2:3], v[54:55]
	ds_read_b128 v[66:69], v47 offset:4176
	s_waitcnt lgkmcnt(2)
	v_fmac_f64_e32 v[32:33], v[0:1], v[58:59]
	v_fmac_f64_e32 v[30:31], v[2:3], v[58:59]
	ds_read2_b64 v[0:3], v27 offset0:64 offset1:80
	s_waitcnt lgkmcnt(2)
	v_fmac_f64_e32 v[36:37], v[62:63], v[56:57]
	v_fmac_f64_e32 v[34:35], v[64:65], v[56:57]
	ds_read2_b64 v[54:57], v27 offset0:96 offset1:112
	v_fmac_f64_e32 v[32:33], v[62:63], v[60:61]
	v_fmac_f64_e32 v[30:31], v[64:65], v[60:61]
	s_waitcnt lgkmcnt(1)
	v_fmac_f64_e32 v[36:37], v[0:1], v[4:5]
	v_fmac_f64_e32 v[34:35], v[2:3], v[4:5]
	;; [unrolled: 1-line block ×4, first 2 shown]
	s_waitcnt lgkmcnt(0)
	v_fmac_f64_e32 v[36:37], v[54:55], v[6:7]
	v_fmac_f64_e32 v[34:35], v[56:57], v[6:7]
	ds_read2_b64 v[0:3], v27 offset0:128 offset1:144
	ds_read_b128 v[4:7], v47 offset:96
	v_fmac_f64_e32 v[32:33], v[54:55], v[68:69]
	v_fmac_f64_e32 v[30:31], v[56:57], v[68:69]
	ds_read_b128 v[54:57], v47 offset:112
	ds_read_b128 v[58:61], v47 offset:4192
	ds_read2_b64 v[62:65], v27 offset0:160 offset1:176
	s_waitcnt lgkmcnt(3)
	v_fmac_f64_e32 v[36:37], v[0:1], v[4:5]
	v_fmac_f64_e32 v[34:35], v[2:3], v[4:5]
	ds_read_b128 v[66:69], v47 offset:4208
	s_waitcnt lgkmcnt(2)
	v_fmac_f64_e32 v[32:33], v[0:1], v[58:59]
	v_fmac_f64_e32 v[30:31], v[2:3], v[58:59]
	ds_read2_b64 v[0:3], v27 offset0:192 offset1:208
	s_waitcnt lgkmcnt(2)
	v_fmac_f64_e32 v[36:37], v[62:63], v[6:7]
	v_fmac_f64_e32 v[34:35], v[64:65], v[6:7]
	ds_read2_b64 v[4:7], v27 offset0:224 offset1:240
	v_fmac_f64_e32 v[32:33], v[62:63], v[60:61]
	v_fmac_f64_e32 v[30:31], v[64:65], v[60:61]
	s_waitcnt lgkmcnt(1)
	v_fmac_f64_e32 v[36:37], v[0:1], v[54:55]
	v_fmac_f64_e32 v[34:35], v[2:3], v[54:55]
	;; [unrolled: 1-line block ×4, first 2 shown]
	v_add_u32_e32 v27, 0x1000, v45
	s_waitcnt lgkmcnt(0)
	v_fmac_f64_e32 v[36:37], v[4:5], v[56:57]
	v_fmac_f64_e32 v[34:35], v[6:7], v[56:57]
	ds_read2_b64 v[0:3], v27 offset1:16
	ds_read_b128 v[54:57], v47 offset:128
	v_fmac_f64_e32 v[32:33], v[4:5], v[68:69]
	v_fmac_f64_e32 v[30:31], v[6:7], v[68:69]
	ds_read_b128 v[4:7], v47 offset:144
	ds_read_b128 v[58:61], v47 offset:4224
	ds_read2_b64 v[62:65], v27 offset0:32 offset1:48
	s_waitcnt lgkmcnt(3)
	v_fmac_f64_e32 v[36:37], v[0:1], v[54:55]
	v_fmac_f64_e32 v[34:35], v[2:3], v[54:55]
	ds_read_b128 v[66:69], v47 offset:4240
	s_waitcnt lgkmcnt(2)
	v_fmac_f64_e32 v[32:33], v[0:1], v[58:59]
	v_fmac_f64_e32 v[30:31], v[2:3], v[58:59]
	ds_read2_b64 v[0:3], v27 offset0:64 offset1:80
	s_waitcnt lgkmcnt(2)
	v_fmac_f64_e32 v[36:37], v[62:63], v[56:57]
	v_fmac_f64_e32 v[34:35], v[64:65], v[56:57]
	ds_read2_b64 v[54:57], v27 offset0:96 offset1:112
	v_fmac_f64_e32 v[32:33], v[62:63], v[60:61]
	v_fmac_f64_e32 v[30:31], v[64:65], v[60:61]
	s_waitcnt lgkmcnt(1)
	v_fmac_f64_e32 v[36:37], v[0:1], v[4:5]
	v_fmac_f64_e32 v[34:35], v[2:3], v[4:5]
	;; [unrolled: 1-line block ×4, first 2 shown]
	s_waitcnt lgkmcnt(0)
	v_fmac_f64_e32 v[36:37], v[54:55], v[6:7]
	v_fmac_f64_e32 v[34:35], v[56:57], v[6:7]
	ds_read2_b64 v[0:3], v27 offset0:128 offset1:144
	ds_read_b128 v[4:7], v47 offset:160
	v_fmac_f64_e32 v[32:33], v[54:55], v[68:69]
	v_fmac_f64_e32 v[30:31], v[56:57], v[68:69]
	ds_read_b128 v[54:57], v47 offset:176
	ds_read_b128 v[58:61], v47 offset:4256
	ds_read2_b64 v[62:65], v27 offset0:160 offset1:176
	s_waitcnt lgkmcnt(3)
	v_fmac_f64_e32 v[36:37], v[0:1], v[4:5]
	v_fmac_f64_e32 v[34:35], v[2:3], v[4:5]
	ds_read_b128 v[66:69], v47 offset:4272
	s_waitcnt lgkmcnt(2)
	v_fmac_f64_e32 v[32:33], v[0:1], v[58:59]
	v_fmac_f64_e32 v[30:31], v[2:3], v[58:59]
	ds_read2_b64 v[0:3], v27 offset0:192 offset1:208
	s_waitcnt lgkmcnt(2)
	v_fmac_f64_e32 v[36:37], v[62:63], v[6:7]
	v_fmac_f64_e32 v[34:35], v[64:65], v[6:7]
	ds_read2_b64 v[4:7], v27 offset0:224 offset1:240
	v_fmac_f64_e32 v[32:33], v[62:63], v[60:61]
	v_fmac_f64_e32 v[30:31], v[64:65], v[60:61]
	s_waitcnt lgkmcnt(1)
	v_fmac_f64_e32 v[36:37], v[0:1], v[54:55]
	v_fmac_f64_e32 v[34:35], v[2:3], v[54:55]
	;; [unrolled: 1-line block ×4, first 2 shown]
	v_add_u32_e32 v27, 0x1800, v45
	s_waitcnt lgkmcnt(0)
	v_fmac_f64_e32 v[36:37], v[4:5], v[56:57]
	v_fmac_f64_e32 v[34:35], v[6:7], v[56:57]
	ds_read2_b64 v[0:3], v27 offset1:16
	ds_read_b128 v[54:57], v47 offset:192
	v_fmac_f64_e32 v[32:33], v[4:5], v[68:69]
	v_fmac_f64_e32 v[30:31], v[6:7], v[68:69]
	ds_read_b128 v[4:7], v47 offset:208
	ds_read_b128 v[58:61], v47 offset:4288
	ds_read2_b64 v[62:65], v27 offset0:32 offset1:48
	s_waitcnt lgkmcnt(3)
	v_fmac_f64_e32 v[36:37], v[0:1], v[54:55]
	v_fmac_f64_e32 v[34:35], v[2:3], v[54:55]
	ds_read_b128 v[66:69], v47 offset:4304
	s_waitcnt lgkmcnt(2)
	v_fmac_f64_e32 v[32:33], v[0:1], v[58:59]
	v_fmac_f64_e32 v[30:31], v[2:3], v[58:59]
	ds_read2_b64 v[0:3], v27 offset0:64 offset1:80
	s_waitcnt lgkmcnt(2)
	v_fmac_f64_e32 v[36:37], v[62:63], v[56:57]
	v_fmac_f64_e32 v[34:35], v[64:65], v[56:57]
	ds_read2_b64 v[54:57], v27 offset0:96 offset1:112
	v_fmac_f64_e32 v[32:33], v[62:63], v[60:61]
	v_fmac_f64_e32 v[30:31], v[64:65], v[60:61]
	s_waitcnt lgkmcnt(1)
	v_fmac_f64_e32 v[36:37], v[0:1], v[4:5]
	v_fmac_f64_e32 v[34:35], v[2:3], v[4:5]
	;; [unrolled: 1-line block ×4, first 2 shown]
	s_waitcnt lgkmcnt(0)
	v_fmac_f64_e32 v[36:37], v[54:55], v[6:7]
	v_fmac_f64_e32 v[34:35], v[56:57], v[6:7]
	ds_read2_b64 v[0:3], v27 offset0:128 offset1:144
	ds_read_b128 v[4:7], v47 offset:224
	v_fmac_f64_e32 v[32:33], v[54:55], v[68:69]
	v_fmac_f64_e32 v[30:31], v[56:57], v[68:69]
	ds_read_b128 v[54:57], v47 offset:240
	ds_read_b128 v[58:61], v47 offset:4320
	ds_read2_b64 v[62:65], v27 offset0:160 offset1:176
	s_waitcnt lgkmcnt(3)
	v_fmac_f64_e32 v[36:37], v[0:1], v[4:5]
	v_fmac_f64_e32 v[34:35], v[2:3], v[4:5]
	ds_read_b128 v[66:69], v47 offset:4336
	s_waitcnt lgkmcnt(2)
	v_fmac_f64_e32 v[32:33], v[0:1], v[58:59]
	v_fmac_f64_e32 v[30:31], v[2:3], v[58:59]
	ds_read2_b64 v[0:3], v27 offset0:192 offset1:208
	s_waitcnt lgkmcnt(2)
	v_fmac_f64_e32 v[36:37], v[62:63], v[6:7]
	v_fmac_f64_e32 v[34:35], v[64:65], v[6:7]
	ds_read2_b64 v[4:7], v27 offset0:224 offset1:240
	s_add_u32 s26, s26, 32
	s_addc_u32 s27, s27, 0
	v_fmac_f64_e32 v[32:33], v[62:63], v[60:61]
	v_fmac_f64_e32 v[30:31], v[64:65], v[60:61]
	s_add_u32 s20, s20, 0x100
	s_waitcnt lgkmcnt(1)
	v_fmac_f64_e32 v[36:37], v[0:1], v[54:55]
	v_fmac_f64_e32 v[34:35], v[2:3], v[54:55]
	;; [unrolled: 1-line block ×4, first 2 shown]
	s_addc_u32 s21, s21, 0
	s_waitcnt lgkmcnt(0)
	v_fmac_f64_e32 v[36:37], v[4:5], v[56:57]
	v_fmac_f64_e32 v[34:35], v[6:7], v[56:57]
	;; [unrolled: 1-line block ×4, first 2 shown]
	s_cmp_ge_i32 s26, s6
	s_barrier
	s_cbranch_scc1 .LBB40_55
.LBB40_7:                               ;   Parent Loop BB40_4 Depth=1
                                        ; =>  This Inner Loop Header: Depth=2
	v_mov_b32_e32 v0, s27
	v_add_co_u32_e64 v2, s[10:11], s26, v8
	v_addc_co_u32_e64 v3, s[10:11], v9, v0, s[10:11]
	v_mov_b32_e32 v1, s21
	v_add_co_u32_e64 v0, s[10:11], s20, v43
	v_addc_co_u32_e64 v1, s[10:11], v44, v1, s[10:11]
	v_cmp_eq_u64_e64 s[10:11], s[26:27], v[16:17]
	v_cmp_le_i64_e64 s[12:13], s[40:41], v[2:3]
	s_and_b64 s[38:39], s[22:23], s[10:11]
	v_cmp_lt_i64_e64 s[10:11], v[2:3], v[10:11]
	s_or_b64 s[16:17], s[12:13], s[10:11]
	s_or_b64 s[16:17], s[16:17], s[38:39]
	;; [unrolled: 1-line block ×3, first 2 shown]
	s_xor_b64 s[16:17], s[16:17], -1
	s_and_saveexec_b64 s[28:29], s[16:17]
	s_xor_b64 s[16:17], exec, s[28:29]
	s_cbranch_execz .LBB40_9
; %bb.8:                                ;   in Loop: Header=BB40_7 Depth=2
	global_load_dwordx2 v[4:5], v[0:1], off
	s_waitcnt vmcnt(0)
	ds_write_b64 v46, v[4:5]
.LBB40_9:                               ;   in Loop: Header=BB40_7 Depth=2
	s_or_saveexec_b64 s[16:17], s[16:17]
	s_xor_b64 s[28:29], s[38:39], -1
	s_xor_b64 exec, exec, s[16:17]
	s_cbranch_execz .LBB40_15
; %bb.10:                               ;   in Loop: Header=BB40_7 Depth=2
	s_and_saveexec_b64 s[46:47], s[28:29]
	s_xor_b64 s[46:47], exec, s[46:47]
	s_cbranch_execz .LBB40_12
; %bb.11:                               ;   in Loop: Header=BB40_7 Depth=2
	v_mov_b32_e32 v4, v28
	v_mov_b32_e32 v5, v28
	ds_write_b64 v46, v[4:5]
.LBB40_12:                              ;   in Loop: Header=BB40_7 Depth=2
	s_andn2_saveexec_b64 s[46:47], s[46:47]
	s_cbranch_execz .LBB40_14
; %bb.13:                               ;   in Loop: Header=BB40_7 Depth=2
	ds_write_b64 v46, v[28:29]
.LBB40_14:                              ;   in Loop: Header=BB40_7 Depth=2
	s_or_b64 exec, exec, s[46:47]
.LBB40_15:                              ;   in Loop: Header=BB40_7 Depth=2
	s_or_b64 exec, exec, s[16:17]
	v_cmp_eq_u64_e64 s[16:17], s[26:27], v[18:19]
	s_and_b64 s[46:47], s[22:23], s[16:17]
	v_cmp_gt_i64_e64 s[16:17], v[12:13], v[2:3]
	s_or_b64 s[12:13], s[12:13], s[16:17]
	s_or_b64 s[12:13], s[12:13], s[46:47]
	;; [unrolled: 1-line block ×3, first 2 shown]
	s_xor_b64 s[12:13], s[12:13], -1
	s_and_saveexec_b64 s[16:17], s[12:13]
	s_xor_b64 s[16:17], exec, s[16:17]
	s_cbranch_execz .LBB40_17
; %bb.16:                               ;   in Loop: Header=BB40_7 Depth=2
	v_mov_b32_e32 v5, s21
	v_add_co_u32_e64 v4, s[12:13], s20, v49
	v_addc_co_u32_e64 v5, s[12:13], v50, v5, s[12:13]
	global_load_dwordx2 v[4:5], v[4:5], off
	s_waitcnt vmcnt(0)
	ds_write_b64 v46, v[4:5] offset:128
.LBB40_17:                              ;   in Loop: Header=BB40_7 Depth=2
	s_andn2_saveexec_b64 s[12:13], s[16:17]
	s_cbranch_execz .LBB40_23
; %bb.18:                               ;   in Loop: Header=BB40_7 Depth=2
	s_xor_b64 s[16:17], s[46:47], -1
	s_and_saveexec_b64 s[46:47], s[16:17]
	s_xor_b64 s[16:17], exec, s[46:47]
	s_cbranch_execz .LBB40_20
; %bb.19:                               ;   in Loop: Header=BB40_7 Depth=2
	v_mov_b32_e32 v4, v28
	v_mov_b32_e32 v5, v28
	ds_write_b64 v46, v[4:5] offset:128
.LBB40_20:                              ;   in Loop: Header=BB40_7 Depth=2
	s_andn2_saveexec_b64 s[16:17], s[16:17]
	s_cbranch_execz .LBB40_22
; %bb.21:                               ;   in Loop: Header=BB40_7 Depth=2
	ds_write_b64 v46, v[28:29] offset:128
.LBB40_22:                              ;   in Loop: Header=BB40_7 Depth=2
	s_or_b64 exec, exec, s[16:17]
.LBB40_23:                              ;   in Loop: Header=BB40_7 Depth=2
	s_or_b64 exec, exec, s[12:13]
	v_add_co_u32_e64 v2, s[12:13], 16, v2
	v_addc_co_u32_e64 v3, s[12:13], 0, v3, s[12:13]
	v_cmp_eq_u64_e64 s[16:17], s[26:27], v[20:21]
	v_cmp_le_i64_e64 s[12:13], s[40:41], v[2:3]
	s_and_b64 s[46:47], s[22:23], s[16:17]
	v_cmp_lt_i64_e64 s[16:17], v[2:3], v[10:11]
	s_or_b64 s[16:17], s[12:13], s[16:17]
	s_or_b64 s[16:17], s[16:17], s[46:47]
	s_or_b64 s[16:17], s[0:1], s[16:17]
	s_xor_b64 s[16:17], s[16:17], -1
	s_and_saveexec_b64 s[52:53], s[16:17]
	s_xor_b64 s[16:17], exec, s[52:53]
	s_cbranch_execz .LBB40_25
; %bb.24:                               ;   in Loop: Header=BB40_7 Depth=2
	global_load_dwordx2 v[0:1], v[0:1], off offset:128
	s_waitcnt vmcnt(0)
	ds_write_b64 v46, v[0:1] offset:4096
.LBB40_25:                              ;   in Loop: Header=BB40_7 Depth=2
	s_andn2_saveexec_b64 s[16:17], s[16:17]
	s_cbranch_execz .LBB40_31
; %bb.26:                               ;   in Loop: Header=BB40_7 Depth=2
	s_xor_b64 s[46:47], s[46:47], -1
	s_and_saveexec_b64 s[52:53], s[46:47]
	s_xor_b64 s[46:47], exec, s[52:53]
	s_cbranch_execz .LBB40_28
; %bb.27:                               ;   in Loop: Header=BB40_7 Depth=2
	v_mov_b32_e32 v0, v28
	v_mov_b32_e32 v1, v28
	ds_write_b64 v46, v[0:1] offset:4096
.LBB40_28:                              ;   in Loop: Header=BB40_7 Depth=2
	s_andn2_saveexec_b64 s[46:47], s[46:47]
	s_cbranch_execz .LBB40_30
; %bb.29:                               ;   in Loop: Header=BB40_7 Depth=2
	ds_write_b64 v46, v[28:29] offset:4096
.LBB40_30:                              ;   in Loop: Header=BB40_7 Depth=2
	s_or_b64 exec, exec, s[46:47]
.LBB40_31:                              ;   in Loop: Header=BB40_7 Depth=2
	s_or_b64 exec, exec, s[16:17]
	s_or_b64 s[10:11], s[12:13], s[10:11]
	s_or_b64 s[10:11], s[10:11], s[38:39]
	;; [unrolled: 1-line block ×3, first 2 shown]
	s_xor_b64 s[10:11], s[10:11], -1
	s_and_saveexec_b64 s[12:13], s[10:11]
	s_xor_b64 s[12:13], exec, s[12:13]
	s_cbranch_execz .LBB40_33
; %bb.32:                               ;   in Loop: Header=BB40_7 Depth=2
	v_mov_b32_e32 v1, s21
	v_add_co_u32_e64 v0, s[10:11], s20, v49
	v_addc_co_u32_e64 v1, s[10:11], v50, v1, s[10:11]
	global_load_dwordx2 v[0:1], v[0:1], off offset:128
	s_waitcnt vmcnt(0)
	ds_write_b64 v46, v[0:1] offset:4224
.LBB40_33:                              ;   in Loop: Header=BB40_7 Depth=2
	s_andn2_saveexec_b64 s[10:11], s[12:13]
	s_cbranch_execz .LBB40_39
; %bb.34:                               ;   in Loop: Header=BB40_7 Depth=2
	s_and_saveexec_b64 s[12:13], s[28:29]
	s_xor_b64 s[12:13], exec, s[12:13]
	s_cbranch_execz .LBB40_36
; %bb.35:                               ;   in Loop: Header=BB40_7 Depth=2
	v_mov_b32_e32 v0, v28
	v_mov_b32_e32 v1, v28
	ds_write_b64 v46, v[0:1] offset:4224
.LBB40_36:                              ;   in Loop: Header=BB40_7 Depth=2
	s_andn2_saveexec_b64 s[12:13], s[12:13]
	s_cbranch_execz .LBB40_38
; %bb.37:                               ;   in Loop: Header=BB40_7 Depth=2
	ds_write_b64 v46, v[28:29] offset:4224
.LBB40_38:                              ;   in Loop: Header=BB40_7 Depth=2
	s_or_b64 exec, exec, s[12:13]
.LBB40_39:                              ;   in Loop: Header=BB40_7 Depth=2
	s_or_b64 exec, exec, s[10:11]
	v_mov_b32_e32 v1, s27
	v_add_co_u32_e64 v0, s[10:11], s26, v10
	v_addc_co_u32_e64 v1, s[10:11], v11, v1, s[10:11]
	v_cmp_gt_i64_e64 s[10:11], s[40:41], v[0:1]
	s_and_b64 s[12:13], vcc, s[10:11]
	s_xor_b64 s[12:13], s[12:13], -1
	s_and_saveexec_b64 s[16:17], s[12:13]
	s_xor_b64 s[12:13], exec, s[16:17]
	s_cbranch_execz .LBB40_41
; %bb.40:                               ;   in Loop: Header=BB40_7 Depth=2
	v_mov_b32_e32 v2, v28
	v_mov_b32_e32 v3, v28
	ds_write_b64 v48, v[2:3]
.LBB40_41:                              ;   in Loop: Header=BB40_7 Depth=2
	s_or_saveexec_b64 s[16:17], s[12:13]
	v_mov_b32_e32 v3, s21
	v_add_co_u32_e64 v2, s[12:13], s20, v38
	v_addc_co_u32_e64 v3, s[12:13], v39, v3, s[12:13]
	s_xor_b64 exec, exec, s[16:17]
	s_cbranch_execz .LBB40_43
; %bb.42:                               ;   in Loop: Header=BB40_7 Depth=2
	global_load_dwordx2 v[4:5], v[2:3], off offset:-128
	s_waitcnt vmcnt(0)
	ds_write_b64 v48, v[4:5]
.LBB40_43:                              ;   in Loop: Header=BB40_7 Depth=2
	s_or_b64 exec, exec, s[16:17]
	v_cmp_gt_i64_e64 s[12:13], s[42:43], v[0:1]
	s_and_b64 s[16:17], vcc, s[12:13]
	s_xor_b64 s[16:17], s[16:17], -1
	s_and_saveexec_b64 s[28:29], s[16:17]
	s_xor_b64 s[16:17], exec, s[28:29]
	s_cbranch_execz .LBB40_45
; %bb.44:                               ;   in Loop: Header=BB40_7 Depth=2
	v_mov_b32_e32 v0, v28
	v_mov_b32_e32 v1, v28
	ds_write_b64 v48, v[0:1] offset:128
                                        ; implicit-def: $vgpr2_vgpr3
.LBB40_45:                              ;   in Loop: Header=BB40_7 Depth=2
	s_andn2_saveexec_b64 s[16:17], s[16:17]
	s_cbranch_execz .LBB40_47
; %bb.46:                               ;   in Loop: Header=BB40_7 Depth=2
	global_load_dwordx2 v[0:1], v[2:3], off
	s_waitcnt vmcnt(0)
	ds_write_b64 v48, v[0:1] offset:128
.LBB40_47:                              ;   in Loop: Header=BB40_7 Depth=2
	s_or_b64 exec, exec, s[16:17]
	s_and_b64 s[10:11], s[8:9], s[10:11]
	s_xor_b64 s[10:11], s[10:11], -1
	s_and_saveexec_b64 s[16:17], s[10:11]
	s_xor_b64 s[10:11], exec, s[16:17]
	s_cbranch_execz .LBB40_49
; %bb.48:                               ;   in Loop: Header=BB40_7 Depth=2
	v_mov_b32_e32 v0, v28
	v_mov_b32_e32 v1, v28
	ds_write_b64 v48, v[0:1] offset:4096
.LBB40_49:                              ;   in Loop: Header=BB40_7 Depth=2
	s_andn2_saveexec_b64 s[16:17], s[10:11]
	s_cbranch_execz .LBB40_51
; %bb.50:                               ;   in Loop: Header=BB40_7 Depth=2
	v_mov_b32_e32 v1, s21
	v_add_co_u32_e64 v0, s[10:11], s20, v40
	v_addc_co_u32_e64 v1, s[10:11], v41, v1, s[10:11]
	global_load_dwordx2 v[0:1], v[0:1], off offset:-128
	s_waitcnt vmcnt(0)
	ds_write_b64 v48, v[0:1] offset:4096
.LBB40_51:                              ;   in Loop: Header=BB40_7 Depth=2
	s_or_b64 exec, exec, s[16:17]
	s_and_b64 s[10:11], s[8:9], s[12:13]
	s_xor_b64 s[10:11], s[10:11], -1
	s_and_saveexec_b64 s[12:13], s[10:11]
	s_xor_b64 s[10:11], exec, s[12:13]
	s_cbranch_execz .LBB40_53
; %bb.52:                               ;   in Loop: Header=BB40_7 Depth=2
	v_mov_b32_e32 v0, v28
	v_mov_b32_e32 v1, v28
	ds_write_b64 v48, v[0:1] offset:4224
.LBB40_53:                              ;   in Loop: Header=BB40_7 Depth=2
	s_andn2_saveexec_b64 s[12:13], s[10:11]
	s_cbranch_execz .LBB40_6
; %bb.54:                               ;   in Loop: Header=BB40_7 Depth=2
	v_mov_b32_e32 v1, s21
	v_add_co_u32_e64 v0, s[10:11], s20, v40
	v_addc_co_u32_e64 v1, s[10:11], v41, v1, s[10:11]
	global_load_dwordx2 v[0:1], v[0:1], off
	s_waitcnt vmcnt(0)
	ds_write_b64 v48, v[0:1] offset:4224
	s_branch .LBB40_6
.LBB40_55:                              ;   in Loop: Header=BB40_4 Depth=1
	v_mul_lo_u32 v2, v52, s44
	v_mul_lo_u32 v3, v51, s45
	v_mad_u64_u32 v[0:1], s[8:9], v51, s44, 0
	v_add3_u32 v1, v1, v3, v2
	v_lshlrev_b64 v[0:1], 3, v[0:1]
	v_mov_b32_e32 v2, s49
	v_add_co_u32_e64 v0, s[8:9], s48, v0
	v_cmp_gt_i32_e32 vcc, s30, v51
	v_addc_co_u32_e64 v1, s[8:9], v2, v1, s[8:9]
	s_and_b64 s[8:9], s[4:5], vcc
	s_and_saveexec_b64 s[10:11], s[8:9]
	s_cbranch_execz .LBB40_57
; %bb.56:                               ;   in Loop: Header=BB40_4 Depth=1
	v_add_co_u32_e64 v2, s[8:9], v0, v22
	v_addc_co_u32_e64 v3, s[8:9], v1, v23, s[8:9]
	global_load_dwordx2 v[4:5], v[2:3], off
	s_waitcnt vmcnt(0)
	v_fmac_f64_e32 v[4:5], s[34:35], v[36:37]
	global_store_dwordx2 v[2:3], v[4:5], off
.LBB40_57:                              ;   in Loop: Header=BB40_4 Depth=1
	s_or_b64 exec, exec, s[10:11]
	s_and_b64 s[10:11], s[14:15], vcc
	s_and_saveexec_b64 s[8:9], s[10:11]
	s_cbranch_execz .LBB40_59
; %bb.58:                               ;   in Loop: Header=BB40_4 Depth=1
	v_lshlrev_b64 v[2:3], 3, v[14:15]
	v_add_co_u32_e32 v0, vcc, v0, v2
	v_addc_co_u32_e32 v1, vcc, v1, v3, vcc
	global_load_dwordx2 v[2:3], v[0:1], off
	s_waitcnt vmcnt(0)
	v_fmac_f64_e32 v[2:3], s[34:35], v[34:35]
	global_store_dwordx2 v[0:1], v[2:3], off
.LBB40_59:                              ;   in Loop: Header=BB40_4 Depth=1
	s_or_b64 exec, exec, s[8:9]
	v_add_u32_e32 v0, 16, v51
	v_ashrrev_i32_e32 v1, 31, v0
	v_cmp_gt_i32_e32 vcc, s30, v0
	v_mul_lo_u32 v2, v1, s44
	v_mul_lo_u32 v3, v0, s45
	v_mad_u64_u32 v[0:1], s[8:9], v0, s44, 0
	v_add3_u32 v1, v1, v3, v2
	v_lshlrev_b64 v[0:1], 3, v[0:1]
	v_mov_b32_e32 v2, s49
	v_add_co_u32_e64 v0, s[8:9], s48, v0
	v_addc_co_u32_e64 v1, s[8:9], v2, v1, s[8:9]
	s_and_b64 s[8:9], s[4:5], vcc
	s_and_saveexec_b64 s[10:11], s[8:9]
	s_cbranch_execz .LBB40_61
; %bb.60:                               ;   in Loop: Header=BB40_4 Depth=1
	v_add_co_u32_e64 v2, s[8:9], v0, v22
	v_addc_co_u32_e64 v3, s[8:9], v1, v23, s[8:9]
	global_load_dwordx2 v[4:5], v[2:3], off
	s_waitcnt vmcnt(0)
	v_fmac_f64_e32 v[4:5], s[34:35], v[32:33]
	global_store_dwordx2 v[2:3], v[4:5], off
.LBB40_61:                              ;   in Loop: Header=BB40_4 Depth=1
	s_or_b64 exec, exec, s[10:11]
	s_and_b64 s[10:11], s[14:15], vcc
	s_and_saveexec_b64 s[8:9], s[10:11]
	s_cbranch_execz .LBB40_3
; %bb.62:                               ;   in Loop: Header=BB40_4 Depth=1
	v_lshlrev_b64 v[2:3], 3, v[14:15]
	v_add_co_u32_e32 v0, vcc, v0, v2
	v_addc_co_u32_e32 v1, vcc, v1, v3, vcc
	global_load_dwordx2 v[2:3], v[0:1], off
	s_waitcnt vmcnt(0)
	v_fmac_f64_e32 v[2:3], s[34:35], v[30:31]
	global_store_dwordx2 v[0:1], v[2:3], off
	s_branch .LBB40_3
.LBB40_63:
	s_endpgm
	.section	.rodata,"a",@progbits
	.p2align	6, 0x0
	.amdhsa_kernel _ZL30rocblas_trmm_outofplace_kernelIdLi32ELi2ELb1ELb0ELb1ELb0EPKdS0_dEv17rocblas_diagonal_iiT6_lPT7_lllS5_lllPT8_llli
		.amdhsa_group_segment_fixed_size 16384
		.amdhsa_private_segment_fixed_size 0
		.amdhsa_kernarg_size 392
		.amdhsa_user_sgpr_count 6
		.amdhsa_user_sgpr_private_segment_buffer 1
		.amdhsa_user_sgpr_dispatch_ptr 0
		.amdhsa_user_sgpr_queue_ptr 0
		.amdhsa_user_sgpr_kernarg_segment_ptr 1
		.amdhsa_user_sgpr_dispatch_id 0
		.amdhsa_user_sgpr_flat_scratch_init 0
		.amdhsa_user_sgpr_kernarg_preload_length 0
		.amdhsa_user_sgpr_kernarg_preload_offset 0
		.amdhsa_user_sgpr_private_segment_size 0
		.amdhsa_uses_dynamic_stack 0
		.amdhsa_system_sgpr_private_segment_wavefront_offset 0
		.amdhsa_system_sgpr_workgroup_id_x 1
		.amdhsa_system_sgpr_workgroup_id_y 1
		.amdhsa_system_sgpr_workgroup_id_z 1
		.amdhsa_system_sgpr_workgroup_info 0
		.amdhsa_system_vgpr_workitem_id 1
		.amdhsa_next_free_vgpr 78
		.amdhsa_next_free_sgpr 54
		.amdhsa_accum_offset 80
		.amdhsa_reserve_vcc 1
		.amdhsa_reserve_flat_scratch 0
		.amdhsa_float_round_mode_32 0
		.amdhsa_float_round_mode_16_64 0
		.amdhsa_float_denorm_mode_32 3
		.amdhsa_float_denorm_mode_16_64 3
		.amdhsa_dx10_clamp 1
		.amdhsa_ieee_mode 1
		.amdhsa_fp16_overflow 0
		.amdhsa_tg_split 0
		.amdhsa_exception_fp_ieee_invalid_op 0
		.amdhsa_exception_fp_denorm_src 0
		.amdhsa_exception_fp_ieee_div_zero 0
		.amdhsa_exception_fp_ieee_overflow 0
		.amdhsa_exception_fp_ieee_underflow 0
		.amdhsa_exception_fp_ieee_inexact 0
		.amdhsa_exception_int_div_zero 0
	.end_amdhsa_kernel
	.section	.text._ZL30rocblas_trmm_outofplace_kernelIdLi32ELi2ELb1ELb0ELb1ELb0EPKdS0_dEv17rocblas_diagonal_iiT6_lPT7_lllS5_lllPT8_llli,"axG",@progbits,_ZL30rocblas_trmm_outofplace_kernelIdLi32ELi2ELb1ELb0ELb1ELb0EPKdS0_dEv17rocblas_diagonal_iiT6_lPT7_lllS5_lllPT8_llli,comdat
.Lfunc_end40:
	.size	_ZL30rocblas_trmm_outofplace_kernelIdLi32ELi2ELb1ELb0ELb1ELb0EPKdS0_dEv17rocblas_diagonal_iiT6_lPT7_lllS5_lllPT8_llli, .Lfunc_end40-_ZL30rocblas_trmm_outofplace_kernelIdLi32ELi2ELb1ELb0ELb1ELb0EPKdS0_dEv17rocblas_diagonal_iiT6_lPT7_lllS5_lllPT8_llli
                                        ; -- End function
	.section	.AMDGPU.csdata,"",@progbits
; Kernel info:
; codeLenInByte = 3464
; NumSgprs: 58
; NumVgprs: 78
; NumAgprs: 0
; TotalNumVgprs: 78
; ScratchSize: 0
; MemoryBound: 1
; FloatMode: 240
; IeeeMode: 1
; LDSByteSize: 16384 bytes/workgroup (compile time only)
; SGPRBlocks: 7
; VGPRBlocks: 9
; NumSGPRsForWavesPerEU: 58
; NumVGPRsForWavesPerEU: 78
; AccumOffset: 80
; Occupancy: 6
; WaveLimiterHint : 0
; COMPUTE_PGM_RSRC2:SCRATCH_EN: 0
; COMPUTE_PGM_RSRC2:USER_SGPR: 6
; COMPUTE_PGM_RSRC2:TRAP_HANDLER: 0
; COMPUTE_PGM_RSRC2:TGID_X_EN: 1
; COMPUTE_PGM_RSRC2:TGID_Y_EN: 1
; COMPUTE_PGM_RSRC2:TGID_Z_EN: 1
; COMPUTE_PGM_RSRC2:TIDIG_COMP_CNT: 1
; COMPUTE_PGM_RSRC3_GFX90A:ACCUM_OFFSET: 19
; COMPUTE_PGM_RSRC3_GFX90A:TG_SPLIT: 0
	.section	.text._ZL30rocblas_trmm_outofplace_kernelIdLi32ELi2ELb1ELb0ELb1ELb0EdKddEv17rocblas_diagonal_iiT6_lPT7_lllS4_lllPT8_llli,"axG",@progbits,_ZL30rocblas_trmm_outofplace_kernelIdLi32ELi2ELb1ELb0ELb1ELb0EdKddEv17rocblas_diagonal_iiT6_lPT7_lllS4_lllPT8_llli,comdat
	.globl	_ZL30rocblas_trmm_outofplace_kernelIdLi32ELi2ELb1ELb0ELb1ELb0EdKddEv17rocblas_diagonal_iiT6_lPT7_lllS4_lllPT8_llli ; -- Begin function _ZL30rocblas_trmm_outofplace_kernelIdLi32ELi2ELb1ELb0ELb1ELb0EdKddEv17rocblas_diagonal_iiT6_lPT7_lllS4_lllPT8_llli
	.p2align	8
	.type	_ZL30rocblas_trmm_outofplace_kernelIdLi32ELi2ELb1ELb0ELb1ELb0EdKddEv17rocblas_diagonal_iiT6_lPT7_lllS4_lllPT8_llli,@function
_ZL30rocblas_trmm_outofplace_kernelIdLi32ELi2ELb1ELb0ELb1ELb0EdKddEv17rocblas_diagonal_iiT6_lPT7_lllS4_lllPT8_llli: ; @_ZL30rocblas_trmm_outofplace_kernelIdLi32ELi2ELb1ELb0ELb1ELb0EdKddEv17rocblas_diagonal_iiT6_lPT7_lllS4_lllPT8_llli
; %bb.0:
	s_load_dwordx2 s[34:35], s[4:5], 0x10
	s_waitcnt lgkmcnt(0)
	v_cmp_eq_f64_e64 s[0:1], s[34:35], 0
	s_and_b64 vcc, exec, s[0:1]
	s_cbranch_vccnz .LBB41_63
; %bb.1:
	s_load_dwordx4 s[28:31], s[4:5], 0x0
	s_waitcnt lgkmcnt(0)
	s_add_i32 s0, s30, -1
	s_ashr_i32 s1, s0, 31
	s_lshr_b32 s1, s1, 27
	s_add_i32 s0, s0, s1
	s_ashr_i32 s31, s0, 5
	s_cmp_gt_i32 s7, s31
	s_cbranch_scc1 .LBB41_63
; %bb.2:
	s_load_dwordx16 s[12:27], s[4:5], 0x20
	s_load_dwordx8 s[36:43], s[4:5], 0x60
	v_and_b32_e32 v2, 0x3ff, v0
	v_bfe_u32 v42, v0, 10, 10
	s_load_dword s50, s[4:5], 0x8c
	s_waitcnt lgkmcnt(0)
	s_mul_i32 s1, s8, s19
	s_mul_hi_u32 s2, s8, s18
	s_mul_i32 s0, s8, s18
	s_add_i32 s1, s2, s1
	s_lshl_b64 s[10:11], s[0:1], 3
	s_add_u32 s0, s12, s10
	s_addc_u32 s1, s13, s11
	s_lshl_b64 s[44:45], s[14:15], 3
	s_add_u32 s2, s0, s44
	s_addc_u32 s3, s1, s45
	s_mul_i32 s0, s8, s43
	s_mul_hi_u32 s1, s8, s42
	s_add_i32 s1, s1, s0
	s_mul_i32 s0, s8, s42
	s_lshl_b64 s[0:1], s[0:1], 3
	s_add_u32 s9, s36, s0
	s_addc_u32 s14, s37, s1
	s_lshl_b64 s[0:1], s[38:39], 3
	s_add_u32 s33, s9, s0
	s_addc_u32 s48, s14, s1
	s_lshl_b32 s6, s6, 5
	v_add_u32_e32 v10, s6, v2
	v_ashrrev_i32_e32 v11, 31, v10
	v_mul_lo_u32 v3, v11, s16
	v_mul_lo_u32 v4, v10, s17
	v_mad_u64_u32 v[0:1], s[0:1], v10, s16, 0
	v_add3_u32 v1, v1, v4, v3
	v_add_u32_e32 v8, s6, v42
	v_lshlrev_b64 v[0:1], 3, v[0:1]
	v_ashrrev_i32_e32 v9, 31, v8
	v_mov_b32_e32 v3, s3
	v_add_co_u32_e32 v4, vcc, s2, v0
	v_addc_co_u32_e32 v3, vcc, v3, v1, vcc
	v_lshlrev_b64 v[0:1], 3, v[8:9]
	v_add_co_u32_e32 v43, vcc, v4, v0
	s_sub_i32 s6, s29, s6
	v_addc_co_u32_e32 v44, vcc, v3, v1, vcc
	s_cmp_gt_i32 s6, 0
	s_cselect_b64 s[18:19], -1, 0
	s_cmpk_eq_i32 s28, 0x84
	v_add_co_u32_e32 v12, vcc, 16, v10
	s_cselect_b64 s[36:37], -1, 0
	s_ashr_i32 s39, s29, 31
	s_ashr_i32 s49, s30, 31
	v_addc_co_u32_e32 v13, vcc, 0, v11, vcc
	s_add_u32 s42, s29, -16
	v_sub_co_u32_e32 v16, vcc, v10, v8
	s_mul_i32 s9, s27, s8
	s_mul_hi_u32 s27, s26, s8
	s_addc_u32 s43, s39, -1
	v_subb_co_u32_e32 v17, vcc, v11, v9, vcc
	s_add_i32 s9, s27, s9
	s_mul_i32 s8, s26, s8
	v_add_co_u32_e32 v18, vcc, 16, v16
	s_lshl_b64 s[8:9], s[8:9], 3
	s_lshl_b64 s[22:23], s[22:23], 3
	v_addc_co_u32_e32 v19, vcc, 0, v17, vcc
	s_add_u32 s8, s8, s22
	v_add_co_u32_e32 v20, vcc, -16, v16
	s_addc_u32 s9, s9, s23
	v_addc_co_u32_e32 v21, vcc, -1, v17, vcc
	v_lshlrev_b64 v[22:23], 3, v[10:11]
	s_add_u32 s8, s20, s8
	s_movk_i32 s20, 0x80
	v_add_co_u32_e32 v4, vcc, s20, v22
	v_lshlrev_b32_e32 v45, 3, v2
	s_addc_u32 s9, s21, s9
	v_addc_co_u32_e32 v2, vcc, 0, v23, vcc
	s_lshl_b64 s[20:21], s[24:25], 3
	s_lshl_b32 s51, s50, 5
	v_lshlrev_b32_e32 v3, 8, v42
	v_add_co_u32_e32 v24, vcc, s8, v4
	s_add_u32 s8, s44, s10
	v_add_u32_e32 v46, v45, v3
	v_add_u32_e32 v47, 0x2000, v3
	v_mov_b32_e32 v3, s9
	s_addc_u32 s9, s45, s11
	v_addc_co_u32_e32 v25, vcc, v2, v3, vcc
	v_mul_lo_u32 v5, s16, v2
	v_pk_mov_b32 v[2:3], s[8:9], s[8:9] op_sel:[0,1]
	v_mul_lo_u32 v6, s17, v4
	v_mad_u64_u32 v[2:3], s[8:9], s16, v4, v[2:3]
	v_add3_u32 v3, v6, v3, v5
	v_add_co_u32_e32 v0, vcc, v2, v0
	v_addc_co_u32_e32 v1, vcc, v3, v1, vcc
	s_mov_b32 s38, s29
	v_add_u32_e32 v14, 16, v10
	v_mov_b32_e32 v2, s13
	v_add_co_u32_e32 v49, vcc, s12, v0
	v_cmp_le_i32_e64 s[0:1], s29, v10
	v_cmp_le_i64_e64 s[2:3], s[38:39], v[12:13]
	v_add_u32_e32 v48, v47, v45
	v_cmp_gt_i32_e64 s[4:5], s29, v10
	v_cmp_gt_i32_e64 s[14:15], s29, v14
	v_ashrrev_i32_e32 v15, 31, v14
	v_lshl_add_u32 v26, s7, 5, v42
	v_addc_co_u32_e32 v50, vcc, v2, v1, vcc
	v_mov_b32_e32 v28, 0
	v_mov_b32_e32 v29, 0x3ff00000
	s_branch .LBB41_4
.LBB41_3:                               ;   in Loop: Header=BB41_4 Depth=1
	s_or_b64 exec, exec, s[8:9]
	s_add_i32 s7, s50, s7
	s_cmp_le_i32 s7, s31
	v_add_u32_e32 v26, s51, v26
	s_cbranch_scc0 .LBB41_63
.LBB41_4:                               ; =>This Loop Header: Depth=1
                                        ;     Child Loop BB41_7 Depth 2
	v_lshl_add_u32 v51, s7, 5, v42
	v_pk_mov_b32 v[36:37], 0, 0
	v_ashrrev_i32_e32 v52, 31, v51
	s_mov_b64 s[22:23], 0
	s_andn2_b64 vcc, exec, s[18:19]
	v_pk_mov_b32 v[34:35], v[36:37], v[36:37] op_sel:[0,1]
	v_pk_mov_b32 v[32:33], v[36:37], v[36:37] op_sel:[0,1]
	;; [unrolled: 1-line block ×3, first 2 shown]
	s_cbranch_vccnz .LBB41_55
; %bb.5:                                ;   in Loop: Header=BB41_4 Depth=1
	v_ashrrev_i32_e32 v27, 31, v26
	v_mad_u64_u32 v[38:39], s[8:9], s20, v26, v[24:25]
	v_mul_lo_u32 v0, s21, v26
	v_mul_lo_u32 v1, s20, v27
	v_add3_u32 v39, v0, v39, v1
	v_lshlrev_b64 v[0:1], 3, v[26:27]
	v_add_co_u32_e32 v0, vcc, 0x80, v0
	v_addc_co_u32_e32 v1, vcc, 0, v1, vcc
	v_mul_lo_u32 v1, s24, v1
	v_mul_lo_u32 v2, s25, v0
	v_mad_u64_u32 v[40:41], s[8:9], s24, v0, v[24:25]
	v_add3_u32 v41, v2, v41, v1
	v_mov_b32_e32 v1, s49
	v_sub_co_u32_e32 v0, vcc, s30, v51
	v_subb_co_u32_e32 v1, vcc, v1, v52, vcc
	v_pk_mov_b32 v[30:31], 0, 0
	v_cmp_lt_i64_e32 vcc, 0, v[0:1]
	v_cmp_lt_i64_e64 s[8:9], 16, v[0:1]
	s_mov_b64 s[26:27], 0
	v_pk_mov_b32 v[32:33], v[30:31], v[30:31] op_sel:[0,1]
	v_pk_mov_b32 v[34:35], v[30:31], v[30:31] op_sel:[0,1]
	;; [unrolled: 1-line block ×3, first 2 shown]
	s_branch .LBB41_7
.LBB41_6:                               ;   in Loop: Header=BB41_7 Depth=2
	s_or_b64 exec, exec, s[12:13]
	s_waitcnt lgkmcnt(0)
	s_barrier
	ds_read2_b64 v[54:57], v45 offset1:16
	ds_read_b128 v[58:61], v47
	ds_read_b128 v[62:65], v47 offset:16
	ds_read_b128 v[4:7], v47 offset:32
	;; [unrolled: 1-line block ×4, first 2 shown]
	ds_read2_b64 v[70:73], v45 offset0:32 offset1:48
	s_waitcnt lgkmcnt(5)
	v_fmac_f64_e32 v[36:37], v[54:55], v[58:59]
	v_fmac_f64_e32 v[34:35], v[56:57], v[58:59]
	ds_read_b128 v[74:77], v47 offset:4112
	s_waitcnt lgkmcnt(2)
	v_fmac_f64_e32 v[32:33], v[54:55], v[66:67]
	v_fmac_f64_e32 v[30:31], v[56:57], v[66:67]
	ds_read2_b64 v[54:57], v45 offset0:64 offset1:80
	s_waitcnt lgkmcnt(2)
	v_fmac_f64_e32 v[36:37], v[70:71], v[60:61]
	v_fmac_f64_e32 v[34:35], v[72:73], v[60:61]
	ds_read2_b64 v[58:61], v45 offset0:96 offset1:112
	v_fmac_f64_e32 v[32:33], v[70:71], v[68:69]
	v_fmac_f64_e32 v[30:31], v[72:73], v[68:69]
	ds_read_b128 v[66:69], v47 offset:4144
	s_waitcnt lgkmcnt(2)
	v_fmac_f64_e32 v[36:37], v[54:55], v[62:63]
	v_fmac_f64_e32 v[34:35], v[56:57], v[62:63]
	;; [unrolled: 1-line block ×4, first 2 shown]
	s_waitcnt lgkmcnt(1)
	v_fmac_f64_e32 v[36:37], v[58:59], v[64:65]
	ds_read2_b64 v[54:57], v45 offset0:128 offset1:144
	v_fmac_f64_e32 v[34:35], v[60:61], v[64:65]
	v_fmac_f64_e32 v[32:33], v[58:59], v[76:77]
	;; [unrolled: 1-line block ×3, first 2 shown]
	ds_read_b128 v[58:61], v47 offset:4128
	ds_read2_b64 v[62:65], v45 offset0:160 offset1:176
	s_waitcnt lgkmcnt(2)
	v_fmac_f64_e32 v[36:37], v[54:55], v[4:5]
	v_fmac_f64_e32 v[34:35], v[56:57], v[4:5]
	v_add_u32_e32 v27, 0x800, v45
	s_waitcnt lgkmcnt(1)
	v_fmac_f64_e32 v[32:33], v[54:55], v[58:59]
	v_fmac_f64_e32 v[30:31], v[56:57], v[58:59]
	ds_read2_b64 v[54:57], v45 offset0:192 offset1:208
	s_waitcnt lgkmcnt(1)
	v_fmac_f64_e32 v[36:37], v[62:63], v[6:7]
	v_fmac_f64_e32 v[34:35], v[64:65], v[6:7]
	ds_read2_b64 v[4:7], v45 offset0:224 offset1:240
	v_fmac_f64_e32 v[32:33], v[62:63], v[60:61]
	v_fmac_f64_e32 v[30:31], v[64:65], v[60:61]
	s_waitcnt lgkmcnt(1)
	v_fmac_f64_e32 v[36:37], v[54:55], v[0:1]
	v_fmac_f64_e32 v[34:35], v[56:57], v[0:1]
	;; [unrolled: 1-line block ×4, first 2 shown]
	s_waitcnt lgkmcnt(0)
	v_fmac_f64_e32 v[36:37], v[4:5], v[2:3]
	v_fmac_f64_e32 v[34:35], v[6:7], v[2:3]
	ds_read2_b64 v[0:3], v27 offset1:16
	ds_read_b128 v[54:57], v47 offset:64
	v_fmac_f64_e32 v[32:33], v[4:5], v[68:69]
	v_fmac_f64_e32 v[30:31], v[6:7], v[68:69]
	ds_read_b128 v[4:7], v47 offset:80
	ds_read_b128 v[58:61], v47 offset:4160
	ds_read2_b64 v[62:65], v27 offset0:32 offset1:48
	s_waitcnt lgkmcnt(3)
	v_fmac_f64_e32 v[36:37], v[0:1], v[54:55]
	v_fmac_f64_e32 v[34:35], v[2:3], v[54:55]
	ds_read_b128 v[66:69], v47 offset:4176
	s_waitcnt lgkmcnt(2)
	v_fmac_f64_e32 v[32:33], v[0:1], v[58:59]
	v_fmac_f64_e32 v[30:31], v[2:3], v[58:59]
	ds_read2_b64 v[0:3], v27 offset0:64 offset1:80
	s_waitcnt lgkmcnt(2)
	v_fmac_f64_e32 v[36:37], v[62:63], v[56:57]
	v_fmac_f64_e32 v[34:35], v[64:65], v[56:57]
	ds_read2_b64 v[54:57], v27 offset0:96 offset1:112
	v_fmac_f64_e32 v[32:33], v[62:63], v[60:61]
	v_fmac_f64_e32 v[30:31], v[64:65], v[60:61]
	s_waitcnt lgkmcnt(1)
	v_fmac_f64_e32 v[36:37], v[0:1], v[4:5]
	v_fmac_f64_e32 v[34:35], v[2:3], v[4:5]
	;; [unrolled: 1-line block ×4, first 2 shown]
	s_waitcnt lgkmcnt(0)
	v_fmac_f64_e32 v[36:37], v[54:55], v[6:7]
	v_fmac_f64_e32 v[34:35], v[56:57], v[6:7]
	ds_read2_b64 v[0:3], v27 offset0:128 offset1:144
	ds_read_b128 v[4:7], v47 offset:96
	v_fmac_f64_e32 v[32:33], v[54:55], v[68:69]
	v_fmac_f64_e32 v[30:31], v[56:57], v[68:69]
	ds_read_b128 v[54:57], v47 offset:112
	ds_read_b128 v[58:61], v47 offset:4192
	ds_read2_b64 v[62:65], v27 offset0:160 offset1:176
	s_waitcnt lgkmcnt(3)
	v_fmac_f64_e32 v[36:37], v[0:1], v[4:5]
	v_fmac_f64_e32 v[34:35], v[2:3], v[4:5]
	ds_read_b128 v[66:69], v47 offset:4208
	s_waitcnt lgkmcnt(2)
	v_fmac_f64_e32 v[32:33], v[0:1], v[58:59]
	v_fmac_f64_e32 v[30:31], v[2:3], v[58:59]
	ds_read2_b64 v[0:3], v27 offset0:192 offset1:208
	s_waitcnt lgkmcnt(2)
	v_fmac_f64_e32 v[36:37], v[62:63], v[6:7]
	v_fmac_f64_e32 v[34:35], v[64:65], v[6:7]
	ds_read2_b64 v[4:7], v27 offset0:224 offset1:240
	v_fmac_f64_e32 v[32:33], v[62:63], v[60:61]
	v_fmac_f64_e32 v[30:31], v[64:65], v[60:61]
	s_waitcnt lgkmcnt(1)
	v_fmac_f64_e32 v[36:37], v[0:1], v[54:55]
	v_fmac_f64_e32 v[34:35], v[2:3], v[54:55]
	;; [unrolled: 1-line block ×4, first 2 shown]
	v_add_u32_e32 v27, 0x1000, v45
	s_waitcnt lgkmcnt(0)
	v_fmac_f64_e32 v[36:37], v[4:5], v[56:57]
	v_fmac_f64_e32 v[34:35], v[6:7], v[56:57]
	ds_read2_b64 v[0:3], v27 offset1:16
	ds_read_b128 v[54:57], v47 offset:128
	v_fmac_f64_e32 v[32:33], v[4:5], v[68:69]
	v_fmac_f64_e32 v[30:31], v[6:7], v[68:69]
	ds_read_b128 v[4:7], v47 offset:144
	ds_read_b128 v[58:61], v47 offset:4224
	ds_read2_b64 v[62:65], v27 offset0:32 offset1:48
	s_waitcnt lgkmcnt(3)
	v_fmac_f64_e32 v[36:37], v[0:1], v[54:55]
	v_fmac_f64_e32 v[34:35], v[2:3], v[54:55]
	ds_read_b128 v[66:69], v47 offset:4240
	s_waitcnt lgkmcnt(2)
	v_fmac_f64_e32 v[32:33], v[0:1], v[58:59]
	v_fmac_f64_e32 v[30:31], v[2:3], v[58:59]
	ds_read2_b64 v[0:3], v27 offset0:64 offset1:80
	s_waitcnt lgkmcnt(2)
	v_fmac_f64_e32 v[36:37], v[62:63], v[56:57]
	v_fmac_f64_e32 v[34:35], v[64:65], v[56:57]
	ds_read2_b64 v[54:57], v27 offset0:96 offset1:112
	v_fmac_f64_e32 v[32:33], v[62:63], v[60:61]
	v_fmac_f64_e32 v[30:31], v[64:65], v[60:61]
	s_waitcnt lgkmcnt(1)
	v_fmac_f64_e32 v[36:37], v[0:1], v[4:5]
	v_fmac_f64_e32 v[34:35], v[2:3], v[4:5]
	;; [unrolled: 1-line block ×4, first 2 shown]
	s_waitcnt lgkmcnt(0)
	v_fmac_f64_e32 v[36:37], v[54:55], v[6:7]
	v_fmac_f64_e32 v[34:35], v[56:57], v[6:7]
	ds_read2_b64 v[0:3], v27 offset0:128 offset1:144
	ds_read_b128 v[4:7], v47 offset:160
	v_fmac_f64_e32 v[32:33], v[54:55], v[68:69]
	v_fmac_f64_e32 v[30:31], v[56:57], v[68:69]
	ds_read_b128 v[54:57], v47 offset:176
	ds_read_b128 v[58:61], v47 offset:4256
	ds_read2_b64 v[62:65], v27 offset0:160 offset1:176
	s_waitcnt lgkmcnt(3)
	v_fmac_f64_e32 v[36:37], v[0:1], v[4:5]
	v_fmac_f64_e32 v[34:35], v[2:3], v[4:5]
	ds_read_b128 v[66:69], v47 offset:4272
	s_waitcnt lgkmcnt(2)
	v_fmac_f64_e32 v[32:33], v[0:1], v[58:59]
	v_fmac_f64_e32 v[30:31], v[2:3], v[58:59]
	ds_read2_b64 v[0:3], v27 offset0:192 offset1:208
	s_waitcnt lgkmcnt(2)
	v_fmac_f64_e32 v[36:37], v[62:63], v[6:7]
	v_fmac_f64_e32 v[34:35], v[64:65], v[6:7]
	ds_read2_b64 v[4:7], v27 offset0:224 offset1:240
	v_fmac_f64_e32 v[32:33], v[62:63], v[60:61]
	v_fmac_f64_e32 v[30:31], v[64:65], v[60:61]
	s_waitcnt lgkmcnt(1)
	v_fmac_f64_e32 v[36:37], v[0:1], v[54:55]
	v_fmac_f64_e32 v[34:35], v[2:3], v[54:55]
	;; [unrolled: 1-line block ×4, first 2 shown]
	v_add_u32_e32 v27, 0x1800, v45
	s_waitcnt lgkmcnt(0)
	v_fmac_f64_e32 v[36:37], v[4:5], v[56:57]
	v_fmac_f64_e32 v[34:35], v[6:7], v[56:57]
	ds_read2_b64 v[0:3], v27 offset1:16
	ds_read_b128 v[54:57], v47 offset:192
	v_fmac_f64_e32 v[32:33], v[4:5], v[68:69]
	v_fmac_f64_e32 v[30:31], v[6:7], v[68:69]
	ds_read_b128 v[4:7], v47 offset:208
	ds_read_b128 v[58:61], v47 offset:4288
	ds_read2_b64 v[62:65], v27 offset0:32 offset1:48
	s_waitcnt lgkmcnt(3)
	v_fmac_f64_e32 v[36:37], v[0:1], v[54:55]
	v_fmac_f64_e32 v[34:35], v[2:3], v[54:55]
	ds_read_b128 v[66:69], v47 offset:4304
	s_waitcnt lgkmcnt(2)
	v_fmac_f64_e32 v[32:33], v[0:1], v[58:59]
	v_fmac_f64_e32 v[30:31], v[2:3], v[58:59]
	ds_read2_b64 v[0:3], v27 offset0:64 offset1:80
	s_waitcnt lgkmcnt(2)
	v_fmac_f64_e32 v[36:37], v[62:63], v[56:57]
	v_fmac_f64_e32 v[34:35], v[64:65], v[56:57]
	ds_read2_b64 v[54:57], v27 offset0:96 offset1:112
	v_fmac_f64_e32 v[32:33], v[62:63], v[60:61]
	v_fmac_f64_e32 v[30:31], v[64:65], v[60:61]
	s_waitcnt lgkmcnt(1)
	v_fmac_f64_e32 v[36:37], v[0:1], v[4:5]
	v_fmac_f64_e32 v[34:35], v[2:3], v[4:5]
	;; [unrolled: 1-line block ×4, first 2 shown]
	s_waitcnt lgkmcnt(0)
	v_fmac_f64_e32 v[36:37], v[54:55], v[6:7]
	v_fmac_f64_e32 v[34:35], v[56:57], v[6:7]
	ds_read2_b64 v[0:3], v27 offset0:128 offset1:144
	ds_read_b128 v[4:7], v47 offset:224
	v_fmac_f64_e32 v[32:33], v[54:55], v[68:69]
	v_fmac_f64_e32 v[30:31], v[56:57], v[68:69]
	ds_read_b128 v[54:57], v47 offset:240
	ds_read_b128 v[58:61], v47 offset:4320
	ds_read2_b64 v[62:65], v27 offset0:160 offset1:176
	s_waitcnt lgkmcnt(3)
	v_fmac_f64_e32 v[36:37], v[0:1], v[4:5]
	v_fmac_f64_e32 v[34:35], v[2:3], v[4:5]
	ds_read_b128 v[66:69], v47 offset:4336
	s_waitcnt lgkmcnt(2)
	v_fmac_f64_e32 v[32:33], v[0:1], v[58:59]
	v_fmac_f64_e32 v[30:31], v[2:3], v[58:59]
	ds_read2_b64 v[0:3], v27 offset0:192 offset1:208
	s_waitcnt lgkmcnt(2)
	v_fmac_f64_e32 v[36:37], v[62:63], v[6:7]
	v_fmac_f64_e32 v[34:35], v[64:65], v[6:7]
	ds_read2_b64 v[4:7], v27 offset0:224 offset1:240
	s_add_u32 s26, s26, 32
	s_addc_u32 s27, s27, 0
	v_fmac_f64_e32 v[32:33], v[62:63], v[60:61]
	v_fmac_f64_e32 v[30:31], v[64:65], v[60:61]
	s_add_u32 s22, s22, 0x100
	s_waitcnt lgkmcnt(1)
	v_fmac_f64_e32 v[36:37], v[0:1], v[54:55]
	v_fmac_f64_e32 v[34:35], v[2:3], v[54:55]
	v_fmac_f64_e32 v[32:33], v[0:1], v[66:67]
	v_fmac_f64_e32 v[30:31], v[2:3], v[66:67]
	s_addc_u32 s23, s23, 0
	s_waitcnt lgkmcnt(0)
	v_fmac_f64_e32 v[36:37], v[4:5], v[56:57]
	v_fmac_f64_e32 v[34:35], v[6:7], v[56:57]
	;; [unrolled: 1-line block ×4, first 2 shown]
	s_cmp_ge_i32 s26, s6
	s_barrier
	s_cbranch_scc1 .LBB41_55
.LBB41_7:                               ;   Parent Loop BB41_4 Depth=1
                                        ; =>  This Inner Loop Header: Depth=2
	v_mov_b32_e32 v0, s27
	v_add_co_u32_e64 v2, s[10:11], s26, v8
	v_addc_co_u32_e64 v3, s[10:11], v9, v0, s[10:11]
	v_mov_b32_e32 v1, s23
	v_add_co_u32_e64 v0, s[10:11], s22, v43
	v_addc_co_u32_e64 v1, s[10:11], v44, v1, s[10:11]
	v_cmp_eq_u64_e64 s[10:11], s[26:27], v[16:17]
	v_cmp_le_i64_e64 s[12:13], s[38:39], v[2:3]
	s_and_b64 s[44:45], s[36:37], s[10:11]
	v_cmp_lt_i64_e64 s[10:11], v[2:3], v[10:11]
	s_or_b64 s[16:17], s[12:13], s[10:11]
	s_or_b64 s[16:17], s[16:17], s[44:45]
	s_or_b64 s[16:17], s[0:1], s[16:17]
	s_xor_b64 s[16:17], s[16:17], -1
	s_and_saveexec_b64 s[28:29], s[16:17]
	s_xor_b64 s[16:17], exec, s[28:29]
	s_cbranch_execz .LBB41_9
; %bb.8:                                ;   in Loop: Header=BB41_7 Depth=2
	global_load_dwordx2 v[4:5], v[0:1], off
	s_waitcnt vmcnt(0)
	ds_write_b64 v46, v[4:5]
.LBB41_9:                               ;   in Loop: Header=BB41_7 Depth=2
	s_or_saveexec_b64 s[16:17], s[16:17]
	s_xor_b64 s[28:29], s[44:45], -1
	s_xor_b64 exec, exec, s[16:17]
	s_cbranch_execz .LBB41_15
; %bb.10:                               ;   in Loop: Header=BB41_7 Depth=2
	s_and_saveexec_b64 s[46:47], s[28:29]
	s_xor_b64 s[46:47], exec, s[46:47]
	s_cbranch_execz .LBB41_12
; %bb.11:                               ;   in Loop: Header=BB41_7 Depth=2
	v_mov_b32_e32 v4, v28
	v_mov_b32_e32 v5, v28
	ds_write_b64 v46, v[4:5]
.LBB41_12:                              ;   in Loop: Header=BB41_7 Depth=2
	s_andn2_saveexec_b64 s[46:47], s[46:47]
	s_cbranch_execz .LBB41_14
; %bb.13:                               ;   in Loop: Header=BB41_7 Depth=2
	ds_write_b64 v46, v[28:29]
.LBB41_14:                              ;   in Loop: Header=BB41_7 Depth=2
	s_or_b64 exec, exec, s[46:47]
.LBB41_15:                              ;   in Loop: Header=BB41_7 Depth=2
	s_or_b64 exec, exec, s[16:17]
	v_cmp_eq_u64_e64 s[16:17], s[26:27], v[18:19]
	s_and_b64 s[46:47], s[36:37], s[16:17]
	v_cmp_gt_i64_e64 s[16:17], v[12:13], v[2:3]
	s_or_b64 s[12:13], s[12:13], s[16:17]
	s_or_b64 s[12:13], s[12:13], s[46:47]
	;; [unrolled: 1-line block ×3, first 2 shown]
	s_xor_b64 s[12:13], s[12:13], -1
	s_and_saveexec_b64 s[16:17], s[12:13]
	s_xor_b64 s[16:17], exec, s[16:17]
	s_cbranch_execz .LBB41_17
; %bb.16:                               ;   in Loop: Header=BB41_7 Depth=2
	v_mov_b32_e32 v5, s23
	v_add_co_u32_e64 v4, s[12:13], s22, v49
	v_addc_co_u32_e64 v5, s[12:13], v50, v5, s[12:13]
	global_load_dwordx2 v[4:5], v[4:5], off
	s_waitcnt vmcnt(0)
	ds_write_b64 v46, v[4:5] offset:128
.LBB41_17:                              ;   in Loop: Header=BB41_7 Depth=2
	s_andn2_saveexec_b64 s[12:13], s[16:17]
	s_cbranch_execz .LBB41_23
; %bb.18:                               ;   in Loop: Header=BB41_7 Depth=2
	s_xor_b64 s[16:17], s[46:47], -1
	s_and_saveexec_b64 s[46:47], s[16:17]
	s_xor_b64 s[16:17], exec, s[46:47]
	s_cbranch_execz .LBB41_20
; %bb.19:                               ;   in Loop: Header=BB41_7 Depth=2
	v_mov_b32_e32 v4, v28
	v_mov_b32_e32 v5, v28
	ds_write_b64 v46, v[4:5] offset:128
.LBB41_20:                              ;   in Loop: Header=BB41_7 Depth=2
	s_andn2_saveexec_b64 s[16:17], s[16:17]
	s_cbranch_execz .LBB41_22
; %bb.21:                               ;   in Loop: Header=BB41_7 Depth=2
	ds_write_b64 v46, v[28:29] offset:128
.LBB41_22:                              ;   in Loop: Header=BB41_7 Depth=2
	s_or_b64 exec, exec, s[16:17]
.LBB41_23:                              ;   in Loop: Header=BB41_7 Depth=2
	s_or_b64 exec, exec, s[12:13]
	v_add_co_u32_e64 v2, s[12:13], 16, v2
	v_addc_co_u32_e64 v3, s[12:13], 0, v3, s[12:13]
	v_cmp_eq_u64_e64 s[16:17], s[26:27], v[20:21]
	v_cmp_le_i64_e64 s[12:13], s[38:39], v[2:3]
	s_and_b64 s[46:47], s[36:37], s[16:17]
	v_cmp_lt_i64_e64 s[16:17], v[2:3], v[10:11]
	s_or_b64 s[16:17], s[12:13], s[16:17]
	s_or_b64 s[16:17], s[16:17], s[46:47]
	;; [unrolled: 1-line block ×3, first 2 shown]
	s_xor_b64 s[16:17], s[16:17], -1
	s_and_saveexec_b64 s[52:53], s[16:17]
	s_xor_b64 s[16:17], exec, s[52:53]
	s_cbranch_execz .LBB41_25
; %bb.24:                               ;   in Loop: Header=BB41_7 Depth=2
	global_load_dwordx2 v[0:1], v[0:1], off offset:128
	s_waitcnt vmcnt(0)
	ds_write_b64 v46, v[0:1] offset:4096
.LBB41_25:                              ;   in Loop: Header=BB41_7 Depth=2
	s_andn2_saveexec_b64 s[16:17], s[16:17]
	s_cbranch_execz .LBB41_31
; %bb.26:                               ;   in Loop: Header=BB41_7 Depth=2
	s_xor_b64 s[46:47], s[46:47], -1
	s_and_saveexec_b64 s[52:53], s[46:47]
	s_xor_b64 s[46:47], exec, s[52:53]
	s_cbranch_execz .LBB41_28
; %bb.27:                               ;   in Loop: Header=BB41_7 Depth=2
	v_mov_b32_e32 v0, v28
	v_mov_b32_e32 v1, v28
	ds_write_b64 v46, v[0:1] offset:4096
.LBB41_28:                              ;   in Loop: Header=BB41_7 Depth=2
	s_andn2_saveexec_b64 s[46:47], s[46:47]
	s_cbranch_execz .LBB41_30
; %bb.29:                               ;   in Loop: Header=BB41_7 Depth=2
	ds_write_b64 v46, v[28:29] offset:4096
.LBB41_30:                              ;   in Loop: Header=BB41_7 Depth=2
	s_or_b64 exec, exec, s[46:47]
.LBB41_31:                              ;   in Loop: Header=BB41_7 Depth=2
	s_or_b64 exec, exec, s[16:17]
	s_or_b64 s[10:11], s[12:13], s[10:11]
	s_or_b64 s[10:11], s[10:11], s[44:45]
	;; [unrolled: 1-line block ×3, first 2 shown]
	s_xor_b64 s[10:11], s[10:11], -1
	s_and_saveexec_b64 s[12:13], s[10:11]
	s_xor_b64 s[12:13], exec, s[12:13]
	s_cbranch_execz .LBB41_33
; %bb.32:                               ;   in Loop: Header=BB41_7 Depth=2
	v_mov_b32_e32 v1, s23
	v_add_co_u32_e64 v0, s[10:11], s22, v49
	v_addc_co_u32_e64 v1, s[10:11], v50, v1, s[10:11]
	global_load_dwordx2 v[0:1], v[0:1], off offset:128
	s_waitcnt vmcnt(0)
	ds_write_b64 v46, v[0:1] offset:4224
.LBB41_33:                              ;   in Loop: Header=BB41_7 Depth=2
	s_andn2_saveexec_b64 s[10:11], s[12:13]
	s_cbranch_execz .LBB41_39
; %bb.34:                               ;   in Loop: Header=BB41_7 Depth=2
	s_and_saveexec_b64 s[12:13], s[28:29]
	s_xor_b64 s[12:13], exec, s[12:13]
	s_cbranch_execz .LBB41_36
; %bb.35:                               ;   in Loop: Header=BB41_7 Depth=2
	v_mov_b32_e32 v0, v28
	v_mov_b32_e32 v1, v28
	ds_write_b64 v46, v[0:1] offset:4224
.LBB41_36:                              ;   in Loop: Header=BB41_7 Depth=2
	s_andn2_saveexec_b64 s[12:13], s[12:13]
	s_cbranch_execz .LBB41_38
; %bb.37:                               ;   in Loop: Header=BB41_7 Depth=2
	ds_write_b64 v46, v[28:29] offset:4224
.LBB41_38:                              ;   in Loop: Header=BB41_7 Depth=2
	s_or_b64 exec, exec, s[12:13]
.LBB41_39:                              ;   in Loop: Header=BB41_7 Depth=2
	s_or_b64 exec, exec, s[10:11]
	v_mov_b32_e32 v1, s27
	v_add_co_u32_e64 v0, s[10:11], s26, v10
	v_addc_co_u32_e64 v1, s[10:11], v11, v1, s[10:11]
	v_cmp_gt_i64_e64 s[10:11], s[38:39], v[0:1]
	s_and_b64 s[12:13], vcc, s[10:11]
	s_xor_b64 s[12:13], s[12:13], -1
	s_and_saveexec_b64 s[16:17], s[12:13]
	s_xor_b64 s[12:13], exec, s[16:17]
	s_cbranch_execz .LBB41_41
; %bb.40:                               ;   in Loop: Header=BB41_7 Depth=2
	v_mov_b32_e32 v2, v28
	v_mov_b32_e32 v3, v28
	ds_write_b64 v48, v[2:3]
.LBB41_41:                              ;   in Loop: Header=BB41_7 Depth=2
	s_or_saveexec_b64 s[16:17], s[12:13]
	v_mov_b32_e32 v3, s23
	v_add_co_u32_e64 v2, s[12:13], s22, v38
	v_addc_co_u32_e64 v3, s[12:13], v39, v3, s[12:13]
	s_xor_b64 exec, exec, s[16:17]
	s_cbranch_execz .LBB41_43
; %bb.42:                               ;   in Loop: Header=BB41_7 Depth=2
	global_load_dwordx2 v[4:5], v[2:3], off offset:-128
	s_waitcnt vmcnt(0)
	ds_write_b64 v48, v[4:5]
.LBB41_43:                              ;   in Loop: Header=BB41_7 Depth=2
	s_or_b64 exec, exec, s[16:17]
	v_cmp_gt_i64_e64 s[12:13], s[42:43], v[0:1]
	s_and_b64 s[16:17], vcc, s[12:13]
	s_xor_b64 s[16:17], s[16:17], -1
	s_and_saveexec_b64 s[28:29], s[16:17]
	s_xor_b64 s[16:17], exec, s[28:29]
	s_cbranch_execz .LBB41_45
; %bb.44:                               ;   in Loop: Header=BB41_7 Depth=2
	v_mov_b32_e32 v0, v28
	v_mov_b32_e32 v1, v28
	ds_write_b64 v48, v[0:1] offset:128
                                        ; implicit-def: $vgpr2_vgpr3
.LBB41_45:                              ;   in Loop: Header=BB41_7 Depth=2
	s_andn2_saveexec_b64 s[16:17], s[16:17]
	s_cbranch_execz .LBB41_47
; %bb.46:                               ;   in Loop: Header=BB41_7 Depth=2
	global_load_dwordx2 v[0:1], v[2:3], off
	s_waitcnt vmcnt(0)
	ds_write_b64 v48, v[0:1] offset:128
.LBB41_47:                              ;   in Loop: Header=BB41_7 Depth=2
	s_or_b64 exec, exec, s[16:17]
	s_and_b64 s[10:11], s[8:9], s[10:11]
	s_xor_b64 s[10:11], s[10:11], -1
	s_and_saveexec_b64 s[16:17], s[10:11]
	s_xor_b64 s[10:11], exec, s[16:17]
	s_cbranch_execz .LBB41_49
; %bb.48:                               ;   in Loop: Header=BB41_7 Depth=2
	v_mov_b32_e32 v0, v28
	v_mov_b32_e32 v1, v28
	ds_write_b64 v48, v[0:1] offset:4096
.LBB41_49:                              ;   in Loop: Header=BB41_7 Depth=2
	s_andn2_saveexec_b64 s[16:17], s[10:11]
	s_cbranch_execz .LBB41_51
; %bb.50:                               ;   in Loop: Header=BB41_7 Depth=2
	v_mov_b32_e32 v1, s23
	v_add_co_u32_e64 v0, s[10:11], s22, v40
	v_addc_co_u32_e64 v1, s[10:11], v41, v1, s[10:11]
	global_load_dwordx2 v[0:1], v[0:1], off offset:-128
	s_waitcnt vmcnt(0)
	ds_write_b64 v48, v[0:1] offset:4096
.LBB41_51:                              ;   in Loop: Header=BB41_7 Depth=2
	s_or_b64 exec, exec, s[16:17]
	s_and_b64 s[10:11], s[8:9], s[12:13]
	s_xor_b64 s[10:11], s[10:11], -1
	s_and_saveexec_b64 s[12:13], s[10:11]
	s_xor_b64 s[10:11], exec, s[12:13]
	s_cbranch_execz .LBB41_53
; %bb.52:                               ;   in Loop: Header=BB41_7 Depth=2
	v_mov_b32_e32 v0, v28
	v_mov_b32_e32 v1, v28
	ds_write_b64 v48, v[0:1] offset:4224
.LBB41_53:                              ;   in Loop: Header=BB41_7 Depth=2
	s_andn2_saveexec_b64 s[12:13], s[10:11]
	s_cbranch_execz .LBB41_6
; %bb.54:                               ;   in Loop: Header=BB41_7 Depth=2
	v_mov_b32_e32 v1, s23
	v_add_co_u32_e64 v0, s[10:11], s22, v40
	v_addc_co_u32_e64 v1, s[10:11], v41, v1, s[10:11]
	global_load_dwordx2 v[0:1], v[0:1], off
	s_waitcnt vmcnt(0)
	ds_write_b64 v48, v[0:1] offset:4224
	s_branch .LBB41_6
.LBB41_55:                              ;   in Loop: Header=BB41_4 Depth=1
	v_mul_lo_u32 v2, v52, s40
	v_mul_lo_u32 v3, v51, s41
	v_mad_u64_u32 v[0:1], s[8:9], v51, s40, 0
	v_add3_u32 v1, v1, v3, v2
	v_lshlrev_b64 v[0:1], 3, v[0:1]
	v_mov_b32_e32 v2, s48
	v_add_co_u32_e64 v0, s[8:9], s33, v0
	v_cmp_gt_i32_e32 vcc, s30, v51
	v_addc_co_u32_e64 v1, s[8:9], v2, v1, s[8:9]
	s_and_b64 s[8:9], s[4:5], vcc
	s_and_saveexec_b64 s[10:11], s[8:9]
	s_cbranch_execz .LBB41_57
; %bb.56:                               ;   in Loop: Header=BB41_4 Depth=1
	v_add_co_u32_e64 v2, s[8:9], v0, v22
	v_addc_co_u32_e64 v3, s[8:9], v1, v23, s[8:9]
	global_load_dwordx2 v[4:5], v[2:3], off
	s_waitcnt vmcnt(0)
	v_fmac_f64_e32 v[4:5], s[34:35], v[36:37]
	global_store_dwordx2 v[2:3], v[4:5], off
.LBB41_57:                              ;   in Loop: Header=BB41_4 Depth=1
	s_or_b64 exec, exec, s[10:11]
	s_and_b64 s[10:11], s[14:15], vcc
	s_and_saveexec_b64 s[8:9], s[10:11]
	s_cbranch_execz .LBB41_59
; %bb.58:                               ;   in Loop: Header=BB41_4 Depth=1
	v_lshlrev_b64 v[2:3], 3, v[14:15]
	v_add_co_u32_e32 v0, vcc, v0, v2
	v_addc_co_u32_e32 v1, vcc, v1, v3, vcc
	global_load_dwordx2 v[2:3], v[0:1], off
	s_waitcnt vmcnt(0)
	v_fmac_f64_e32 v[2:3], s[34:35], v[34:35]
	global_store_dwordx2 v[0:1], v[2:3], off
.LBB41_59:                              ;   in Loop: Header=BB41_4 Depth=1
	s_or_b64 exec, exec, s[8:9]
	v_add_u32_e32 v0, 16, v51
	v_ashrrev_i32_e32 v1, 31, v0
	v_cmp_gt_i32_e32 vcc, s30, v0
	v_mul_lo_u32 v2, v1, s40
	v_mul_lo_u32 v3, v0, s41
	v_mad_u64_u32 v[0:1], s[8:9], v0, s40, 0
	v_add3_u32 v1, v1, v3, v2
	v_lshlrev_b64 v[0:1], 3, v[0:1]
	v_mov_b32_e32 v2, s48
	v_add_co_u32_e64 v0, s[8:9], s33, v0
	v_addc_co_u32_e64 v1, s[8:9], v2, v1, s[8:9]
	s_and_b64 s[8:9], s[4:5], vcc
	s_and_saveexec_b64 s[10:11], s[8:9]
	s_cbranch_execz .LBB41_61
; %bb.60:                               ;   in Loop: Header=BB41_4 Depth=1
	v_add_co_u32_e64 v2, s[8:9], v0, v22
	v_addc_co_u32_e64 v3, s[8:9], v1, v23, s[8:9]
	global_load_dwordx2 v[4:5], v[2:3], off
	s_waitcnt vmcnt(0)
	v_fmac_f64_e32 v[4:5], s[34:35], v[32:33]
	global_store_dwordx2 v[2:3], v[4:5], off
.LBB41_61:                              ;   in Loop: Header=BB41_4 Depth=1
	s_or_b64 exec, exec, s[10:11]
	s_and_b64 s[10:11], s[14:15], vcc
	s_and_saveexec_b64 s[8:9], s[10:11]
	s_cbranch_execz .LBB41_3
; %bb.62:                               ;   in Loop: Header=BB41_4 Depth=1
	v_lshlrev_b64 v[2:3], 3, v[14:15]
	v_add_co_u32_e32 v0, vcc, v0, v2
	v_addc_co_u32_e32 v1, vcc, v1, v3, vcc
	global_load_dwordx2 v[2:3], v[0:1], off
	s_waitcnt vmcnt(0)
	v_fmac_f64_e32 v[2:3], s[34:35], v[30:31]
	global_store_dwordx2 v[0:1], v[2:3], off
	s_branch .LBB41_3
.LBB41_63:
	s_endpgm
	.section	.rodata,"a",@progbits
	.p2align	6, 0x0
	.amdhsa_kernel _ZL30rocblas_trmm_outofplace_kernelIdLi32ELi2ELb1ELb0ELb1ELb0EdKddEv17rocblas_diagonal_iiT6_lPT7_lllS4_lllPT8_llli
		.amdhsa_group_segment_fixed_size 16384
		.amdhsa_private_segment_fixed_size 0
		.amdhsa_kernarg_size 392
		.amdhsa_user_sgpr_count 6
		.amdhsa_user_sgpr_private_segment_buffer 1
		.amdhsa_user_sgpr_dispatch_ptr 0
		.amdhsa_user_sgpr_queue_ptr 0
		.amdhsa_user_sgpr_kernarg_segment_ptr 1
		.amdhsa_user_sgpr_dispatch_id 0
		.amdhsa_user_sgpr_flat_scratch_init 0
		.amdhsa_user_sgpr_kernarg_preload_length 0
		.amdhsa_user_sgpr_kernarg_preload_offset 0
		.amdhsa_user_sgpr_private_segment_size 0
		.amdhsa_uses_dynamic_stack 0
		.amdhsa_system_sgpr_private_segment_wavefront_offset 0
		.amdhsa_system_sgpr_workgroup_id_x 1
		.amdhsa_system_sgpr_workgroup_id_y 1
		.amdhsa_system_sgpr_workgroup_id_z 1
		.amdhsa_system_sgpr_workgroup_info 0
		.amdhsa_system_vgpr_workitem_id 1
		.amdhsa_next_free_vgpr 78
		.amdhsa_next_free_sgpr 54
		.amdhsa_accum_offset 80
		.amdhsa_reserve_vcc 1
		.amdhsa_reserve_flat_scratch 0
		.amdhsa_float_round_mode_32 0
		.amdhsa_float_round_mode_16_64 0
		.amdhsa_float_denorm_mode_32 3
		.amdhsa_float_denorm_mode_16_64 3
		.amdhsa_dx10_clamp 1
		.amdhsa_ieee_mode 1
		.amdhsa_fp16_overflow 0
		.amdhsa_tg_split 0
		.amdhsa_exception_fp_ieee_invalid_op 0
		.amdhsa_exception_fp_denorm_src 0
		.amdhsa_exception_fp_ieee_div_zero 0
		.amdhsa_exception_fp_ieee_overflow 0
		.amdhsa_exception_fp_ieee_underflow 0
		.amdhsa_exception_fp_ieee_inexact 0
		.amdhsa_exception_int_div_zero 0
	.end_amdhsa_kernel
	.section	.text._ZL30rocblas_trmm_outofplace_kernelIdLi32ELi2ELb1ELb0ELb1ELb0EdKddEv17rocblas_diagonal_iiT6_lPT7_lllS4_lllPT8_llli,"axG",@progbits,_ZL30rocblas_trmm_outofplace_kernelIdLi32ELi2ELb1ELb0ELb1ELb0EdKddEv17rocblas_diagonal_iiT6_lPT7_lllS4_lllPT8_llli,comdat
.Lfunc_end41:
	.size	_ZL30rocblas_trmm_outofplace_kernelIdLi32ELi2ELb1ELb0ELb1ELb0EdKddEv17rocblas_diagonal_iiT6_lPT7_lllS4_lllPT8_llli, .Lfunc_end41-_ZL30rocblas_trmm_outofplace_kernelIdLi32ELi2ELb1ELb0ELb1ELb0EdKddEv17rocblas_diagonal_iiT6_lPT7_lllS4_lllPT8_llli
                                        ; -- End function
	.section	.AMDGPU.csdata,"",@progbits
; Kernel info:
; codeLenInByte = 3424
; NumSgprs: 58
; NumVgprs: 78
; NumAgprs: 0
; TotalNumVgprs: 78
; ScratchSize: 0
; MemoryBound: 1
; FloatMode: 240
; IeeeMode: 1
; LDSByteSize: 16384 bytes/workgroup (compile time only)
; SGPRBlocks: 7
; VGPRBlocks: 9
; NumSGPRsForWavesPerEU: 58
; NumVGPRsForWavesPerEU: 78
; AccumOffset: 80
; Occupancy: 6
; WaveLimiterHint : 0
; COMPUTE_PGM_RSRC2:SCRATCH_EN: 0
; COMPUTE_PGM_RSRC2:USER_SGPR: 6
; COMPUTE_PGM_RSRC2:TRAP_HANDLER: 0
; COMPUTE_PGM_RSRC2:TGID_X_EN: 1
; COMPUTE_PGM_RSRC2:TGID_Y_EN: 1
; COMPUTE_PGM_RSRC2:TGID_Z_EN: 1
; COMPUTE_PGM_RSRC2:TIDIG_COMP_CNT: 1
; COMPUTE_PGM_RSRC3_GFX90A:ACCUM_OFFSET: 19
; COMPUTE_PGM_RSRC3_GFX90A:TG_SPLIT: 0
	.section	.text._ZL30rocblas_trmm_outofplace_kernelIdLi32ELi2ELb1ELb1ELb1ELb0EPKdS0_dEv17rocblas_diagonal_iiT6_lPT7_lllS5_lllPT8_llli,"axG",@progbits,_ZL30rocblas_trmm_outofplace_kernelIdLi32ELi2ELb1ELb1ELb1ELb0EPKdS0_dEv17rocblas_diagonal_iiT6_lPT7_lllS5_lllPT8_llli,comdat
	.globl	_ZL30rocblas_trmm_outofplace_kernelIdLi32ELi2ELb1ELb1ELb1ELb0EPKdS0_dEv17rocblas_diagonal_iiT6_lPT7_lllS5_lllPT8_llli ; -- Begin function _ZL30rocblas_trmm_outofplace_kernelIdLi32ELi2ELb1ELb1ELb1ELb0EPKdS0_dEv17rocblas_diagonal_iiT6_lPT7_lllS5_lllPT8_llli
	.p2align	8
	.type	_ZL30rocblas_trmm_outofplace_kernelIdLi32ELi2ELb1ELb1ELb1ELb0EPKdS0_dEv17rocblas_diagonal_iiT6_lPT7_lllS5_lllPT8_llli,@function
_ZL30rocblas_trmm_outofplace_kernelIdLi32ELi2ELb1ELb1ELb1ELb0EPKdS0_dEv17rocblas_diagonal_iiT6_lPT7_lllS5_lllPT8_llli: ; @_ZL30rocblas_trmm_outofplace_kernelIdLi32ELi2ELb1ELb1ELb1ELb0EPKdS0_dEv17rocblas_diagonal_iiT6_lPT7_lllS5_lllPT8_llli
; %bb.0:
	s_load_dwordx16 s[12:27], s[4:5], 0x10
	s_waitcnt lgkmcnt(0)
	s_mul_i32 s0, s8, s15
	s_mul_hi_u32 s1, s8, s14
	s_add_i32 s1, s1, s0
	s_mul_i32 s0, s8, s14
	s_lshl_b64 s[0:1], s[0:1], 3
	s_add_u32 s0, s12, s0
	s_addc_u32 s1, s13, s1
	s_load_dwordx2 s[34:35], s[0:1], 0x0
	s_waitcnt lgkmcnt(0)
	v_cmp_eq_f64_e64 s[0:1], s[34:35], 0
	s_and_b64 vcc, exec, s[0:1]
	s_cbranch_vccnz .LBB42_63
; %bb.1:
	s_load_dwordx4 s[28:31], s[4:5], 0x0
	s_waitcnt lgkmcnt(0)
	s_add_i32 s0, s30, -1
	s_ashr_i32 s1, s0, 31
	s_lshr_b32 s1, s1, 27
	s_add_i32 s0, s0, s1
	s_ashr_i32 s31, s0, 5
	s_cmp_gt_i32 s7, s31
	s_cbranch_scc1 .LBB42_63
; %bb.2:
	s_mul_i32 s0, s8, s23
	s_mul_hi_u32 s1, s8, s22
	s_add_i32 s1, s1, s0
	s_mul_i32 s0, s8, s22
	s_load_dwordx4 s[44:47], s[4:5], 0x70
	s_load_dword s33, s[4:5], 0x8c
	s_lshl_b64 s[10:11], s[0:1], 3
	s_add_u32 s0, s16, s10
	s_load_dwordx8 s[36:43], s[4:5], 0x50
	s_addc_u32 s1, s17, s11
	s_lshl_b64 s[12:13], s[18:19], 3
	s_add_u32 s2, s0, s12
	s_addc_u32 s3, s1, s13
	s_waitcnt lgkmcnt(0)
	s_mul_i32 s0, s8, s47
	s_mul_hi_u32 s1, s8, s46
	s_add_i32 s1, s1, s0
	s_mul_i32 s0, s8, s46
	s_lshl_b64 s[0:1], s[0:1], 3
	s_add_u32 s4, s40, s0
	s_addc_u32 s5, s41, s1
	s_lshl_b64 s[0:1], s[42:43], 3
	s_add_u32 s48, s4, s0
	s_addc_u32 s49, s5, s1
	s_lshl_b32 s50, s6, 5
	v_and_b32_e32 v12, 0x3ff, v0
	v_add_u32_e32 v14, s50, v12
	v_ashrrev_i32_e32 v15, 31, v14
	v_bfe_u32 v8, v0, 10, 10
	v_mul_lo_u32 v2, v15, s20
	v_mul_lo_u32 v3, v14, s21
	v_mad_u64_u32 v[0:1], s[0:1], v14, s20, 0
	v_add3_u32 v1, v1, v3, v2
	v_lshlrev_b64 v[0:1], 3, v[0:1]
	v_mov_b32_e32 v2, s3
	v_add_co_u32_e32 v0, vcc, s2, v0
	v_addc_co_u32_e32 v1, vcc, v2, v1, vcc
	v_lshlrev_b32_e32 v2, 3, v8
	v_add_co_u32_e32 v9, vcc, v0, v2
	s_cmp_gt_i32 s6, -1
	v_addc_co_u32_e32 v13, vcc, 0, v1, vcc
	s_cselect_b64 s[18:19], -1, 0
	s_cmpk_eq_i32 s28, 0x84
	s_cselect_b64 s[22:23], -1, 0
	s_ashr_i32 s41, s29, 31
	s_ashr_i32 s6, s30, 31
	v_add_co_u32_e32 v16, vcc, 16, v14
	v_addc_co_u32_e32 v17, vcc, 0, v15, vcc
	s_add_u32 s42, s29, -16
	s_mul_i32 s9, s39, s8
	s_mul_hi_u32 s28, s38, s8
	s_addc_u32 s43, s41, -1
	v_sub_co_u32_e32 v20, vcc, v14, v8
	s_add_i32 s9, s28, s9
	s_mul_i32 s8, s38, s8
	v_subbrev_co_u32_e32 v21, vcc, 0, v15, vcc
	s_lshl_b64 s[8:9], s[8:9], 3
	s_lshl_b64 s[26:27], s[26:27], 3
	v_add_co_u32_e32 v22, vcc, 16, v20
	s_add_u32 s8, s8, s26
	v_addc_co_u32_e32 v23, vcc, 0, v21, vcc
	s_addc_u32 s9, s9, s27
	v_add_co_u32_e32 v24, vcc, -16, v20
	s_add_u32 s8, s24, s8
	v_lshlrev_b32_e32 v0, 8, v8
	v_lshlrev_b32_e32 v44, 3, v12
	v_addc_co_u32_e32 v25, vcc, -1, v21, vcc
	s_addc_u32 s9, s25, s9
	v_add_u32_e32 v45, v44, v0
	v_add_u32_e32 v46, 0x2000, v0
	v_mov_b32_e32 v0, s9
	v_add_co_u32_e32 v1, vcc, s8, v44
	v_addc_co_u32_e32 v0, vcc, 0, v0, vcc
	s_movk_i32 s8, 0x80
	v_add_co_u32_e32 v26, vcc, s8, v1
	v_addc_co_u32_e32 v27, vcc, 0, v0, vcc
	s_lshl_b64 s[24:25], s[36:37], 3
	s_lshl_b32 s51, s33, 5
	v_lshlrev_b64 v[30:31], 3, v[14:15]
	v_add_co_u32_e32 v3, vcc, s8, v30
	s_add_u32 s8, s12, s10
	v_addc_co_u32_e32 v0, vcc, 0, v31, vcc
	s_addc_u32 s9, s13, s11
	v_mul_lo_u32 v4, s20, v0
	v_pk_mov_b32 v[0:1], s[8:9], s[8:9] op_sel:[0,1]
	v_mul_lo_u32 v5, s21, v3
	v_mad_u64_u32 v[0:1], s[8:9], s20, v3, v[0:1]
	v_add3_u32 v1, v5, v1, v4
	v_add_co_u32_e32 v0, vcc, v0, v2
	v_addc_co_u32_e32 v1, vcc, 0, v1, vcc
	s_mov_b32 s40, s29
	v_add_u32_e32 v18, 16, v14
	v_mov_b32_e32 v2, s17
	v_add_co_u32_e32 v48, vcc, s16, v0
	v_mov_b32_e32 v10, 0
	v_cmp_le_i32_e64 s[0:1], s29, v14
	v_cmp_le_i64_e64 s[2:3], s[40:41], v[16:17]
	v_add_u32_e32 v47, v46, v44
	v_cmp_gt_i32_e64 s[4:5], s29, v14
	v_cmp_gt_i32_e64 s[14:15], s29, v18
	v_ashrrev_i32_e32 v19, 31, v18
	v_lshl_add_u32 v28, s7, 5, v8
	v_addc_co_u32_e32 v49, vcc, v2, v1, vcc
	v_mov_b32_e32 v11, 0x3ff00000
	s_branch .LBB42_4
.LBB42_3:                               ;   in Loop: Header=BB42_4 Depth=1
	s_or_b64 exec, exec, s[8:9]
	s_add_i32 s7, s33, s7
	s_cmp_le_i32 s7, s31
	v_add_u32_e32 v28, s51, v28
	s_cbranch_scc0 .LBB42_63
.LBB42_4:                               ; =>This Loop Header: Depth=1
                                        ;     Child Loop BB42_7 Depth 2
	v_lshl_add_u32 v50, s7, 5, v8
	v_pk_mov_b32 v[38:39], 0, 0
	v_ashrrev_i32_e32 v51, 31, v50
	s_mov_b64 s[20:21], 0
	s_andn2_b64 vcc, exec, s[18:19]
	v_pk_mov_b32 v[36:37], v[38:39], v[38:39] op_sel:[0,1]
	v_pk_mov_b32 v[34:35], v[38:39], v[38:39] op_sel:[0,1]
	;; [unrolled: 1-line block ×3, first 2 shown]
	s_cbranch_vccnz .LBB42_55
; %bb.5:                                ;   in Loop: Header=BB42_4 Depth=1
	v_ashrrev_i32_e32 v29, 31, v28
	v_mad_u64_u32 v[40:41], s[8:9], s24, v28, v[26:27]
	v_mul_lo_u32 v0, s25, v28
	v_mul_lo_u32 v1, s24, v29
	v_add3_u32 v41, v0, v41, v1
	v_lshlrev_b64 v[0:1], 3, v[28:29]
	v_add_co_u32_e32 v0, vcc, 0x80, v0
	v_addc_co_u32_e32 v1, vcc, 0, v1, vcc
	v_mul_lo_u32 v1, s36, v1
	v_mul_lo_u32 v2, s37, v0
	v_mad_u64_u32 v[42:43], s[8:9], s36, v0, v[26:27]
	v_add3_u32 v43, v2, v43, v1
	v_mov_b32_e32 v1, s6
	v_sub_co_u32_e32 v0, vcc, s30, v50
	v_subb_co_u32_e32 v1, vcc, v1, v51, vcc
	v_pk_mov_b32 v[32:33], 0, 0
	v_cmp_lt_i64_e32 vcc, 0, v[0:1]
	v_cmp_lt_i64_e64 s[8:9], 16, v[0:1]
	s_mov_b64 s[26:27], 0
	v_pk_mov_b32 v[34:35], v[32:33], v[32:33] op_sel:[0,1]
	v_pk_mov_b32 v[36:37], v[32:33], v[32:33] op_sel:[0,1]
	;; [unrolled: 1-line block ×3, first 2 shown]
	s_branch .LBB42_7
.LBB42_6:                               ;   in Loop: Header=BB42_7 Depth=2
	s_or_b64 exec, exec, s[12:13]
	s_waitcnt lgkmcnt(0)
	s_barrier
	ds_read2_b64 v[52:55], v44 offset1:16
	ds_read_b128 v[56:59], v46
	ds_read_b128 v[60:63], v46 offset:16
	ds_read_b128 v[4:7], v46 offset:32
	;; [unrolled: 1-line block ×4, first 2 shown]
	ds_read2_b64 v[68:71], v44 offset0:32 offset1:48
	s_waitcnt lgkmcnt(5)
	v_fmac_f64_e32 v[38:39], v[52:53], v[56:57]
	v_fmac_f64_e32 v[36:37], v[54:55], v[56:57]
	ds_read_b128 v[72:75], v46 offset:4112
	s_waitcnt lgkmcnt(2)
	v_fmac_f64_e32 v[34:35], v[52:53], v[64:65]
	v_fmac_f64_e32 v[32:33], v[54:55], v[64:65]
	ds_read2_b64 v[52:55], v44 offset0:64 offset1:80
	s_waitcnt lgkmcnt(2)
	v_fmac_f64_e32 v[38:39], v[68:69], v[58:59]
	v_fmac_f64_e32 v[36:37], v[70:71], v[58:59]
	ds_read2_b64 v[56:59], v44 offset0:96 offset1:112
	v_fmac_f64_e32 v[34:35], v[68:69], v[66:67]
	v_fmac_f64_e32 v[32:33], v[70:71], v[66:67]
	ds_read_b128 v[64:67], v46 offset:4144
	s_waitcnt lgkmcnt(2)
	v_fmac_f64_e32 v[38:39], v[52:53], v[60:61]
	v_fmac_f64_e32 v[36:37], v[54:55], v[60:61]
	;; [unrolled: 1-line block ×4, first 2 shown]
	s_waitcnt lgkmcnt(1)
	v_fmac_f64_e32 v[38:39], v[56:57], v[62:63]
	ds_read2_b64 v[52:55], v44 offset0:128 offset1:144
	v_fmac_f64_e32 v[36:37], v[58:59], v[62:63]
	v_fmac_f64_e32 v[34:35], v[56:57], v[74:75]
	;; [unrolled: 1-line block ×3, first 2 shown]
	ds_read_b128 v[56:59], v46 offset:4128
	ds_read2_b64 v[60:63], v44 offset0:160 offset1:176
	s_waitcnt lgkmcnt(2)
	v_fmac_f64_e32 v[38:39], v[52:53], v[4:5]
	v_fmac_f64_e32 v[36:37], v[54:55], v[4:5]
	v_add_u32_e32 v29, 0x800, v44
	s_waitcnt lgkmcnt(1)
	v_fmac_f64_e32 v[34:35], v[52:53], v[56:57]
	v_fmac_f64_e32 v[32:33], v[54:55], v[56:57]
	ds_read2_b64 v[52:55], v44 offset0:192 offset1:208
	s_waitcnt lgkmcnt(1)
	v_fmac_f64_e32 v[38:39], v[60:61], v[6:7]
	v_fmac_f64_e32 v[36:37], v[62:63], v[6:7]
	ds_read2_b64 v[4:7], v44 offset0:224 offset1:240
	v_fmac_f64_e32 v[34:35], v[60:61], v[58:59]
	v_fmac_f64_e32 v[32:33], v[62:63], v[58:59]
	s_waitcnt lgkmcnt(1)
	v_fmac_f64_e32 v[38:39], v[52:53], v[0:1]
	v_fmac_f64_e32 v[36:37], v[54:55], v[0:1]
	;; [unrolled: 1-line block ×4, first 2 shown]
	s_waitcnt lgkmcnt(0)
	v_fmac_f64_e32 v[38:39], v[4:5], v[2:3]
	v_fmac_f64_e32 v[36:37], v[6:7], v[2:3]
	ds_read2_b64 v[0:3], v29 offset1:16
	ds_read_b128 v[52:55], v46 offset:64
	v_fmac_f64_e32 v[34:35], v[4:5], v[66:67]
	v_fmac_f64_e32 v[32:33], v[6:7], v[66:67]
	ds_read_b128 v[4:7], v46 offset:80
	ds_read_b128 v[56:59], v46 offset:4160
	ds_read2_b64 v[60:63], v29 offset0:32 offset1:48
	s_waitcnt lgkmcnt(3)
	v_fmac_f64_e32 v[38:39], v[0:1], v[52:53]
	v_fmac_f64_e32 v[36:37], v[2:3], v[52:53]
	ds_read_b128 v[64:67], v46 offset:4176
	s_waitcnt lgkmcnt(2)
	v_fmac_f64_e32 v[34:35], v[0:1], v[56:57]
	v_fmac_f64_e32 v[32:33], v[2:3], v[56:57]
	ds_read2_b64 v[0:3], v29 offset0:64 offset1:80
	s_waitcnt lgkmcnt(2)
	v_fmac_f64_e32 v[38:39], v[60:61], v[54:55]
	v_fmac_f64_e32 v[36:37], v[62:63], v[54:55]
	ds_read2_b64 v[52:55], v29 offset0:96 offset1:112
	v_fmac_f64_e32 v[34:35], v[60:61], v[58:59]
	v_fmac_f64_e32 v[32:33], v[62:63], v[58:59]
	s_waitcnt lgkmcnt(1)
	v_fmac_f64_e32 v[38:39], v[0:1], v[4:5]
	v_fmac_f64_e32 v[36:37], v[2:3], v[4:5]
	;; [unrolled: 1-line block ×4, first 2 shown]
	s_waitcnt lgkmcnt(0)
	v_fmac_f64_e32 v[38:39], v[52:53], v[6:7]
	v_fmac_f64_e32 v[36:37], v[54:55], v[6:7]
	ds_read2_b64 v[0:3], v29 offset0:128 offset1:144
	ds_read_b128 v[4:7], v46 offset:96
	v_fmac_f64_e32 v[34:35], v[52:53], v[66:67]
	v_fmac_f64_e32 v[32:33], v[54:55], v[66:67]
	ds_read_b128 v[52:55], v46 offset:112
	ds_read_b128 v[56:59], v46 offset:4192
	ds_read2_b64 v[60:63], v29 offset0:160 offset1:176
	s_waitcnt lgkmcnt(3)
	v_fmac_f64_e32 v[38:39], v[0:1], v[4:5]
	v_fmac_f64_e32 v[36:37], v[2:3], v[4:5]
	ds_read_b128 v[64:67], v46 offset:4208
	s_waitcnt lgkmcnt(2)
	v_fmac_f64_e32 v[34:35], v[0:1], v[56:57]
	v_fmac_f64_e32 v[32:33], v[2:3], v[56:57]
	ds_read2_b64 v[0:3], v29 offset0:192 offset1:208
	s_waitcnt lgkmcnt(2)
	v_fmac_f64_e32 v[38:39], v[60:61], v[6:7]
	v_fmac_f64_e32 v[36:37], v[62:63], v[6:7]
	ds_read2_b64 v[4:7], v29 offset0:224 offset1:240
	v_fmac_f64_e32 v[34:35], v[60:61], v[58:59]
	v_fmac_f64_e32 v[32:33], v[62:63], v[58:59]
	s_waitcnt lgkmcnt(1)
	v_fmac_f64_e32 v[38:39], v[0:1], v[52:53]
	v_fmac_f64_e32 v[36:37], v[2:3], v[52:53]
	;; [unrolled: 1-line block ×4, first 2 shown]
	v_add_u32_e32 v29, 0x1000, v44
	s_waitcnt lgkmcnt(0)
	v_fmac_f64_e32 v[38:39], v[4:5], v[54:55]
	v_fmac_f64_e32 v[36:37], v[6:7], v[54:55]
	ds_read2_b64 v[0:3], v29 offset1:16
	ds_read_b128 v[52:55], v46 offset:128
	v_fmac_f64_e32 v[34:35], v[4:5], v[66:67]
	v_fmac_f64_e32 v[32:33], v[6:7], v[66:67]
	ds_read_b128 v[4:7], v46 offset:144
	ds_read_b128 v[56:59], v46 offset:4224
	ds_read2_b64 v[60:63], v29 offset0:32 offset1:48
	s_waitcnt lgkmcnt(3)
	v_fmac_f64_e32 v[38:39], v[0:1], v[52:53]
	v_fmac_f64_e32 v[36:37], v[2:3], v[52:53]
	ds_read_b128 v[64:67], v46 offset:4240
	s_waitcnt lgkmcnt(2)
	v_fmac_f64_e32 v[34:35], v[0:1], v[56:57]
	v_fmac_f64_e32 v[32:33], v[2:3], v[56:57]
	ds_read2_b64 v[0:3], v29 offset0:64 offset1:80
	s_waitcnt lgkmcnt(2)
	v_fmac_f64_e32 v[38:39], v[60:61], v[54:55]
	v_fmac_f64_e32 v[36:37], v[62:63], v[54:55]
	ds_read2_b64 v[52:55], v29 offset0:96 offset1:112
	v_fmac_f64_e32 v[34:35], v[60:61], v[58:59]
	v_fmac_f64_e32 v[32:33], v[62:63], v[58:59]
	s_waitcnt lgkmcnt(1)
	v_fmac_f64_e32 v[38:39], v[0:1], v[4:5]
	v_fmac_f64_e32 v[36:37], v[2:3], v[4:5]
	;; [unrolled: 1-line block ×4, first 2 shown]
	s_waitcnt lgkmcnt(0)
	v_fmac_f64_e32 v[38:39], v[52:53], v[6:7]
	v_fmac_f64_e32 v[36:37], v[54:55], v[6:7]
	ds_read2_b64 v[0:3], v29 offset0:128 offset1:144
	ds_read_b128 v[4:7], v46 offset:160
	v_fmac_f64_e32 v[34:35], v[52:53], v[66:67]
	v_fmac_f64_e32 v[32:33], v[54:55], v[66:67]
	ds_read_b128 v[52:55], v46 offset:176
	ds_read_b128 v[56:59], v46 offset:4256
	ds_read2_b64 v[60:63], v29 offset0:160 offset1:176
	s_waitcnt lgkmcnt(3)
	v_fmac_f64_e32 v[38:39], v[0:1], v[4:5]
	v_fmac_f64_e32 v[36:37], v[2:3], v[4:5]
	ds_read_b128 v[64:67], v46 offset:4272
	s_waitcnt lgkmcnt(2)
	v_fmac_f64_e32 v[34:35], v[0:1], v[56:57]
	v_fmac_f64_e32 v[32:33], v[2:3], v[56:57]
	ds_read2_b64 v[0:3], v29 offset0:192 offset1:208
	s_waitcnt lgkmcnt(2)
	v_fmac_f64_e32 v[38:39], v[60:61], v[6:7]
	v_fmac_f64_e32 v[36:37], v[62:63], v[6:7]
	ds_read2_b64 v[4:7], v29 offset0:224 offset1:240
	v_fmac_f64_e32 v[34:35], v[60:61], v[58:59]
	v_fmac_f64_e32 v[32:33], v[62:63], v[58:59]
	s_waitcnt lgkmcnt(1)
	v_fmac_f64_e32 v[38:39], v[0:1], v[52:53]
	v_fmac_f64_e32 v[36:37], v[2:3], v[52:53]
	;; [unrolled: 1-line block ×4, first 2 shown]
	v_add_u32_e32 v29, 0x1800, v44
	s_waitcnt lgkmcnt(0)
	v_fmac_f64_e32 v[38:39], v[4:5], v[54:55]
	v_fmac_f64_e32 v[36:37], v[6:7], v[54:55]
	ds_read2_b64 v[0:3], v29 offset1:16
	ds_read_b128 v[52:55], v46 offset:192
	v_fmac_f64_e32 v[34:35], v[4:5], v[66:67]
	v_fmac_f64_e32 v[32:33], v[6:7], v[66:67]
	ds_read_b128 v[4:7], v46 offset:208
	ds_read_b128 v[56:59], v46 offset:4288
	ds_read2_b64 v[60:63], v29 offset0:32 offset1:48
	s_waitcnt lgkmcnt(3)
	v_fmac_f64_e32 v[38:39], v[0:1], v[52:53]
	v_fmac_f64_e32 v[36:37], v[2:3], v[52:53]
	ds_read_b128 v[64:67], v46 offset:4304
	s_waitcnt lgkmcnt(2)
	v_fmac_f64_e32 v[34:35], v[0:1], v[56:57]
	v_fmac_f64_e32 v[32:33], v[2:3], v[56:57]
	ds_read2_b64 v[0:3], v29 offset0:64 offset1:80
	s_waitcnt lgkmcnt(2)
	v_fmac_f64_e32 v[38:39], v[60:61], v[54:55]
	v_fmac_f64_e32 v[36:37], v[62:63], v[54:55]
	ds_read2_b64 v[52:55], v29 offset0:96 offset1:112
	v_fmac_f64_e32 v[34:35], v[60:61], v[58:59]
	v_fmac_f64_e32 v[32:33], v[62:63], v[58:59]
	s_waitcnt lgkmcnt(1)
	v_fmac_f64_e32 v[38:39], v[0:1], v[4:5]
	v_fmac_f64_e32 v[36:37], v[2:3], v[4:5]
	;; [unrolled: 1-line block ×4, first 2 shown]
	s_waitcnt lgkmcnt(0)
	v_fmac_f64_e32 v[38:39], v[52:53], v[6:7]
	v_fmac_f64_e32 v[36:37], v[54:55], v[6:7]
	ds_read2_b64 v[0:3], v29 offset0:128 offset1:144
	ds_read_b128 v[4:7], v46 offset:224
	v_fmac_f64_e32 v[34:35], v[52:53], v[66:67]
	v_fmac_f64_e32 v[32:33], v[54:55], v[66:67]
	ds_read_b128 v[52:55], v46 offset:240
	ds_read_b128 v[56:59], v46 offset:4320
	ds_read2_b64 v[60:63], v29 offset0:160 offset1:176
	s_waitcnt lgkmcnt(3)
	v_fmac_f64_e32 v[38:39], v[0:1], v[4:5]
	v_fmac_f64_e32 v[36:37], v[2:3], v[4:5]
	ds_read_b128 v[64:67], v46 offset:4336
	s_waitcnt lgkmcnt(2)
	v_fmac_f64_e32 v[34:35], v[0:1], v[56:57]
	v_fmac_f64_e32 v[32:33], v[2:3], v[56:57]
	ds_read2_b64 v[0:3], v29 offset0:192 offset1:208
	s_waitcnt lgkmcnt(2)
	v_fmac_f64_e32 v[38:39], v[60:61], v[6:7]
	v_fmac_f64_e32 v[36:37], v[62:63], v[6:7]
	ds_read2_b64 v[4:7], v29 offset0:224 offset1:240
	s_add_u32 s26, s26, 32
	s_addc_u32 s27, s27, 0
	s_sub_i32 s10, s26, 32
	v_fmac_f64_e32 v[34:35], v[60:61], v[58:59]
	v_fmac_f64_e32 v[32:33], v[62:63], v[58:59]
	s_add_u32 s20, s20, 0x100
	s_waitcnt lgkmcnt(1)
	v_fmac_f64_e32 v[38:39], v[0:1], v[52:53]
	v_fmac_f64_e32 v[36:37], v[2:3], v[52:53]
	;; [unrolled: 1-line block ×4, first 2 shown]
	s_addc_u32 s21, s21, 0
	s_waitcnt lgkmcnt(0)
	v_fmac_f64_e32 v[38:39], v[4:5], v[54:55]
	v_fmac_f64_e32 v[36:37], v[6:7], v[54:55]
	;; [unrolled: 1-line block ×4, first 2 shown]
	s_cmp_ge_i32 s10, s50
	s_barrier
	s_cbranch_scc1 .LBB42_55
.LBB42_7:                               ;   Parent Loop BB42_4 Depth=1
                                        ; =>  This Inner Loop Header: Depth=2
	v_mov_b32_e32 v0, s27
	v_add_co_u32_e64 v2, s[10:11], s26, v8
	v_addc_co_u32_e64 v3, s[10:11], 0, v0, s[10:11]
	v_mov_b32_e32 v1, s21
	v_add_co_u32_e64 v0, s[10:11], s20, v9
	v_addc_co_u32_e64 v1, s[10:11], v13, v1, s[10:11]
	v_cmp_eq_u64_e64 s[10:11], s[26:27], v[20:21]
	v_cmp_le_i64_e64 s[12:13], s[40:41], v[2:3]
	s_and_b64 s[38:39], s[22:23], s[10:11]
	v_cmp_gt_i64_e64 s[10:11], v[2:3], v[14:15]
	s_or_b64 s[16:17], s[12:13], s[10:11]
	s_or_b64 s[16:17], s[16:17], s[38:39]
	;; [unrolled: 1-line block ×3, first 2 shown]
	s_xor_b64 s[16:17], s[16:17], -1
	s_and_saveexec_b64 s[28:29], s[16:17]
	s_xor_b64 s[16:17], exec, s[28:29]
	s_cbranch_execz .LBB42_9
; %bb.8:                                ;   in Loop: Header=BB42_7 Depth=2
	global_load_dwordx2 v[4:5], v[0:1], off
	s_waitcnt vmcnt(0)
	ds_write_b64 v45, v[4:5]
.LBB42_9:                               ;   in Loop: Header=BB42_7 Depth=2
	s_or_saveexec_b64 s[16:17], s[16:17]
	s_xor_b64 s[28:29], s[38:39], -1
	s_xor_b64 exec, exec, s[16:17]
	s_cbranch_execz .LBB42_15
; %bb.10:                               ;   in Loop: Header=BB42_7 Depth=2
	s_and_saveexec_b64 s[46:47], s[28:29]
	s_xor_b64 s[46:47], exec, s[46:47]
	s_cbranch_execz .LBB42_12
; %bb.11:                               ;   in Loop: Header=BB42_7 Depth=2
	v_mov_b32_e32 v4, v10
	v_mov_b32_e32 v5, v10
	ds_write_b64 v45, v[4:5]
.LBB42_12:                              ;   in Loop: Header=BB42_7 Depth=2
	s_andn2_saveexec_b64 s[46:47], s[46:47]
	s_cbranch_execz .LBB42_14
; %bb.13:                               ;   in Loop: Header=BB42_7 Depth=2
	ds_write_b64 v45, v[10:11]
.LBB42_14:                              ;   in Loop: Header=BB42_7 Depth=2
	s_or_b64 exec, exec, s[46:47]
.LBB42_15:                              ;   in Loop: Header=BB42_7 Depth=2
	s_or_b64 exec, exec, s[16:17]
	v_cmp_eq_u64_e64 s[16:17], s[26:27], v[22:23]
	s_and_b64 s[46:47], s[22:23], s[16:17]
	v_cmp_lt_i64_e64 s[16:17], v[16:17], v[2:3]
	s_or_b64 s[12:13], s[12:13], s[16:17]
	s_or_b64 s[12:13], s[12:13], s[46:47]
	;; [unrolled: 1-line block ×3, first 2 shown]
	s_xor_b64 s[12:13], s[12:13], -1
	s_and_saveexec_b64 s[16:17], s[12:13]
	s_xor_b64 s[16:17], exec, s[16:17]
	s_cbranch_execz .LBB42_17
; %bb.16:                               ;   in Loop: Header=BB42_7 Depth=2
	v_mov_b32_e32 v5, s21
	v_add_co_u32_e64 v4, s[12:13], s20, v48
	v_addc_co_u32_e64 v5, s[12:13], v49, v5, s[12:13]
	global_load_dwordx2 v[4:5], v[4:5], off
	s_waitcnt vmcnt(0)
	ds_write_b64 v45, v[4:5] offset:128
.LBB42_17:                              ;   in Loop: Header=BB42_7 Depth=2
	s_andn2_saveexec_b64 s[12:13], s[16:17]
	s_cbranch_execz .LBB42_23
; %bb.18:                               ;   in Loop: Header=BB42_7 Depth=2
	s_xor_b64 s[16:17], s[46:47], -1
	s_and_saveexec_b64 s[46:47], s[16:17]
	s_xor_b64 s[16:17], exec, s[46:47]
	s_cbranch_execz .LBB42_20
; %bb.19:                               ;   in Loop: Header=BB42_7 Depth=2
	v_mov_b32_e32 v4, v10
	v_mov_b32_e32 v5, v10
	ds_write_b64 v45, v[4:5] offset:128
.LBB42_20:                              ;   in Loop: Header=BB42_7 Depth=2
	s_andn2_saveexec_b64 s[16:17], s[16:17]
	s_cbranch_execz .LBB42_22
; %bb.21:                               ;   in Loop: Header=BB42_7 Depth=2
	ds_write_b64 v45, v[10:11] offset:128
.LBB42_22:                              ;   in Loop: Header=BB42_7 Depth=2
	s_or_b64 exec, exec, s[16:17]
.LBB42_23:                              ;   in Loop: Header=BB42_7 Depth=2
	s_or_b64 exec, exec, s[12:13]
	v_add_co_u32_e64 v2, s[12:13], 16, v2
	v_addc_co_u32_e64 v3, s[12:13], 0, v3, s[12:13]
	v_cmp_eq_u64_e64 s[16:17], s[26:27], v[24:25]
	v_cmp_le_i64_e64 s[12:13], s[40:41], v[2:3]
	s_and_b64 s[46:47], s[22:23], s[16:17]
	v_cmp_gt_i64_e64 s[16:17], v[2:3], v[14:15]
	s_or_b64 s[16:17], s[12:13], s[16:17]
	s_or_b64 s[16:17], s[16:17], s[46:47]
	;; [unrolled: 1-line block ×3, first 2 shown]
	s_xor_b64 s[16:17], s[16:17], -1
	s_and_saveexec_b64 s[52:53], s[16:17]
	s_xor_b64 s[16:17], exec, s[52:53]
	s_cbranch_execz .LBB42_25
; %bb.24:                               ;   in Loop: Header=BB42_7 Depth=2
	global_load_dwordx2 v[0:1], v[0:1], off offset:128
	s_waitcnt vmcnt(0)
	ds_write_b64 v45, v[0:1] offset:4096
.LBB42_25:                              ;   in Loop: Header=BB42_7 Depth=2
	s_andn2_saveexec_b64 s[16:17], s[16:17]
	s_cbranch_execz .LBB42_31
; %bb.26:                               ;   in Loop: Header=BB42_7 Depth=2
	s_xor_b64 s[46:47], s[46:47], -1
	s_and_saveexec_b64 s[52:53], s[46:47]
	s_xor_b64 s[46:47], exec, s[52:53]
	s_cbranch_execz .LBB42_28
; %bb.27:                               ;   in Loop: Header=BB42_7 Depth=2
	v_mov_b32_e32 v0, v10
	v_mov_b32_e32 v1, v10
	ds_write_b64 v45, v[0:1] offset:4096
.LBB42_28:                              ;   in Loop: Header=BB42_7 Depth=2
	s_andn2_saveexec_b64 s[46:47], s[46:47]
	s_cbranch_execz .LBB42_30
; %bb.29:                               ;   in Loop: Header=BB42_7 Depth=2
	ds_write_b64 v45, v[10:11] offset:4096
.LBB42_30:                              ;   in Loop: Header=BB42_7 Depth=2
	s_or_b64 exec, exec, s[46:47]
.LBB42_31:                              ;   in Loop: Header=BB42_7 Depth=2
	s_or_b64 exec, exec, s[16:17]
	s_or_b64 s[10:11], s[12:13], s[10:11]
	s_or_b64 s[10:11], s[10:11], s[38:39]
	;; [unrolled: 1-line block ×3, first 2 shown]
	s_xor_b64 s[10:11], s[10:11], -1
	s_and_saveexec_b64 s[12:13], s[10:11]
	s_xor_b64 s[12:13], exec, s[12:13]
	s_cbranch_execz .LBB42_33
; %bb.32:                               ;   in Loop: Header=BB42_7 Depth=2
	v_mov_b32_e32 v1, s21
	v_add_co_u32_e64 v0, s[10:11], s20, v48
	v_addc_co_u32_e64 v1, s[10:11], v49, v1, s[10:11]
	global_load_dwordx2 v[0:1], v[0:1], off offset:128
	s_waitcnt vmcnt(0)
	ds_write_b64 v45, v[0:1] offset:4224
.LBB42_33:                              ;   in Loop: Header=BB42_7 Depth=2
	s_andn2_saveexec_b64 s[10:11], s[12:13]
	s_cbranch_execz .LBB42_39
; %bb.34:                               ;   in Loop: Header=BB42_7 Depth=2
	s_and_saveexec_b64 s[12:13], s[28:29]
	s_xor_b64 s[12:13], exec, s[12:13]
	s_cbranch_execz .LBB42_36
; %bb.35:                               ;   in Loop: Header=BB42_7 Depth=2
	v_mov_b32_e32 v0, v10
	v_mov_b32_e32 v1, v10
	ds_write_b64 v45, v[0:1] offset:4224
.LBB42_36:                              ;   in Loop: Header=BB42_7 Depth=2
	s_andn2_saveexec_b64 s[12:13], s[12:13]
	s_cbranch_execz .LBB42_38
; %bb.37:                               ;   in Loop: Header=BB42_7 Depth=2
	ds_write_b64 v45, v[10:11] offset:4224
.LBB42_38:                              ;   in Loop: Header=BB42_7 Depth=2
	s_or_b64 exec, exec, s[12:13]
.LBB42_39:                              ;   in Loop: Header=BB42_7 Depth=2
	s_or_b64 exec, exec, s[10:11]
	v_mov_b32_e32 v1, s27
	v_add_co_u32_e64 v0, s[10:11], s26, v12
	v_addc_co_u32_e64 v1, s[10:11], 0, v1, s[10:11]
	v_cmp_gt_i64_e64 s[10:11], s[40:41], v[0:1]
	s_and_b64 s[12:13], vcc, s[10:11]
	s_xor_b64 s[12:13], s[12:13], -1
	s_and_saveexec_b64 s[16:17], s[12:13]
	s_xor_b64 s[12:13], exec, s[16:17]
	s_cbranch_execz .LBB42_41
; %bb.40:                               ;   in Loop: Header=BB42_7 Depth=2
	v_mov_b32_e32 v2, v10
	v_mov_b32_e32 v3, v10
	ds_write_b64 v47, v[2:3]
.LBB42_41:                              ;   in Loop: Header=BB42_7 Depth=2
	s_or_saveexec_b64 s[16:17], s[12:13]
	v_mov_b32_e32 v3, s21
	v_add_co_u32_e64 v2, s[12:13], s20, v40
	v_addc_co_u32_e64 v3, s[12:13], v41, v3, s[12:13]
	s_xor_b64 exec, exec, s[16:17]
	s_cbranch_execz .LBB42_43
; %bb.42:                               ;   in Loop: Header=BB42_7 Depth=2
	global_load_dwordx2 v[4:5], v[2:3], off offset:-128
	s_waitcnt vmcnt(0)
	ds_write_b64 v47, v[4:5]
.LBB42_43:                              ;   in Loop: Header=BB42_7 Depth=2
	s_or_b64 exec, exec, s[16:17]
	v_cmp_gt_i64_e64 s[12:13], s[42:43], v[0:1]
	s_and_b64 s[16:17], vcc, s[12:13]
	s_xor_b64 s[16:17], s[16:17], -1
	s_and_saveexec_b64 s[28:29], s[16:17]
	s_xor_b64 s[16:17], exec, s[28:29]
	s_cbranch_execz .LBB42_45
; %bb.44:                               ;   in Loop: Header=BB42_7 Depth=2
	v_mov_b32_e32 v0, v10
	v_mov_b32_e32 v1, v10
	ds_write_b64 v47, v[0:1] offset:128
                                        ; implicit-def: $vgpr2_vgpr3
.LBB42_45:                              ;   in Loop: Header=BB42_7 Depth=2
	s_andn2_saveexec_b64 s[16:17], s[16:17]
	s_cbranch_execz .LBB42_47
; %bb.46:                               ;   in Loop: Header=BB42_7 Depth=2
	global_load_dwordx2 v[0:1], v[2:3], off
	s_waitcnt vmcnt(0)
	ds_write_b64 v47, v[0:1] offset:128
.LBB42_47:                              ;   in Loop: Header=BB42_7 Depth=2
	s_or_b64 exec, exec, s[16:17]
	s_and_b64 s[10:11], s[8:9], s[10:11]
	s_xor_b64 s[10:11], s[10:11], -1
	s_and_saveexec_b64 s[16:17], s[10:11]
	s_xor_b64 s[10:11], exec, s[16:17]
	s_cbranch_execz .LBB42_49
; %bb.48:                               ;   in Loop: Header=BB42_7 Depth=2
	v_mov_b32_e32 v0, v10
	v_mov_b32_e32 v1, v10
	ds_write_b64 v47, v[0:1] offset:4096
.LBB42_49:                              ;   in Loop: Header=BB42_7 Depth=2
	s_andn2_saveexec_b64 s[16:17], s[10:11]
	s_cbranch_execz .LBB42_51
; %bb.50:                               ;   in Loop: Header=BB42_7 Depth=2
	v_mov_b32_e32 v1, s21
	v_add_co_u32_e64 v0, s[10:11], s20, v42
	v_addc_co_u32_e64 v1, s[10:11], v43, v1, s[10:11]
	global_load_dwordx2 v[0:1], v[0:1], off offset:-128
	s_waitcnt vmcnt(0)
	ds_write_b64 v47, v[0:1] offset:4096
.LBB42_51:                              ;   in Loop: Header=BB42_7 Depth=2
	s_or_b64 exec, exec, s[16:17]
	s_and_b64 s[10:11], s[8:9], s[12:13]
	s_xor_b64 s[10:11], s[10:11], -1
	s_and_saveexec_b64 s[12:13], s[10:11]
	s_xor_b64 s[10:11], exec, s[12:13]
	s_cbranch_execz .LBB42_53
; %bb.52:                               ;   in Loop: Header=BB42_7 Depth=2
	v_mov_b32_e32 v0, v10
	v_mov_b32_e32 v1, v10
	ds_write_b64 v47, v[0:1] offset:4224
.LBB42_53:                              ;   in Loop: Header=BB42_7 Depth=2
	s_andn2_saveexec_b64 s[12:13], s[10:11]
	s_cbranch_execz .LBB42_6
; %bb.54:                               ;   in Loop: Header=BB42_7 Depth=2
	v_mov_b32_e32 v1, s21
	v_add_co_u32_e64 v0, s[10:11], s20, v42
	v_addc_co_u32_e64 v1, s[10:11], v43, v1, s[10:11]
	global_load_dwordx2 v[0:1], v[0:1], off
	s_waitcnt vmcnt(0)
	ds_write_b64 v47, v[0:1] offset:4224
	s_branch .LBB42_6
.LBB42_55:                              ;   in Loop: Header=BB42_4 Depth=1
	v_mul_lo_u32 v2, v51, s44
	v_mul_lo_u32 v3, v50, s45
	v_mad_u64_u32 v[0:1], s[8:9], v50, s44, 0
	v_add3_u32 v1, v1, v3, v2
	v_lshlrev_b64 v[0:1], 3, v[0:1]
	v_mov_b32_e32 v2, s49
	v_add_co_u32_e64 v0, s[8:9], s48, v0
	v_cmp_gt_i32_e32 vcc, s30, v50
	v_addc_co_u32_e64 v1, s[8:9], v2, v1, s[8:9]
	s_and_b64 s[8:9], s[4:5], vcc
	s_and_saveexec_b64 s[10:11], s[8:9]
	s_cbranch_execz .LBB42_57
; %bb.56:                               ;   in Loop: Header=BB42_4 Depth=1
	v_add_co_u32_e64 v2, s[8:9], v0, v30
	v_addc_co_u32_e64 v3, s[8:9], v1, v31, s[8:9]
	global_load_dwordx2 v[4:5], v[2:3], off
	s_waitcnt vmcnt(0)
	v_fmac_f64_e32 v[4:5], s[34:35], v[38:39]
	global_store_dwordx2 v[2:3], v[4:5], off
.LBB42_57:                              ;   in Loop: Header=BB42_4 Depth=1
	s_or_b64 exec, exec, s[10:11]
	s_and_b64 s[10:11], s[14:15], vcc
	s_and_saveexec_b64 s[8:9], s[10:11]
	s_cbranch_execz .LBB42_59
; %bb.58:                               ;   in Loop: Header=BB42_4 Depth=1
	v_lshlrev_b64 v[2:3], 3, v[18:19]
	v_add_co_u32_e32 v0, vcc, v0, v2
	v_addc_co_u32_e32 v1, vcc, v1, v3, vcc
	global_load_dwordx2 v[2:3], v[0:1], off
	s_waitcnt vmcnt(0)
	v_fmac_f64_e32 v[2:3], s[34:35], v[36:37]
	global_store_dwordx2 v[0:1], v[2:3], off
.LBB42_59:                              ;   in Loop: Header=BB42_4 Depth=1
	s_or_b64 exec, exec, s[8:9]
	v_add_u32_e32 v0, 16, v50
	v_ashrrev_i32_e32 v1, 31, v0
	v_cmp_gt_i32_e32 vcc, s30, v0
	v_mul_lo_u32 v2, v1, s44
	v_mul_lo_u32 v3, v0, s45
	v_mad_u64_u32 v[0:1], s[8:9], v0, s44, 0
	v_add3_u32 v1, v1, v3, v2
	v_lshlrev_b64 v[0:1], 3, v[0:1]
	v_mov_b32_e32 v2, s49
	v_add_co_u32_e64 v0, s[8:9], s48, v0
	v_addc_co_u32_e64 v1, s[8:9], v2, v1, s[8:9]
	s_and_b64 s[8:9], s[4:5], vcc
	s_and_saveexec_b64 s[10:11], s[8:9]
	s_cbranch_execz .LBB42_61
; %bb.60:                               ;   in Loop: Header=BB42_4 Depth=1
	v_add_co_u32_e64 v2, s[8:9], v0, v30
	v_addc_co_u32_e64 v3, s[8:9], v1, v31, s[8:9]
	global_load_dwordx2 v[4:5], v[2:3], off
	s_waitcnt vmcnt(0)
	v_fmac_f64_e32 v[4:5], s[34:35], v[34:35]
	global_store_dwordx2 v[2:3], v[4:5], off
.LBB42_61:                              ;   in Loop: Header=BB42_4 Depth=1
	s_or_b64 exec, exec, s[10:11]
	s_and_b64 s[10:11], s[14:15], vcc
	s_and_saveexec_b64 s[8:9], s[10:11]
	s_cbranch_execz .LBB42_3
; %bb.62:                               ;   in Loop: Header=BB42_4 Depth=1
	v_lshlrev_b64 v[2:3], 3, v[18:19]
	v_add_co_u32_e32 v0, vcc, v0, v2
	v_addc_co_u32_e32 v1, vcc, v1, v3, vcc
	global_load_dwordx2 v[2:3], v[0:1], off
	s_waitcnt vmcnt(0)
	v_fmac_f64_e32 v[2:3], s[34:35], v[32:33]
	global_store_dwordx2 v[0:1], v[2:3], off
	s_branch .LBB42_3
.LBB42_63:
	s_endpgm
	.section	.rodata,"a",@progbits
	.p2align	6, 0x0
	.amdhsa_kernel _ZL30rocblas_trmm_outofplace_kernelIdLi32ELi2ELb1ELb1ELb1ELb0EPKdS0_dEv17rocblas_diagonal_iiT6_lPT7_lllS5_lllPT8_llli
		.amdhsa_group_segment_fixed_size 16384
		.amdhsa_private_segment_fixed_size 0
		.amdhsa_kernarg_size 392
		.amdhsa_user_sgpr_count 6
		.amdhsa_user_sgpr_private_segment_buffer 1
		.amdhsa_user_sgpr_dispatch_ptr 0
		.amdhsa_user_sgpr_queue_ptr 0
		.amdhsa_user_sgpr_kernarg_segment_ptr 1
		.amdhsa_user_sgpr_dispatch_id 0
		.amdhsa_user_sgpr_flat_scratch_init 0
		.amdhsa_user_sgpr_kernarg_preload_length 0
		.amdhsa_user_sgpr_kernarg_preload_offset 0
		.amdhsa_user_sgpr_private_segment_size 0
		.amdhsa_uses_dynamic_stack 0
		.amdhsa_system_sgpr_private_segment_wavefront_offset 0
		.amdhsa_system_sgpr_workgroup_id_x 1
		.amdhsa_system_sgpr_workgroup_id_y 1
		.amdhsa_system_sgpr_workgroup_id_z 1
		.amdhsa_system_sgpr_workgroup_info 0
		.amdhsa_system_vgpr_workitem_id 1
		.amdhsa_next_free_vgpr 76
		.amdhsa_next_free_sgpr 54
		.amdhsa_accum_offset 76
		.amdhsa_reserve_vcc 1
		.amdhsa_reserve_flat_scratch 0
		.amdhsa_float_round_mode_32 0
		.amdhsa_float_round_mode_16_64 0
		.amdhsa_float_denorm_mode_32 3
		.amdhsa_float_denorm_mode_16_64 3
		.amdhsa_dx10_clamp 1
		.amdhsa_ieee_mode 1
		.amdhsa_fp16_overflow 0
		.amdhsa_tg_split 0
		.amdhsa_exception_fp_ieee_invalid_op 0
		.amdhsa_exception_fp_denorm_src 0
		.amdhsa_exception_fp_ieee_div_zero 0
		.amdhsa_exception_fp_ieee_overflow 0
		.amdhsa_exception_fp_ieee_underflow 0
		.amdhsa_exception_fp_ieee_inexact 0
		.amdhsa_exception_int_div_zero 0
	.end_amdhsa_kernel
	.section	.text._ZL30rocblas_trmm_outofplace_kernelIdLi32ELi2ELb1ELb1ELb1ELb0EPKdS0_dEv17rocblas_diagonal_iiT6_lPT7_lllS5_lllPT8_llli,"axG",@progbits,_ZL30rocblas_trmm_outofplace_kernelIdLi32ELi2ELb1ELb1ELb1ELb0EPKdS0_dEv17rocblas_diagonal_iiT6_lPT7_lllS5_lllPT8_llli,comdat
.Lfunc_end42:
	.size	_ZL30rocblas_trmm_outofplace_kernelIdLi32ELi2ELb1ELb1ELb1ELb0EPKdS0_dEv17rocblas_diagonal_iiT6_lPT7_lllS5_lllPT8_llli, .Lfunc_end42-_ZL30rocblas_trmm_outofplace_kernelIdLi32ELi2ELb1ELb1ELb1ELb0EPKdS0_dEv17rocblas_diagonal_iiT6_lPT7_lllS5_lllPT8_llli
                                        ; -- End function
	.section	.AMDGPU.csdata,"",@progbits
; Kernel info:
; codeLenInByte = 3460
; NumSgprs: 58
; NumVgprs: 76
; NumAgprs: 0
; TotalNumVgprs: 76
; ScratchSize: 0
; MemoryBound: 1
; FloatMode: 240
; IeeeMode: 1
; LDSByteSize: 16384 bytes/workgroup (compile time only)
; SGPRBlocks: 7
; VGPRBlocks: 9
; NumSGPRsForWavesPerEU: 58
; NumVGPRsForWavesPerEU: 76
; AccumOffset: 76
; Occupancy: 6
; WaveLimiterHint : 0
; COMPUTE_PGM_RSRC2:SCRATCH_EN: 0
; COMPUTE_PGM_RSRC2:USER_SGPR: 6
; COMPUTE_PGM_RSRC2:TRAP_HANDLER: 0
; COMPUTE_PGM_RSRC2:TGID_X_EN: 1
; COMPUTE_PGM_RSRC2:TGID_Y_EN: 1
; COMPUTE_PGM_RSRC2:TGID_Z_EN: 1
; COMPUTE_PGM_RSRC2:TIDIG_COMP_CNT: 1
; COMPUTE_PGM_RSRC3_GFX90A:ACCUM_OFFSET: 18
; COMPUTE_PGM_RSRC3_GFX90A:TG_SPLIT: 0
	.section	.text._ZL30rocblas_trmm_outofplace_kernelIdLi32ELi2ELb1ELb1ELb1ELb0EdKddEv17rocblas_diagonal_iiT6_lPT7_lllS4_lllPT8_llli,"axG",@progbits,_ZL30rocblas_trmm_outofplace_kernelIdLi32ELi2ELb1ELb1ELb1ELb0EdKddEv17rocblas_diagonal_iiT6_lPT7_lllS4_lllPT8_llli,comdat
	.globl	_ZL30rocblas_trmm_outofplace_kernelIdLi32ELi2ELb1ELb1ELb1ELb0EdKddEv17rocblas_diagonal_iiT6_lPT7_lllS4_lllPT8_llli ; -- Begin function _ZL30rocblas_trmm_outofplace_kernelIdLi32ELi2ELb1ELb1ELb1ELb0EdKddEv17rocblas_diagonal_iiT6_lPT7_lllS4_lllPT8_llli
	.p2align	8
	.type	_ZL30rocblas_trmm_outofplace_kernelIdLi32ELi2ELb1ELb1ELb1ELb0EdKddEv17rocblas_diagonal_iiT6_lPT7_lllS4_lllPT8_llli,@function
_ZL30rocblas_trmm_outofplace_kernelIdLi32ELi2ELb1ELb1ELb1ELb0EdKddEv17rocblas_diagonal_iiT6_lPT7_lllS4_lllPT8_llli: ; @_ZL30rocblas_trmm_outofplace_kernelIdLi32ELi2ELb1ELb1ELb1ELb0EdKddEv17rocblas_diagonal_iiT6_lPT7_lllS4_lllPT8_llli
; %bb.0:
	s_load_dwordx2 s[34:35], s[4:5], 0x10
	s_waitcnt lgkmcnt(0)
	v_cmp_eq_f64_e64 s[0:1], s[34:35], 0
	s_and_b64 vcc, exec, s[0:1]
	s_cbranch_vccnz .LBB43_63
; %bb.1:
	s_load_dwordx4 s[28:31], s[4:5], 0x0
	s_waitcnt lgkmcnt(0)
	s_add_i32 s0, s30, -1
	s_ashr_i32 s1, s0, 31
	s_lshr_b32 s1, s1, 27
	s_add_i32 s0, s0, s1
	s_ashr_i32 s31, s0, 5
	s_cmp_gt_i32 s7, s31
	s_cbranch_scc1 .LBB43_63
; %bb.2:
	s_load_dwordx16 s[12:27], s[4:5], 0x20
	s_load_dwordx8 s[36:43], s[4:5], 0x60
	v_and_b32_e32 v12, 0x3ff, v0
	v_bfe_u32 v8, v0, 10, 10
	s_load_dword s50, s[4:5], 0x8c
	s_waitcnt lgkmcnt(0)
	s_mul_i32 s1, s8, s19
	s_mul_hi_u32 s2, s8, s18
	s_mul_i32 s0, s8, s18
	s_add_i32 s1, s2, s1
	s_lshl_b64 s[10:11], s[0:1], 3
	s_add_u32 s0, s12, s10
	s_addc_u32 s1, s13, s11
	s_lshl_b64 s[44:45], s[14:15], 3
	s_add_u32 s2, s0, s44
	s_addc_u32 s3, s1, s45
	s_mul_i32 s0, s8, s43
	s_mul_hi_u32 s1, s8, s42
	s_add_i32 s1, s1, s0
	s_mul_i32 s0, s8, s42
	s_lshl_b64 s[0:1], s[0:1], 3
	s_add_u32 s9, s36, s0
	s_addc_u32 s14, s37, s1
	s_lshl_b64 s[0:1], s[38:39], 3
	s_add_u32 s33, s9, s0
	s_addc_u32 s48, s14, s1
	s_lshl_b32 s49, s6, 5
	v_add_u32_e32 v14, s49, v12
	v_ashrrev_i32_e32 v15, 31, v14
	v_mul_lo_u32 v2, v15, s16
	v_mul_lo_u32 v3, v14, s17
	v_mad_u64_u32 v[0:1], s[0:1], v14, s16, 0
	v_add3_u32 v1, v1, v3, v2
	v_lshlrev_b64 v[0:1], 3, v[0:1]
	v_mov_b32_e32 v2, s3
	v_add_co_u32_e32 v0, vcc, s2, v0
	v_addc_co_u32_e32 v1, vcc, v2, v1, vcc
	v_lshlrev_b32_e32 v2, 3, v8
	v_add_co_u32_e32 v9, vcc, v0, v2
	s_cmp_gt_i32 s6, -1
	v_addc_co_u32_e32 v13, vcc, 0, v1, vcc
	s_cselect_b64 s[18:19], -1, 0
	s_cmpk_eq_i32 s28, 0x84
	s_cselect_b64 s[36:37], -1, 0
	s_ashr_i32 s39, s29, 31
	s_ashr_i32 s6, s30, 31
	v_add_co_u32_e32 v16, vcc, 16, v14
	v_addc_co_u32_e32 v17, vcc, 0, v15, vcc
	s_add_u32 s42, s29, -16
	s_mul_i32 s9, s27, s8
	s_mul_hi_u32 s27, s26, s8
	s_addc_u32 s43, s39, -1
	v_sub_co_u32_e32 v20, vcc, v14, v8
	s_add_i32 s9, s27, s9
	s_mul_i32 s8, s26, s8
	v_subbrev_co_u32_e32 v21, vcc, 0, v15, vcc
	s_lshl_b64 s[8:9], s[8:9], 3
	s_lshl_b64 s[22:23], s[22:23], 3
	v_add_co_u32_e32 v22, vcc, 16, v20
	s_add_u32 s8, s8, s22
	v_addc_co_u32_e32 v23, vcc, 0, v21, vcc
	s_addc_u32 s9, s9, s23
	v_add_co_u32_e32 v24, vcc, -16, v20
	s_add_u32 s8, s20, s8
	v_lshlrev_b32_e32 v0, 8, v8
	v_lshlrev_b32_e32 v44, 3, v12
	v_addc_co_u32_e32 v25, vcc, -1, v21, vcc
	s_addc_u32 s9, s21, s9
	v_add_u32_e32 v45, v44, v0
	v_add_u32_e32 v46, 0x2000, v0
	v_mov_b32_e32 v0, s9
	v_add_co_u32_e32 v1, vcc, s8, v44
	v_addc_co_u32_e32 v0, vcc, 0, v0, vcc
	s_movk_i32 s8, 0x80
	v_add_co_u32_e32 v26, vcc, s8, v1
	v_addc_co_u32_e32 v27, vcc, 0, v0, vcc
	s_lshl_b64 s[20:21], s[24:25], 3
	s_lshl_b32 s51, s50, 5
	v_lshlrev_b64 v[30:31], 3, v[14:15]
	v_add_co_u32_e32 v3, vcc, s8, v30
	s_add_u32 s8, s44, s10
	v_addc_co_u32_e32 v0, vcc, 0, v31, vcc
	s_addc_u32 s9, s45, s11
	v_mul_lo_u32 v4, s16, v0
	v_pk_mov_b32 v[0:1], s[8:9], s[8:9] op_sel:[0,1]
	v_mul_lo_u32 v5, s17, v3
	v_mad_u64_u32 v[0:1], s[8:9], s16, v3, v[0:1]
	v_add3_u32 v1, v5, v1, v4
	v_add_co_u32_e32 v0, vcc, v0, v2
	v_addc_co_u32_e32 v1, vcc, 0, v1, vcc
	s_mov_b32 s38, s29
	v_add_u32_e32 v18, 16, v14
	v_mov_b32_e32 v2, s13
	v_add_co_u32_e32 v48, vcc, s12, v0
	v_mov_b32_e32 v10, 0
	v_cmp_le_i32_e64 s[0:1], s29, v14
	v_cmp_le_i64_e64 s[2:3], s[38:39], v[16:17]
	v_add_u32_e32 v47, v46, v44
	v_cmp_gt_i32_e64 s[4:5], s29, v14
	v_cmp_gt_i32_e64 s[14:15], s29, v18
	v_ashrrev_i32_e32 v19, 31, v18
	v_lshl_add_u32 v28, s7, 5, v8
	v_addc_co_u32_e32 v49, vcc, v2, v1, vcc
	v_mov_b32_e32 v11, 0x3ff00000
	s_branch .LBB43_4
.LBB43_3:                               ;   in Loop: Header=BB43_4 Depth=1
	s_or_b64 exec, exec, s[8:9]
	s_add_i32 s7, s50, s7
	s_cmp_le_i32 s7, s31
	v_add_u32_e32 v28, s51, v28
	s_cbranch_scc0 .LBB43_63
.LBB43_4:                               ; =>This Loop Header: Depth=1
                                        ;     Child Loop BB43_7 Depth 2
	v_lshl_add_u32 v50, s7, 5, v8
	v_pk_mov_b32 v[38:39], 0, 0
	v_ashrrev_i32_e32 v51, 31, v50
	s_mov_b64 s[22:23], 0
	s_andn2_b64 vcc, exec, s[18:19]
	v_pk_mov_b32 v[36:37], v[38:39], v[38:39] op_sel:[0,1]
	v_pk_mov_b32 v[34:35], v[38:39], v[38:39] op_sel:[0,1]
	;; [unrolled: 1-line block ×3, first 2 shown]
	s_cbranch_vccnz .LBB43_55
; %bb.5:                                ;   in Loop: Header=BB43_4 Depth=1
	v_ashrrev_i32_e32 v29, 31, v28
	v_mad_u64_u32 v[40:41], s[8:9], s20, v28, v[26:27]
	v_mul_lo_u32 v0, s21, v28
	v_mul_lo_u32 v1, s20, v29
	v_add3_u32 v41, v0, v41, v1
	v_lshlrev_b64 v[0:1], 3, v[28:29]
	v_add_co_u32_e32 v0, vcc, 0x80, v0
	v_addc_co_u32_e32 v1, vcc, 0, v1, vcc
	v_mul_lo_u32 v1, s24, v1
	v_mul_lo_u32 v2, s25, v0
	v_mad_u64_u32 v[42:43], s[8:9], s24, v0, v[26:27]
	v_add3_u32 v43, v2, v43, v1
	v_mov_b32_e32 v1, s6
	v_sub_co_u32_e32 v0, vcc, s30, v50
	v_subb_co_u32_e32 v1, vcc, v1, v51, vcc
	v_pk_mov_b32 v[32:33], 0, 0
	v_cmp_lt_i64_e32 vcc, 0, v[0:1]
	v_cmp_lt_i64_e64 s[8:9], 16, v[0:1]
	s_mov_b64 s[26:27], 0
	v_pk_mov_b32 v[34:35], v[32:33], v[32:33] op_sel:[0,1]
	v_pk_mov_b32 v[36:37], v[32:33], v[32:33] op_sel:[0,1]
	;; [unrolled: 1-line block ×3, first 2 shown]
	s_branch .LBB43_7
.LBB43_6:                               ;   in Loop: Header=BB43_7 Depth=2
	s_or_b64 exec, exec, s[12:13]
	s_waitcnt lgkmcnt(0)
	s_barrier
	ds_read2_b64 v[52:55], v44 offset1:16
	ds_read_b128 v[56:59], v46
	ds_read_b128 v[60:63], v46 offset:16
	ds_read_b128 v[4:7], v46 offset:32
	;; [unrolled: 1-line block ×4, first 2 shown]
	ds_read2_b64 v[68:71], v44 offset0:32 offset1:48
	s_waitcnt lgkmcnt(5)
	v_fmac_f64_e32 v[38:39], v[52:53], v[56:57]
	v_fmac_f64_e32 v[36:37], v[54:55], v[56:57]
	ds_read_b128 v[72:75], v46 offset:4112
	s_waitcnt lgkmcnt(2)
	v_fmac_f64_e32 v[34:35], v[52:53], v[64:65]
	v_fmac_f64_e32 v[32:33], v[54:55], v[64:65]
	ds_read2_b64 v[52:55], v44 offset0:64 offset1:80
	s_waitcnt lgkmcnt(2)
	v_fmac_f64_e32 v[38:39], v[68:69], v[58:59]
	v_fmac_f64_e32 v[36:37], v[70:71], v[58:59]
	ds_read2_b64 v[56:59], v44 offset0:96 offset1:112
	v_fmac_f64_e32 v[34:35], v[68:69], v[66:67]
	v_fmac_f64_e32 v[32:33], v[70:71], v[66:67]
	ds_read_b128 v[64:67], v46 offset:4144
	s_waitcnt lgkmcnt(2)
	v_fmac_f64_e32 v[38:39], v[52:53], v[60:61]
	v_fmac_f64_e32 v[36:37], v[54:55], v[60:61]
	;; [unrolled: 1-line block ×4, first 2 shown]
	s_waitcnt lgkmcnt(1)
	v_fmac_f64_e32 v[38:39], v[56:57], v[62:63]
	ds_read2_b64 v[52:55], v44 offset0:128 offset1:144
	v_fmac_f64_e32 v[36:37], v[58:59], v[62:63]
	v_fmac_f64_e32 v[34:35], v[56:57], v[74:75]
	;; [unrolled: 1-line block ×3, first 2 shown]
	ds_read_b128 v[56:59], v46 offset:4128
	ds_read2_b64 v[60:63], v44 offset0:160 offset1:176
	s_waitcnt lgkmcnt(2)
	v_fmac_f64_e32 v[38:39], v[52:53], v[4:5]
	v_fmac_f64_e32 v[36:37], v[54:55], v[4:5]
	v_add_u32_e32 v29, 0x800, v44
	s_waitcnt lgkmcnt(1)
	v_fmac_f64_e32 v[34:35], v[52:53], v[56:57]
	v_fmac_f64_e32 v[32:33], v[54:55], v[56:57]
	ds_read2_b64 v[52:55], v44 offset0:192 offset1:208
	s_waitcnt lgkmcnt(1)
	v_fmac_f64_e32 v[38:39], v[60:61], v[6:7]
	v_fmac_f64_e32 v[36:37], v[62:63], v[6:7]
	ds_read2_b64 v[4:7], v44 offset0:224 offset1:240
	v_fmac_f64_e32 v[34:35], v[60:61], v[58:59]
	v_fmac_f64_e32 v[32:33], v[62:63], v[58:59]
	s_waitcnt lgkmcnt(1)
	v_fmac_f64_e32 v[38:39], v[52:53], v[0:1]
	v_fmac_f64_e32 v[36:37], v[54:55], v[0:1]
	;; [unrolled: 1-line block ×4, first 2 shown]
	s_waitcnt lgkmcnt(0)
	v_fmac_f64_e32 v[38:39], v[4:5], v[2:3]
	v_fmac_f64_e32 v[36:37], v[6:7], v[2:3]
	ds_read2_b64 v[0:3], v29 offset1:16
	ds_read_b128 v[52:55], v46 offset:64
	v_fmac_f64_e32 v[34:35], v[4:5], v[66:67]
	v_fmac_f64_e32 v[32:33], v[6:7], v[66:67]
	ds_read_b128 v[4:7], v46 offset:80
	ds_read_b128 v[56:59], v46 offset:4160
	ds_read2_b64 v[60:63], v29 offset0:32 offset1:48
	s_waitcnt lgkmcnt(3)
	v_fmac_f64_e32 v[38:39], v[0:1], v[52:53]
	v_fmac_f64_e32 v[36:37], v[2:3], v[52:53]
	ds_read_b128 v[64:67], v46 offset:4176
	s_waitcnt lgkmcnt(2)
	v_fmac_f64_e32 v[34:35], v[0:1], v[56:57]
	v_fmac_f64_e32 v[32:33], v[2:3], v[56:57]
	ds_read2_b64 v[0:3], v29 offset0:64 offset1:80
	s_waitcnt lgkmcnt(2)
	v_fmac_f64_e32 v[38:39], v[60:61], v[54:55]
	v_fmac_f64_e32 v[36:37], v[62:63], v[54:55]
	ds_read2_b64 v[52:55], v29 offset0:96 offset1:112
	v_fmac_f64_e32 v[34:35], v[60:61], v[58:59]
	v_fmac_f64_e32 v[32:33], v[62:63], v[58:59]
	s_waitcnt lgkmcnt(1)
	v_fmac_f64_e32 v[38:39], v[0:1], v[4:5]
	v_fmac_f64_e32 v[36:37], v[2:3], v[4:5]
	;; [unrolled: 1-line block ×4, first 2 shown]
	s_waitcnt lgkmcnt(0)
	v_fmac_f64_e32 v[38:39], v[52:53], v[6:7]
	v_fmac_f64_e32 v[36:37], v[54:55], v[6:7]
	ds_read2_b64 v[0:3], v29 offset0:128 offset1:144
	ds_read_b128 v[4:7], v46 offset:96
	v_fmac_f64_e32 v[34:35], v[52:53], v[66:67]
	v_fmac_f64_e32 v[32:33], v[54:55], v[66:67]
	ds_read_b128 v[52:55], v46 offset:112
	ds_read_b128 v[56:59], v46 offset:4192
	ds_read2_b64 v[60:63], v29 offset0:160 offset1:176
	s_waitcnt lgkmcnt(3)
	v_fmac_f64_e32 v[38:39], v[0:1], v[4:5]
	v_fmac_f64_e32 v[36:37], v[2:3], v[4:5]
	ds_read_b128 v[64:67], v46 offset:4208
	s_waitcnt lgkmcnt(2)
	v_fmac_f64_e32 v[34:35], v[0:1], v[56:57]
	v_fmac_f64_e32 v[32:33], v[2:3], v[56:57]
	ds_read2_b64 v[0:3], v29 offset0:192 offset1:208
	s_waitcnt lgkmcnt(2)
	v_fmac_f64_e32 v[38:39], v[60:61], v[6:7]
	v_fmac_f64_e32 v[36:37], v[62:63], v[6:7]
	ds_read2_b64 v[4:7], v29 offset0:224 offset1:240
	v_fmac_f64_e32 v[34:35], v[60:61], v[58:59]
	v_fmac_f64_e32 v[32:33], v[62:63], v[58:59]
	s_waitcnt lgkmcnt(1)
	v_fmac_f64_e32 v[38:39], v[0:1], v[52:53]
	v_fmac_f64_e32 v[36:37], v[2:3], v[52:53]
	;; [unrolled: 1-line block ×4, first 2 shown]
	v_add_u32_e32 v29, 0x1000, v44
	s_waitcnt lgkmcnt(0)
	v_fmac_f64_e32 v[38:39], v[4:5], v[54:55]
	v_fmac_f64_e32 v[36:37], v[6:7], v[54:55]
	ds_read2_b64 v[0:3], v29 offset1:16
	ds_read_b128 v[52:55], v46 offset:128
	v_fmac_f64_e32 v[34:35], v[4:5], v[66:67]
	v_fmac_f64_e32 v[32:33], v[6:7], v[66:67]
	ds_read_b128 v[4:7], v46 offset:144
	ds_read_b128 v[56:59], v46 offset:4224
	ds_read2_b64 v[60:63], v29 offset0:32 offset1:48
	s_waitcnt lgkmcnt(3)
	v_fmac_f64_e32 v[38:39], v[0:1], v[52:53]
	v_fmac_f64_e32 v[36:37], v[2:3], v[52:53]
	ds_read_b128 v[64:67], v46 offset:4240
	s_waitcnt lgkmcnt(2)
	v_fmac_f64_e32 v[34:35], v[0:1], v[56:57]
	v_fmac_f64_e32 v[32:33], v[2:3], v[56:57]
	ds_read2_b64 v[0:3], v29 offset0:64 offset1:80
	s_waitcnt lgkmcnt(2)
	v_fmac_f64_e32 v[38:39], v[60:61], v[54:55]
	v_fmac_f64_e32 v[36:37], v[62:63], v[54:55]
	ds_read2_b64 v[52:55], v29 offset0:96 offset1:112
	v_fmac_f64_e32 v[34:35], v[60:61], v[58:59]
	v_fmac_f64_e32 v[32:33], v[62:63], v[58:59]
	s_waitcnt lgkmcnt(1)
	v_fmac_f64_e32 v[38:39], v[0:1], v[4:5]
	v_fmac_f64_e32 v[36:37], v[2:3], v[4:5]
	;; [unrolled: 1-line block ×4, first 2 shown]
	s_waitcnt lgkmcnt(0)
	v_fmac_f64_e32 v[38:39], v[52:53], v[6:7]
	v_fmac_f64_e32 v[36:37], v[54:55], v[6:7]
	ds_read2_b64 v[0:3], v29 offset0:128 offset1:144
	ds_read_b128 v[4:7], v46 offset:160
	v_fmac_f64_e32 v[34:35], v[52:53], v[66:67]
	v_fmac_f64_e32 v[32:33], v[54:55], v[66:67]
	ds_read_b128 v[52:55], v46 offset:176
	ds_read_b128 v[56:59], v46 offset:4256
	ds_read2_b64 v[60:63], v29 offset0:160 offset1:176
	s_waitcnt lgkmcnt(3)
	v_fmac_f64_e32 v[38:39], v[0:1], v[4:5]
	v_fmac_f64_e32 v[36:37], v[2:3], v[4:5]
	ds_read_b128 v[64:67], v46 offset:4272
	s_waitcnt lgkmcnt(2)
	v_fmac_f64_e32 v[34:35], v[0:1], v[56:57]
	v_fmac_f64_e32 v[32:33], v[2:3], v[56:57]
	ds_read2_b64 v[0:3], v29 offset0:192 offset1:208
	s_waitcnt lgkmcnt(2)
	v_fmac_f64_e32 v[38:39], v[60:61], v[6:7]
	v_fmac_f64_e32 v[36:37], v[62:63], v[6:7]
	ds_read2_b64 v[4:7], v29 offset0:224 offset1:240
	v_fmac_f64_e32 v[34:35], v[60:61], v[58:59]
	v_fmac_f64_e32 v[32:33], v[62:63], v[58:59]
	s_waitcnt lgkmcnt(1)
	v_fmac_f64_e32 v[38:39], v[0:1], v[52:53]
	v_fmac_f64_e32 v[36:37], v[2:3], v[52:53]
	;; [unrolled: 1-line block ×4, first 2 shown]
	v_add_u32_e32 v29, 0x1800, v44
	s_waitcnt lgkmcnt(0)
	v_fmac_f64_e32 v[38:39], v[4:5], v[54:55]
	v_fmac_f64_e32 v[36:37], v[6:7], v[54:55]
	ds_read2_b64 v[0:3], v29 offset1:16
	ds_read_b128 v[52:55], v46 offset:192
	v_fmac_f64_e32 v[34:35], v[4:5], v[66:67]
	v_fmac_f64_e32 v[32:33], v[6:7], v[66:67]
	ds_read_b128 v[4:7], v46 offset:208
	ds_read_b128 v[56:59], v46 offset:4288
	ds_read2_b64 v[60:63], v29 offset0:32 offset1:48
	s_waitcnt lgkmcnt(3)
	v_fmac_f64_e32 v[38:39], v[0:1], v[52:53]
	v_fmac_f64_e32 v[36:37], v[2:3], v[52:53]
	ds_read_b128 v[64:67], v46 offset:4304
	s_waitcnt lgkmcnt(2)
	v_fmac_f64_e32 v[34:35], v[0:1], v[56:57]
	v_fmac_f64_e32 v[32:33], v[2:3], v[56:57]
	ds_read2_b64 v[0:3], v29 offset0:64 offset1:80
	s_waitcnt lgkmcnt(2)
	v_fmac_f64_e32 v[38:39], v[60:61], v[54:55]
	v_fmac_f64_e32 v[36:37], v[62:63], v[54:55]
	ds_read2_b64 v[52:55], v29 offset0:96 offset1:112
	v_fmac_f64_e32 v[34:35], v[60:61], v[58:59]
	v_fmac_f64_e32 v[32:33], v[62:63], v[58:59]
	s_waitcnt lgkmcnt(1)
	v_fmac_f64_e32 v[38:39], v[0:1], v[4:5]
	v_fmac_f64_e32 v[36:37], v[2:3], v[4:5]
	;; [unrolled: 1-line block ×4, first 2 shown]
	s_waitcnt lgkmcnt(0)
	v_fmac_f64_e32 v[38:39], v[52:53], v[6:7]
	v_fmac_f64_e32 v[36:37], v[54:55], v[6:7]
	ds_read2_b64 v[0:3], v29 offset0:128 offset1:144
	ds_read_b128 v[4:7], v46 offset:224
	v_fmac_f64_e32 v[34:35], v[52:53], v[66:67]
	v_fmac_f64_e32 v[32:33], v[54:55], v[66:67]
	ds_read_b128 v[52:55], v46 offset:240
	ds_read_b128 v[56:59], v46 offset:4320
	ds_read2_b64 v[60:63], v29 offset0:160 offset1:176
	s_waitcnt lgkmcnt(3)
	v_fmac_f64_e32 v[38:39], v[0:1], v[4:5]
	v_fmac_f64_e32 v[36:37], v[2:3], v[4:5]
	ds_read_b128 v[64:67], v46 offset:4336
	s_waitcnt lgkmcnt(2)
	v_fmac_f64_e32 v[34:35], v[0:1], v[56:57]
	v_fmac_f64_e32 v[32:33], v[2:3], v[56:57]
	ds_read2_b64 v[0:3], v29 offset0:192 offset1:208
	s_waitcnt lgkmcnt(2)
	v_fmac_f64_e32 v[38:39], v[60:61], v[6:7]
	v_fmac_f64_e32 v[36:37], v[62:63], v[6:7]
	ds_read2_b64 v[4:7], v29 offset0:224 offset1:240
	s_add_u32 s26, s26, 32
	s_addc_u32 s27, s27, 0
	s_sub_i32 s10, s26, 32
	v_fmac_f64_e32 v[34:35], v[60:61], v[58:59]
	v_fmac_f64_e32 v[32:33], v[62:63], v[58:59]
	s_add_u32 s22, s22, 0x100
	s_waitcnt lgkmcnt(1)
	v_fmac_f64_e32 v[38:39], v[0:1], v[52:53]
	v_fmac_f64_e32 v[36:37], v[2:3], v[52:53]
	;; [unrolled: 1-line block ×4, first 2 shown]
	s_addc_u32 s23, s23, 0
	s_waitcnt lgkmcnt(0)
	v_fmac_f64_e32 v[38:39], v[4:5], v[54:55]
	v_fmac_f64_e32 v[36:37], v[6:7], v[54:55]
	;; [unrolled: 1-line block ×4, first 2 shown]
	s_cmp_ge_i32 s10, s49
	s_barrier
	s_cbranch_scc1 .LBB43_55
.LBB43_7:                               ;   Parent Loop BB43_4 Depth=1
                                        ; =>  This Inner Loop Header: Depth=2
	v_mov_b32_e32 v0, s27
	v_add_co_u32_e64 v2, s[10:11], s26, v8
	v_addc_co_u32_e64 v3, s[10:11], 0, v0, s[10:11]
	v_mov_b32_e32 v1, s23
	v_add_co_u32_e64 v0, s[10:11], s22, v9
	v_addc_co_u32_e64 v1, s[10:11], v13, v1, s[10:11]
	v_cmp_eq_u64_e64 s[10:11], s[26:27], v[20:21]
	v_cmp_le_i64_e64 s[12:13], s[38:39], v[2:3]
	s_and_b64 s[44:45], s[36:37], s[10:11]
	v_cmp_gt_i64_e64 s[10:11], v[2:3], v[14:15]
	s_or_b64 s[16:17], s[12:13], s[10:11]
	s_or_b64 s[16:17], s[16:17], s[44:45]
	s_or_b64 s[16:17], s[0:1], s[16:17]
	s_xor_b64 s[16:17], s[16:17], -1
	s_and_saveexec_b64 s[28:29], s[16:17]
	s_xor_b64 s[16:17], exec, s[28:29]
	s_cbranch_execz .LBB43_9
; %bb.8:                                ;   in Loop: Header=BB43_7 Depth=2
	global_load_dwordx2 v[4:5], v[0:1], off
	s_waitcnt vmcnt(0)
	ds_write_b64 v45, v[4:5]
.LBB43_9:                               ;   in Loop: Header=BB43_7 Depth=2
	s_or_saveexec_b64 s[16:17], s[16:17]
	s_xor_b64 s[28:29], s[44:45], -1
	s_xor_b64 exec, exec, s[16:17]
	s_cbranch_execz .LBB43_15
; %bb.10:                               ;   in Loop: Header=BB43_7 Depth=2
	s_and_saveexec_b64 s[46:47], s[28:29]
	s_xor_b64 s[46:47], exec, s[46:47]
	s_cbranch_execz .LBB43_12
; %bb.11:                               ;   in Loop: Header=BB43_7 Depth=2
	v_mov_b32_e32 v4, v10
	v_mov_b32_e32 v5, v10
	ds_write_b64 v45, v[4:5]
.LBB43_12:                              ;   in Loop: Header=BB43_7 Depth=2
	s_andn2_saveexec_b64 s[46:47], s[46:47]
	s_cbranch_execz .LBB43_14
; %bb.13:                               ;   in Loop: Header=BB43_7 Depth=2
	ds_write_b64 v45, v[10:11]
.LBB43_14:                              ;   in Loop: Header=BB43_7 Depth=2
	s_or_b64 exec, exec, s[46:47]
.LBB43_15:                              ;   in Loop: Header=BB43_7 Depth=2
	s_or_b64 exec, exec, s[16:17]
	v_cmp_eq_u64_e64 s[16:17], s[26:27], v[22:23]
	s_and_b64 s[46:47], s[36:37], s[16:17]
	v_cmp_lt_i64_e64 s[16:17], v[16:17], v[2:3]
	s_or_b64 s[12:13], s[12:13], s[16:17]
	s_or_b64 s[12:13], s[12:13], s[46:47]
	;; [unrolled: 1-line block ×3, first 2 shown]
	s_xor_b64 s[12:13], s[12:13], -1
	s_and_saveexec_b64 s[16:17], s[12:13]
	s_xor_b64 s[16:17], exec, s[16:17]
	s_cbranch_execz .LBB43_17
; %bb.16:                               ;   in Loop: Header=BB43_7 Depth=2
	v_mov_b32_e32 v5, s23
	v_add_co_u32_e64 v4, s[12:13], s22, v48
	v_addc_co_u32_e64 v5, s[12:13], v49, v5, s[12:13]
	global_load_dwordx2 v[4:5], v[4:5], off
	s_waitcnt vmcnt(0)
	ds_write_b64 v45, v[4:5] offset:128
.LBB43_17:                              ;   in Loop: Header=BB43_7 Depth=2
	s_andn2_saveexec_b64 s[12:13], s[16:17]
	s_cbranch_execz .LBB43_23
; %bb.18:                               ;   in Loop: Header=BB43_7 Depth=2
	s_xor_b64 s[16:17], s[46:47], -1
	s_and_saveexec_b64 s[46:47], s[16:17]
	s_xor_b64 s[16:17], exec, s[46:47]
	s_cbranch_execz .LBB43_20
; %bb.19:                               ;   in Loop: Header=BB43_7 Depth=2
	v_mov_b32_e32 v4, v10
	v_mov_b32_e32 v5, v10
	ds_write_b64 v45, v[4:5] offset:128
.LBB43_20:                              ;   in Loop: Header=BB43_7 Depth=2
	s_andn2_saveexec_b64 s[16:17], s[16:17]
	s_cbranch_execz .LBB43_22
; %bb.21:                               ;   in Loop: Header=BB43_7 Depth=2
	ds_write_b64 v45, v[10:11] offset:128
.LBB43_22:                              ;   in Loop: Header=BB43_7 Depth=2
	s_or_b64 exec, exec, s[16:17]
.LBB43_23:                              ;   in Loop: Header=BB43_7 Depth=2
	s_or_b64 exec, exec, s[12:13]
	v_add_co_u32_e64 v2, s[12:13], 16, v2
	v_addc_co_u32_e64 v3, s[12:13], 0, v3, s[12:13]
	v_cmp_eq_u64_e64 s[16:17], s[26:27], v[24:25]
	v_cmp_le_i64_e64 s[12:13], s[38:39], v[2:3]
	s_and_b64 s[46:47], s[36:37], s[16:17]
	v_cmp_gt_i64_e64 s[16:17], v[2:3], v[14:15]
	s_or_b64 s[16:17], s[12:13], s[16:17]
	s_or_b64 s[16:17], s[16:17], s[46:47]
	;; [unrolled: 1-line block ×3, first 2 shown]
	s_xor_b64 s[16:17], s[16:17], -1
	s_and_saveexec_b64 s[52:53], s[16:17]
	s_xor_b64 s[16:17], exec, s[52:53]
	s_cbranch_execz .LBB43_25
; %bb.24:                               ;   in Loop: Header=BB43_7 Depth=2
	global_load_dwordx2 v[0:1], v[0:1], off offset:128
	s_waitcnt vmcnt(0)
	ds_write_b64 v45, v[0:1] offset:4096
.LBB43_25:                              ;   in Loop: Header=BB43_7 Depth=2
	s_andn2_saveexec_b64 s[16:17], s[16:17]
	s_cbranch_execz .LBB43_31
; %bb.26:                               ;   in Loop: Header=BB43_7 Depth=2
	s_xor_b64 s[46:47], s[46:47], -1
	s_and_saveexec_b64 s[52:53], s[46:47]
	s_xor_b64 s[46:47], exec, s[52:53]
	s_cbranch_execz .LBB43_28
; %bb.27:                               ;   in Loop: Header=BB43_7 Depth=2
	v_mov_b32_e32 v0, v10
	v_mov_b32_e32 v1, v10
	ds_write_b64 v45, v[0:1] offset:4096
.LBB43_28:                              ;   in Loop: Header=BB43_7 Depth=2
	s_andn2_saveexec_b64 s[46:47], s[46:47]
	s_cbranch_execz .LBB43_30
; %bb.29:                               ;   in Loop: Header=BB43_7 Depth=2
	ds_write_b64 v45, v[10:11] offset:4096
.LBB43_30:                              ;   in Loop: Header=BB43_7 Depth=2
	s_or_b64 exec, exec, s[46:47]
.LBB43_31:                              ;   in Loop: Header=BB43_7 Depth=2
	s_or_b64 exec, exec, s[16:17]
	s_or_b64 s[10:11], s[12:13], s[10:11]
	s_or_b64 s[10:11], s[10:11], s[44:45]
	;; [unrolled: 1-line block ×3, first 2 shown]
	s_xor_b64 s[10:11], s[10:11], -1
	s_and_saveexec_b64 s[12:13], s[10:11]
	s_xor_b64 s[12:13], exec, s[12:13]
	s_cbranch_execz .LBB43_33
; %bb.32:                               ;   in Loop: Header=BB43_7 Depth=2
	v_mov_b32_e32 v1, s23
	v_add_co_u32_e64 v0, s[10:11], s22, v48
	v_addc_co_u32_e64 v1, s[10:11], v49, v1, s[10:11]
	global_load_dwordx2 v[0:1], v[0:1], off offset:128
	s_waitcnt vmcnt(0)
	ds_write_b64 v45, v[0:1] offset:4224
.LBB43_33:                              ;   in Loop: Header=BB43_7 Depth=2
	s_andn2_saveexec_b64 s[10:11], s[12:13]
	s_cbranch_execz .LBB43_39
; %bb.34:                               ;   in Loop: Header=BB43_7 Depth=2
	s_and_saveexec_b64 s[12:13], s[28:29]
	s_xor_b64 s[12:13], exec, s[12:13]
	s_cbranch_execz .LBB43_36
; %bb.35:                               ;   in Loop: Header=BB43_7 Depth=2
	v_mov_b32_e32 v0, v10
	v_mov_b32_e32 v1, v10
	ds_write_b64 v45, v[0:1] offset:4224
.LBB43_36:                              ;   in Loop: Header=BB43_7 Depth=2
	s_andn2_saveexec_b64 s[12:13], s[12:13]
	s_cbranch_execz .LBB43_38
; %bb.37:                               ;   in Loop: Header=BB43_7 Depth=2
	ds_write_b64 v45, v[10:11] offset:4224
.LBB43_38:                              ;   in Loop: Header=BB43_7 Depth=2
	s_or_b64 exec, exec, s[12:13]
.LBB43_39:                              ;   in Loop: Header=BB43_7 Depth=2
	s_or_b64 exec, exec, s[10:11]
	v_mov_b32_e32 v1, s27
	v_add_co_u32_e64 v0, s[10:11], s26, v12
	v_addc_co_u32_e64 v1, s[10:11], 0, v1, s[10:11]
	v_cmp_gt_i64_e64 s[10:11], s[38:39], v[0:1]
	s_and_b64 s[12:13], vcc, s[10:11]
	s_xor_b64 s[12:13], s[12:13], -1
	s_and_saveexec_b64 s[16:17], s[12:13]
	s_xor_b64 s[12:13], exec, s[16:17]
	s_cbranch_execz .LBB43_41
; %bb.40:                               ;   in Loop: Header=BB43_7 Depth=2
	v_mov_b32_e32 v2, v10
	v_mov_b32_e32 v3, v10
	ds_write_b64 v47, v[2:3]
.LBB43_41:                              ;   in Loop: Header=BB43_7 Depth=2
	s_or_saveexec_b64 s[16:17], s[12:13]
	v_mov_b32_e32 v3, s23
	v_add_co_u32_e64 v2, s[12:13], s22, v40
	v_addc_co_u32_e64 v3, s[12:13], v41, v3, s[12:13]
	s_xor_b64 exec, exec, s[16:17]
	s_cbranch_execz .LBB43_43
; %bb.42:                               ;   in Loop: Header=BB43_7 Depth=2
	global_load_dwordx2 v[4:5], v[2:3], off offset:-128
	s_waitcnt vmcnt(0)
	ds_write_b64 v47, v[4:5]
.LBB43_43:                              ;   in Loop: Header=BB43_7 Depth=2
	s_or_b64 exec, exec, s[16:17]
	v_cmp_gt_i64_e64 s[12:13], s[42:43], v[0:1]
	s_and_b64 s[16:17], vcc, s[12:13]
	s_xor_b64 s[16:17], s[16:17], -1
	s_and_saveexec_b64 s[28:29], s[16:17]
	s_xor_b64 s[16:17], exec, s[28:29]
	s_cbranch_execz .LBB43_45
; %bb.44:                               ;   in Loop: Header=BB43_7 Depth=2
	v_mov_b32_e32 v0, v10
	v_mov_b32_e32 v1, v10
	ds_write_b64 v47, v[0:1] offset:128
                                        ; implicit-def: $vgpr2_vgpr3
.LBB43_45:                              ;   in Loop: Header=BB43_7 Depth=2
	s_andn2_saveexec_b64 s[16:17], s[16:17]
	s_cbranch_execz .LBB43_47
; %bb.46:                               ;   in Loop: Header=BB43_7 Depth=2
	global_load_dwordx2 v[0:1], v[2:3], off
	s_waitcnt vmcnt(0)
	ds_write_b64 v47, v[0:1] offset:128
.LBB43_47:                              ;   in Loop: Header=BB43_7 Depth=2
	s_or_b64 exec, exec, s[16:17]
	s_and_b64 s[10:11], s[8:9], s[10:11]
	s_xor_b64 s[10:11], s[10:11], -1
	s_and_saveexec_b64 s[16:17], s[10:11]
	s_xor_b64 s[10:11], exec, s[16:17]
	s_cbranch_execz .LBB43_49
; %bb.48:                               ;   in Loop: Header=BB43_7 Depth=2
	v_mov_b32_e32 v0, v10
	v_mov_b32_e32 v1, v10
	ds_write_b64 v47, v[0:1] offset:4096
.LBB43_49:                              ;   in Loop: Header=BB43_7 Depth=2
	s_andn2_saveexec_b64 s[16:17], s[10:11]
	s_cbranch_execz .LBB43_51
; %bb.50:                               ;   in Loop: Header=BB43_7 Depth=2
	v_mov_b32_e32 v1, s23
	v_add_co_u32_e64 v0, s[10:11], s22, v42
	v_addc_co_u32_e64 v1, s[10:11], v43, v1, s[10:11]
	global_load_dwordx2 v[0:1], v[0:1], off offset:-128
	s_waitcnt vmcnt(0)
	ds_write_b64 v47, v[0:1] offset:4096
.LBB43_51:                              ;   in Loop: Header=BB43_7 Depth=2
	s_or_b64 exec, exec, s[16:17]
	s_and_b64 s[10:11], s[8:9], s[12:13]
	s_xor_b64 s[10:11], s[10:11], -1
	s_and_saveexec_b64 s[12:13], s[10:11]
	s_xor_b64 s[10:11], exec, s[12:13]
	s_cbranch_execz .LBB43_53
; %bb.52:                               ;   in Loop: Header=BB43_7 Depth=2
	v_mov_b32_e32 v0, v10
	v_mov_b32_e32 v1, v10
	ds_write_b64 v47, v[0:1] offset:4224
.LBB43_53:                              ;   in Loop: Header=BB43_7 Depth=2
	s_andn2_saveexec_b64 s[12:13], s[10:11]
	s_cbranch_execz .LBB43_6
; %bb.54:                               ;   in Loop: Header=BB43_7 Depth=2
	v_mov_b32_e32 v1, s23
	v_add_co_u32_e64 v0, s[10:11], s22, v42
	v_addc_co_u32_e64 v1, s[10:11], v43, v1, s[10:11]
	global_load_dwordx2 v[0:1], v[0:1], off
	s_waitcnt vmcnt(0)
	ds_write_b64 v47, v[0:1] offset:4224
	s_branch .LBB43_6
.LBB43_55:                              ;   in Loop: Header=BB43_4 Depth=1
	v_mul_lo_u32 v2, v51, s40
	v_mul_lo_u32 v3, v50, s41
	v_mad_u64_u32 v[0:1], s[8:9], v50, s40, 0
	v_add3_u32 v1, v1, v3, v2
	v_lshlrev_b64 v[0:1], 3, v[0:1]
	v_mov_b32_e32 v2, s48
	v_add_co_u32_e64 v0, s[8:9], s33, v0
	v_cmp_gt_i32_e32 vcc, s30, v50
	v_addc_co_u32_e64 v1, s[8:9], v2, v1, s[8:9]
	s_and_b64 s[8:9], s[4:5], vcc
	s_and_saveexec_b64 s[10:11], s[8:9]
	s_cbranch_execz .LBB43_57
; %bb.56:                               ;   in Loop: Header=BB43_4 Depth=1
	v_add_co_u32_e64 v2, s[8:9], v0, v30
	v_addc_co_u32_e64 v3, s[8:9], v1, v31, s[8:9]
	global_load_dwordx2 v[4:5], v[2:3], off
	s_waitcnt vmcnt(0)
	v_fmac_f64_e32 v[4:5], s[34:35], v[38:39]
	global_store_dwordx2 v[2:3], v[4:5], off
.LBB43_57:                              ;   in Loop: Header=BB43_4 Depth=1
	s_or_b64 exec, exec, s[10:11]
	s_and_b64 s[10:11], s[14:15], vcc
	s_and_saveexec_b64 s[8:9], s[10:11]
	s_cbranch_execz .LBB43_59
; %bb.58:                               ;   in Loop: Header=BB43_4 Depth=1
	v_lshlrev_b64 v[2:3], 3, v[18:19]
	v_add_co_u32_e32 v0, vcc, v0, v2
	v_addc_co_u32_e32 v1, vcc, v1, v3, vcc
	global_load_dwordx2 v[2:3], v[0:1], off
	s_waitcnt vmcnt(0)
	v_fmac_f64_e32 v[2:3], s[34:35], v[36:37]
	global_store_dwordx2 v[0:1], v[2:3], off
.LBB43_59:                              ;   in Loop: Header=BB43_4 Depth=1
	s_or_b64 exec, exec, s[8:9]
	v_add_u32_e32 v0, 16, v50
	v_ashrrev_i32_e32 v1, 31, v0
	v_cmp_gt_i32_e32 vcc, s30, v0
	v_mul_lo_u32 v2, v1, s40
	v_mul_lo_u32 v3, v0, s41
	v_mad_u64_u32 v[0:1], s[8:9], v0, s40, 0
	v_add3_u32 v1, v1, v3, v2
	v_lshlrev_b64 v[0:1], 3, v[0:1]
	v_mov_b32_e32 v2, s48
	v_add_co_u32_e64 v0, s[8:9], s33, v0
	v_addc_co_u32_e64 v1, s[8:9], v2, v1, s[8:9]
	s_and_b64 s[8:9], s[4:5], vcc
	s_and_saveexec_b64 s[10:11], s[8:9]
	s_cbranch_execz .LBB43_61
; %bb.60:                               ;   in Loop: Header=BB43_4 Depth=1
	v_add_co_u32_e64 v2, s[8:9], v0, v30
	v_addc_co_u32_e64 v3, s[8:9], v1, v31, s[8:9]
	global_load_dwordx2 v[4:5], v[2:3], off
	s_waitcnt vmcnt(0)
	v_fmac_f64_e32 v[4:5], s[34:35], v[34:35]
	global_store_dwordx2 v[2:3], v[4:5], off
.LBB43_61:                              ;   in Loop: Header=BB43_4 Depth=1
	s_or_b64 exec, exec, s[10:11]
	s_and_b64 s[10:11], s[14:15], vcc
	s_and_saveexec_b64 s[8:9], s[10:11]
	s_cbranch_execz .LBB43_3
; %bb.62:                               ;   in Loop: Header=BB43_4 Depth=1
	v_lshlrev_b64 v[2:3], 3, v[18:19]
	v_add_co_u32_e32 v0, vcc, v0, v2
	v_addc_co_u32_e32 v1, vcc, v1, v3, vcc
	global_load_dwordx2 v[2:3], v[0:1], off
	s_waitcnt vmcnt(0)
	v_fmac_f64_e32 v[2:3], s[34:35], v[32:33]
	global_store_dwordx2 v[0:1], v[2:3], off
	s_branch .LBB43_3
.LBB43_63:
	s_endpgm
	.section	.rodata,"a",@progbits
	.p2align	6, 0x0
	.amdhsa_kernel _ZL30rocblas_trmm_outofplace_kernelIdLi32ELi2ELb1ELb1ELb1ELb0EdKddEv17rocblas_diagonal_iiT6_lPT7_lllS4_lllPT8_llli
		.amdhsa_group_segment_fixed_size 16384
		.amdhsa_private_segment_fixed_size 0
		.amdhsa_kernarg_size 392
		.amdhsa_user_sgpr_count 6
		.amdhsa_user_sgpr_private_segment_buffer 1
		.amdhsa_user_sgpr_dispatch_ptr 0
		.amdhsa_user_sgpr_queue_ptr 0
		.amdhsa_user_sgpr_kernarg_segment_ptr 1
		.amdhsa_user_sgpr_dispatch_id 0
		.amdhsa_user_sgpr_flat_scratch_init 0
		.amdhsa_user_sgpr_kernarg_preload_length 0
		.amdhsa_user_sgpr_kernarg_preload_offset 0
		.amdhsa_user_sgpr_private_segment_size 0
		.amdhsa_uses_dynamic_stack 0
		.amdhsa_system_sgpr_private_segment_wavefront_offset 0
		.amdhsa_system_sgpr_workgroup_id_x 1
		.amdhsa_system_sgpr_workgroup_id_y 1
		.amdhsa_system_sgpr_workgroup_id_z 1
		.amdhsa_system_sgpr_workgroup_info 0
		.amdhsa_system_vgpr_workitem_id 1
		.amdhsa_next_free_vgpr 76
		.amdhsa_next_free_sgpr 54
		.amdhsa_accum_offset 76
		.amdhsa_reserve_vcc 1
		.amdhsa_reserve_flat_scratch 0
		.amdhsa_float_round_mode_32 0
		.amdhsa_float_round_mode_16_64 0
		.amdhsa_float_denorm_mode_32 3
		.amdhsa_float_denorm_mode_16_64 3
		.amdhsa_dx10_clamp 1
		.amdhsa_ieee_mode 1
		.amdhsa_fp16_overflow 0
		.amdhsa_tg_split 0
		.amdhsa_exception_fp_ieee_invalid_op 0
		.amdhsa_exception_fp_denorm_src 0
		.amdhsa_exception_fp_ieee_div_zero 0
		.amdhsa_exception_fp_ieee_overflow 0
		.amdhsa_exception_fp_ieee_underflow 0
		.amdhsa_exception_fp_ieee_inexact 0
		.amdhsa_exception_int_div_zero 0
	.end_amdhsa_kernel
	.section	.text._ZL30rocblas_trmm_outofplace_kernelIdLi32ELi2ELb1ELb1ELb1ELb0EdKddEv17rocblas_diagonal_iiT6_lPT7_lllS4_lllPT8_llli,"axG",@progbits,_ZL30rocblas_trmm_outofplace_kernelIdLi32ELi2ELb1ELb1ELb1ELb0EdKddEv17rocblas_diagonal_iiT6_lPT7_lllS4_lllPT8_llli,comdat
.Lfunc_end43:
	.size	_ZL30rocblas_trmm_outofplace_kernelIdLi32ELi2ELb1ELb1ELb1ELb0EdKddEv17rocblas_diagonal_iiT6_lPT7_lllS4_lllPT8_llli, .Lfunc_end43-_ZL30rocblas_trmm_outofplace_kernelIdLi32ELi2ELb1ELb1ELb1ELb0EdKddEv17rocblas_diagonal_iiT6_lPT7_lllS4_lllPT8_llli
                                        ; -- End function
	.section	.AMDGPU.csdata,"",@progbits
; Kernel info:
; codeLenInByte = 3420
; NumSgprs: 58
; NumVgprs: 76
; NumAgprs: 0
; TotalNumVgprs: 76
; ScratchSize: 0
; MemoryBound: 1
; FloatMode: 240
; IeeeMode: 1
; LDSByteSize: 16384 bytes/workgroup (compile time only)
; SGPRBlocks: 7
; VGPRBlocks: 9
; NumSGPRsForWavesPerEU: 58
; NumVGPRsForWavesPerEU: 76
; AccumOffset: 76
; Occupancy: 6
; WaveLimiterHint : 0
; COMPUTE_PGM_RSRC2:SCRATCH_EN: 0
; COMPUTE_PGM_RSRC2:USER_SGPR: 6
; COMPUTE_PGM_RSRC2:TRAP_HANDLER: 0
; COMPUTE_PGM_RSRC2:TGID_X_EN: 1
; COMPUTE_PGM_RSRC2:TGID_Y_EN: 1
; COMPUTE_PGM_RSRC2:TGID_Z_EN: 1
; COMPUTE_PGM_RSRC2:TIDIG_COMP_CNT: 1
; COMPUTE_PGM_RSRC3_GFX90A:ACCUM_OFFSET: 18
; COMPUTE_PGM_RSRC3_GFX90A:TG_SPLIT: 0
	.section	.text._ZL30rocblas_trmm_outofplace_kernelIdLi32ELi2ELb1ELb0ELb1ELb1EPKdS0_dEv17rocblas_diagonal_iiT6_lPT7_lllS5_lllPT8_llli,"axG",@progbits,_ZL30rocblas_trmm_outofplace_kernelIdLi32ELi2ELb1ELb0ELb1ELb1EPKdS0_dEv17rocblas_diagonal_iiT6_lPT7_lllS5_lllPT8_llli,comdat
	.globl	_ZL30rocblas_trmm_outofplace_kernelIdLi32ELi2ELb1ELb0ELb1ELb1EPKdS0_dEv17rocblas_diagonal_iiT6_lPT7_lllS5_lllPT8_llli ; -- Begin function _ZL30rocblas_trmm_outofplace_kernelIdLi32ELi2ELb1ELb0ELb1ELb1EPKdS0_dEv17rocblas_diagonal_iiT6_lPT7_lllS5_lllPT8_llli
	.p2align	8
	.type	_ZL30rocblas_trmm_outofplace_kernelIdLi32ELi2ELb1ELb0ELb1ELb1EPKdS0_dEv17rocblas_diagonal_iiT6_lPT7_lllS5_lllPT8_llli,@function
_ZL30rocblas_trmm_outofplace_kernelIdLi32ELi2ELb1ELb0ELb1ELb1EPKdS0_dEv17rocblas_diagonal_iiT6_lPT7_lllS5_lllPT8_llli: ; @_ZL30rocblas_trmm_outofplace_kernelIdLi32ELi2ELb1ELb0ELb1ELb1EPKdS0_dEv17rocblas_diagonal_iiT6_lPT7_lllS5_lllPT8_llli
; %bb.0:
	s_load_dwordx16 s[12:27], s[4:5], 0x10
	s_waitcnt lgkmcnt(0)
	s_mul_i32 s0, s8, s15
	s_mul_hi_u32 s1, s8, s14
	s_add_i32 s1, s1, s0
	s_mul_i32 s0, s8, s14
	s_lshl_b64 s[0:1], s[0:1], 3
	s_add_u32 s0, s12, s0
	s_addc_u32 s1, s13, s1
	s_load_dwordx2 s[34:35], s[0:1], 0x0
	s_waitcnt lgkmcnt(0)
	v_cmp_eq_f64_e64 s[0:1], s[34:35], 0
	s_and_b64 vcc, exec, s[0:1]
	s_cbranch_vccnz .LBB44_63
; %bb.1:
	s_load_dwordx4 s[28:31], s[4:5], 0x0
	s_waitcnt lgkmcnt(0)
	s_add_i32 s0, s30, -1
	s_ashr_i32 s1, s0, 31
	s_lshr_b32 s1, s1, 27
	s_add_i32 s0, s0, s1
	s_ashr_i32 s31, s0, 5
	s_cmp_gt_i32 s7, s31
	s_cbranch_scc1 .LBB44_63
; %bb.2:
	s_mul_i32 s0, s8, s23
	s_mul_hi_u32 s1, s8, s22
	s_add_i32 s1, s1, s0
	s_mul_i32 s0, s8, s22
	s_load_dwordx4 s[44:47], s[4:5], 0x70
	s_load_dword s33, s[4:5], 0x8c
	s_lshl_b64 s[10:11], s[0:1], 3
	s_add_u32 s0, s16, s10
	s_load_dwordx8 s[36:43], s[4:5], 0x50
	s_addc_u32 s1, s17, s11
	s_lshl_b64 s[12:13], s[18:19], 3
	s_add_u32 s2, s0, s12
	s_addc_u32 s3, s1, s13
	s_waitcnt lgkmcnt(0)
	s_mul_i32 s0, s8, s47
	s_mul_hi_u32 s1, s8, s46
	s_add_i32 s1, s1, s0
	s_mul_i32 s0, s8, s46
	s_lshl_b64 s[0:1], s[0:1], 3
	s_add_u32 s4, s40, s0
	s_addc_u32 s5, s41, s1
	s_lshl_b64 s[0:1], s[42:43], 3
	s_add_u32 s48, s4, s0
	s_addc_u32 s49, s5, s1
	s_lshl_b32 s4, s6, 5
	v_and_b32_e32 v2, 0x3ff, v0
	v_add_u32_e32 v10, s4, v2
	v_ashrrev_i32_e32 v11, 31, v10
	v_bfe_u32 v42, v0, 10, 10
	v_mul_lo_u32 v3, v11, s20
	v_mul_lo_u32 v4, v10, s21
	v_mad_u64_u32 v[0:1], s[0:1], v10, s20, 0
	v_add3_u32 v1, v1, v4, v3
	v_add_u32_e32 v8, s4, v42
	v_lshlrev_b64 v[0:1], 3, v[0:1]
	v_ashrrev_i32_e32 v9, 31, v8
	v_mov_b32_e32 v3, s3
	v_add_co_u32_e32 v4, vcc, s2, v0
	v_addc_co_u32_e32 v3, vcc, v3, v1, vcc
	v_lshlrev_b64 v[0:1], 3, v[8:9]
	v_add_co_u32_e32 v43, vcc, v4, v0
	s_sub_i32 s6, s29, s4
	v_addc_co_u32_e32 v44, vcc, v3, v1, vcc
	s_cmp_gt_i32 s6, 0
	s_cselect_b64 s[18:19], -1, 0
	s_cmpk_eq_i32 s28, 0x84
	v_add_co_u32_e32 v12, vcc, 16, v10
	s_cselect_b64 s[22:23], -1, 0
	s_ashr_i32 s41, s29, 31
	s_ashr_i32 s50, s30, 31
	v_addc_co_u32_e32 v13, vcc, 0, v11, vcc
	s_add_u32 s42, s29, -16
	v_sub_co_u32_e32 v16, vcc, v10, v8
	s_mul_i32 s9, s39, s8
	s_mul_hi_u32 s28, s38, s8
	s_addc_u32 s43, s41, -1
	v_subb_co_u32_e32 v17, vcc, v11, v9, vcc
	s_add_i32 s9, s28, s9
	s_mul_i32 s8, s38, s8
	v_add_co_u32_e32 v18, vcc, 16, v16
	s_lshl_b64 s[8:9], s[8:9], 3
	s_lshl_b64 s[26:27], s[26:27], 3
	v_addc_co_u32_e32 v19, vcc, 0, v17, vcc
	s_add_u32 s8, s8, s26
	v_add_co_u32_e32 v20, vcc, -16, v16
	s_addc_u32 s9, s9, s27
	v_addc_co_u32_e32 v21, vcc, -1, v17, vcc
	v_lshlrev_b64 v[22:23], 3, v[10:11]
	s_add_u32 s8, s24, s8
	s_movk_i32 s24, 0x80
	v_add_co_u32_e32 v4, vcc, s24, v22
	v_lshlrev_b32_e32 v45, 3, v2
	s_addc_u32 s9, s25, s9
	v_addc_co_u32_e32 v2, vcc, 0, v23, vcc
	s_lshl_b64 s[24:25], s[36:37], 3
	s_lshl_b32 s51, s33, 5
	v_lshlrev_b32_e32 v3, 8, v42
	v_add_co_u32_e32 v24, vcc, s8, v4
	s_add_u32 s8, s12, s10
	v_add_u32_e32 v46, v45, v3
	v_add_u32_e32 v47, 0x2000, v3
	v_mov_b32_e32 v3, s9
	s_addc_u32 s9, s13, s11
	v_addc_co_u32_e32 v25, vcc, v2, v3, vcc
	v_mul_lo_u32 v5, s20, v2
	v_pk_mov_b32 v[2:3], s[8:9], s[8:9] op_sel:[0,1]
	v_mul_lo_u32 v6, s21, v4
	v_mad_u64_u32 v[2:3], s[8:9], s20, v4, v[2:3]
	v_add3_u32 v3, v6, v3, v5
	v_add_co_u32_e32 v0, vcc, v2, v0
	v_addc_co_u32_e32 v1, vcc, v3, v1, vcc
	s_mov_b32 s40, s29
	v_add_u32_e32 v14, 16, v10
	v_mov_b32_e32 v2, s17
	v_add_co_u32_e32 v49, vcc, s16, v0
	v_cmp_le_i32_e64 s[0:1], s29, v10
	v_cmp_le_i64_e64 s[2:3], s[40:41], v[12:13]
	v_add_u32_e32 v48, v47, v45
	v_cmp_gt_i32_e64 s[4:5], s29, v10
	v_cmp_gt_i32_e64 s[14:15], s29, v14
	v_ashrrev_i32_e32 v15, 31, v14
	v_lshl_add_u32 v26, s7, 5, v42
	v_addc_co_u32_e32 v50, vcc, v2, v1, vcc
	v_mov_b32_e32 v28, 0
	v_mov_b32_e32 v29, 0x3ff00000
	s_branch .LBB44_4
.LBB44_3:                               ;   in Loop: Header=BB44_4 Depth=1
	s_or_b64 exec, exec, s[8:9]
	s_add_i32 s7, s33, s7
	s_cmp_le_i32 s7, s31
	v_add_u32_e32 v26, s51, v26
	s_cbranch_scc0 .LBB44_63
.LBB44_4:                               ; =>This Loop Header: Depth=1
                                        ;     Child Loop BB44_7 Depth 2
	v_lshl_add_u32 v51, s7, 5, v42
	v_pk_mov_b32 v[36:37], 0, 0
	v_ashrrev_i32_e32 v52, 31, v51
	s_mov_b64 s[20:21], 0
	s_andn2_b64 vcc, exec, s[18:19]
	v_pk_mov_b32 v[34:35], v[36:37], v[36:37] op_sel:[0,1]
	v_pk_mov_b32 v[32:33], v[36:37], v[36:37] op_sel:[0,1]
	;; [unrolled: 1-line block ×3, first 2 shown]
	s_cbranch_vccnz .LBB44_55
; %bb.5:                                ;   in Loop: Header=BB44_4 Depth=1
	v_ashrrev_i32_e32 v27, 31, v26
	v_mad_u64_u32 v[38:39], s[8:9], s24, v26, v[24:25]
	v_mul_lo_u32 v0, s25, v26
	v_mul_lo_u32 v1, s24, v27
	v_add3_u32 v39, v0, v39, v1
	v_lshlrev_b64 v[0:1], 3, v[26:27]
	v_add_co_u32_e32 v0, vcc, 0x80, v0
	v_addc_co_u32_e32 v1, vcc, 0, v1, vcc
	v_mul_lo_u32 v1, s36, v1
	v_mul_lo_u32 v2, s37, v0
	v_mad_u64_u32 v[40:41], s[8:9], s36, v0, v[24:25]
	v_add3_u32 v41, v2, v41, v1
	v_mov_b32_e32 v1, s50
	v_sub_co_u32_e32 v0, vcc, s30, v51
	v_subb_co_u32_e32 v1, vcc, v1, v52, vcc
	v_pk_mov_b32 v[30:31], 0, 0
	v_cmp_lt_i64_e32 vcc, 0, v[0:1]
	v_cmp_lt_i64_e64 s[8:9], 16, v[0:1]
	s_mov_b64 s[26:27], 0
	v_pk_mov_b32 v[32:33], v[30:31], v[30:31] op_sel:[0,1]
	v_pk_mov_b32 v[34:35], v[30:31], v[30:31] op_sel:[0,1]
	;; [unrolled: 1-line block ×3, first 2 shown]
	s_branch .LBB44_7
.LBB44_6:                               ;   in Loop: Header=BB44_7 Depth=2
	s_or_b64 exec, exec, s[12:13]
	s_waitcnt lgkmcnt(0)
	s_barrier
	ds_read2_b64 v[54:57], v45 offset1:16
	ds_read_b128 v[58:61], v47
	ds_read_b128 v[62:65], v47 offset:16
	ds_read_b128 v[4:7], v47 offset:32
	;; [unrolled: 1-line block ×4, first 2 shown]
	ds_read2_b64 v[70:73], v45 offset0:32 offset1:48
	s_waitcnt lgkmcnt(5)
	v_fmac_f64_e32 v[36:37], v[54:55], v[58:59]
	v_fmac_f64_e32 v[34:35], v[56:57], v[58:59]
	ds_read_b128 v[74:77], v47 offset:4112
	s_waitcnt lgkmcnt(2)
	v_fmac_f64_e32 v[32:33], v[54:55], v[66:67]
	v_fmac_f64_e32 v[30:31], v[56:57], v[66:67]
	ds_read2_b64 v[54:57], v45 offset0:64 offset1:80
	s_waitcnt lgkmcnt(2)
	v_fmac_f64_e32 v[36:37], v[70:71], v[60:61]
	v_fmac_f64_e32 v[34:35], v[72:73], v[60:61]
	ds_read2_b64 v[58:61], v45 offset0:96 offset1:112
	v_fmac_f64_e32 v[32:33], v[70:71], v[68:69]
	v_fmac_f64_e32 v[30:31], v[72:73], v[68:69]
	ds_read_b128 v[66:69], v47 offset:4144
	s_waitcnt lgkmcnt(2)
	v_fmac_f64_e32 v[36:37], v[54:55], v[62:63]
	v_fmac_f64_e32 v[34:35], v[56:57], v[62:63]
	v_fmac_f64_e32 v[32:33], v[54:55], v[74:75]
	v_fmac_f64_e32 v[30:31], v[56:57], v[74:75]
	s_waitcnt lgkmcnt(1)
	v_fmac_f64_e32 v[36:37], v[58:59], v[64:65]
	ds_read2_b64 v[54:57], v45 offset0:128 offset1:144
	v_fmac_f64_e32 v[34:35], v[60:61], v[64:65]
	v_fmac_f64_e32 v[32:33], v[58:59], v[76:77]
	;; [unrolled: 1-line block ×3, first 2 shown]
	ds_read_b128 v[58:61], v47 offset:4128
	ds_read2_b64 v[62:65], v45 offset0:160 offset1:176
	s_waitcnt lgkmcnt(2)
	v_fmac_f64_e32 v[36:37], v[54:55], v[4:5]
	v_fmac_f64_e32 v[34:35], v[56:57], v[4:5]
	v_add_u32_e32 v27, 0x800, v45
	s_waitcnt lgkmcnt(1)
	v_fmac_f64_e32 v[32:33], v[54:55], v[58:59]
	v_fmac_f64_e32 v[30:31], v[56:57], v[58:59]
	ds_read2_b64 v[54:57], v45 offset0:192 offset1:208
	s_waitcnt lgkmcnt(1)
	v_fmac_f64_e32 v[36:37], v[62:63], v[6:7]
	v_fmac_f64_e32 v[34:35], v[64:65], v[6:7]
	ds_read2_b64 v[4:7], v45 offset0:224 offset1:240
	v_fmac_f64_e32 v[32:33], v[62:63], v[60:61]
	v_fmac_f64_e32 v[30:31], v[64:65], v[60:61]
	s_waitcnt lgkmcnt(1)
	v_fmac_f64_e32 v[36:37], v[54:55], v[0:1]
	v_fmac_f64_e32 v[34:35], v[56:57], v[0:1]
	;; [unrolled: 1-line block ×4, first 2 shown]
	s_waitcnt lgkmcnt(0)
	v_fmac_f64_e32 v[36:37], v[4:5], v[2:3]
	v_fmac_f64_e32 v[34:35], v[6:7], v[2:3]
	ds_read2_b64 v[0:3], v27 offset1:16
	ds_read_b128 v[54:57], v47 offset:64
	v_fmac_f64_e32 v[32:33], v[4:5], v[68:69]
	v_fmac_f64_e32 v[30:31], v[6:7], v[68:69]
	ds_read_b128 v[4:7], v47 offset:80
	ds_read_b128 v[58:61], v47 offset:4160
	ds_read2_b64 v[62:65], v27 offset0:32 offset1:48
	s_waitcnt lgkmcnt(3)
	v_fmac_f64_e32 v[36:37], v[0:1], v[54:55]
	v_fmac_f64_e32 v[34:35], v[2:3], v[54:55]
	ds_read_b128 v[66:69], v47 offset:4176
	s_waitcnt lgkmcnt(2)
	v_fmac_f64_e32 v[32:33], v[0:1], v[58:59]
	v_fmac_f64_e32 v[30:31], v[2:3], v[58:59]
	ds_read2_b64 v[0:3], v27 offset0:64 offset1:80
	s_waitcnt lgkmcnt(2)
	v_fmac_f64_e32 v[36:37], v[62:63], v[56:57]
	v_fmac_f64_e32 v[34:35], v[64:65], v[56:57]
	ds_read2_b64 v[54:57], v27 offset0:96 offset1:112
	v_fmac_f64_e32 v[32:33], v[62:63], v[60:61]
	v_fmac_f64_e32 v[30:31], v[64:65], v[60:61]
	s_waitcnt lgkmcnt(1)
	v_fmac_f64_e32 v[36:37], v[0:1], v[4:5]
	v_fmac_f64_e32 v[34:35], v[2:3], v[4:5]
	;; [unrolled: 1-line block ×4, first 2 shown]
	s_waitcnt lgkmcnt(0)
	v_fmac_f64_e32 v[36:37], v[54:55], v[6:7]
	v_fmac_f64_e32 v[34:35], v[56:57], v[6:7]
	ds_read2_b64 v[0:3], v27 offset0:128 offset1:144
	ds_read_b128 v[4:7], v47 offset:96
	v_fmac_f64_e32 v[32:33], v[54:55], v[68:69]
	v_fmac_f64_e32 v[30:31], v[56:57], v[68:69]
	ds_read_b128 v[54:57], v47 offset:112
	ds_read_b128 v[58:61], v47 offset:4192
	ds_read2_b64 v[62:65], v27 offset0:160 offset1:176
	s_waitcnt lgkmcnt(3)
	v_fmac_f64_e32 v[36:37], v[0:1], v[4:5]
	v_fmac_f64_e32 v[34:35], v[2:3], v[4:5]
	ds_read_b128 v[66:69], v47 offset:4208
	s_waitcnt lgkmcnt(2)
	v_fmac_f64_e32 v[32:33], v[0:1], v[58:59]
	v_fmac_f64_e32 v[30:31], v[2:3], v[58:59]
	ds_read2_b64 v[0:3], v27 offset0:192 offset1:208
	s_waitcnt lgkmcnt(2)
	v_fmac_f64_e32 v[36:37], v[62:63], v[6:7]
	v_fmac_f64_e32 v[34:35], v[64:65], v[6:7]
	ds_read2_b64 v[4:7], v27 offset0:224 offset1:240
	v_fmac_f64_e32 v[32:33], v[62:63], v[60:61]
	v_fmac_f64_e32 v[30:31], v[64:65], v[60:61]
	s_waitcnt lgkmcnt(1)
	v_fmac_f64_e32 v[36:37], v[0:1], v[54:55]
	v_fmac_f64_e32 v[34:35], v[2:3], v[54:55]
	;; [unrolled: 1-line block ×4, first 2 shown]
	v_add_u32_e32 v27, 0x1000, v45
	s_waitcnt lgkmcnt(0)
	v_fmac_f64_e32 v[36:37], v[4:5], v[56:57]
	v_fmac_f64_e32 v[34:35], v[6:7], v[56:57]
	ds_read2_b64 v[0:3], v27 offset1:16
	ds_read_b128 v[54:57], v47 offset:128
	v_fmac_f64_e32 v[32:33], v[4:5], v[68:69]
	v_fmac_f64_e32 v[30:31], v[6:7], v[68:69]
	ds_read_b128 v[4:7], v47 offset:144
	ds_read_b128 v[58:61], v47 offset:4224
	ds_read2_b64 v[62:65], v27 offset0:32 offset1:48
	s_waitcnt lgkmcnt(3)
	v_fmac_f64_e32 v[36:37], v[0:1], v[54:55]
	v_fmac_f64_e32 v[34:35], v[2:3], v[54:55]
	ds_read_b128 v[66:69], v47 offset:4240
	s_waitcnt lgkmcnt(2)
	v_fmac_f64_e32 v[32:33], v[0:1], v[58:59]
	v_fmac_f64_e32 v[30:31], v[2:3], v[58:59]
	ds_read2_b64 v[0:3], v27 offset0:64 offset1:80
	s_waitcnt lgkmcnt(2)
	v_fmac_f64_e32 v[36:37], v[62:63], v[56:57]
	v_fmac_f64_e32 v[34:35], v[64:65], v[56:57]
	ds_read2_b64 v[54:57], v27 offset0:96 offset1:112
	v_fmac_f64_e32 v[32:33], v[62:63], v[60:61]
	v_fmac_f64_e32 v[30:31], v[64:65], v[60:61]
	s_waitcnt lgkmcnt(1)
	v_fmac_f64_e32 v[36:37], v[0:1], v[4:5]
	v_fmac_f64_e32 v[34:35], v[2:3], v[4:5]
	;; [unrolled: 1-line block ×4, first 2 shown]
	s_waitcnt lgkmcnt(0)
	v_fmac_f64_e32 v[36:37], v[54:55], v[6:7]
	v_fmac_f64_e32 v[34:35], v[56:57], v[6:7]
	ds_read2_b64 v[0:3], v27 offset0:128 offset1:144
	ds_read_b128 v[4:7], v47 offset:160
	v_fmac_f64_e32 v[32:33], v[54:55], v[68:69]
	v_fmac_f64_e32 v[30:31], v[56:57], v[68:69]
	ds_read_b128 v[54:57], v47 offset:176
	ds_read_b128 v[58:61], v47 offset:4256
	ds_read2_b64 v[62:65], v27 offset0:160 offset1:176
	s_waitcnt lgkmcnt(3)
	v_fmac_f64_e32 v[36:37], v[0:1], v[4:5]
	v_fmac_f64_e32 v[34:35], v[2:3], v[4:5]
	ds_read_b128 v[66:69], v47 offset:4272
	s_waitcnt lgkmcnt(2)
	v_fmac_f64_e32 v[32:33], v[0:1], v[58:59]
	v_fmac_f64_e32 v[30:31], v[2:3], v[58:59]
	ds_read2_b64 v[0:3], v27 offset0:192 offset1:208
	s_waitcnt lgkmcnt(2)
	v_fmac_f64_e32 v[36:37], v[62:63], v[6:7]
	v_fmac_f64_e32 v[34:35], v[64:65], v[6:7]
	ds_read2_b64 v[4:7], v27 offset0:224 offset1:240
	v_fmac_f64_e32 v[32:33], v[62:63], v[60:61]
	v_fmac_f64_e32 v[30:31], v[64:65], v[60:61]
	s_waitcnt lgkmcnt(1)
	v_fmac_f64_e32 v[36:37], v[0:1], v[54:55]
	v_fmac_f64_e32 v[34:35], v[2:3], v[54:55]
	v_fmac_f64_e32 v[32:33], v[0:1], v[66:67]
	v_fmac_f64_e32 v[30:31], v[2:3], v[66:67]
	v_add_u32_e32 v27, 0x1800, v45
	s_waitcnt lgkmcnt(0)
	v_fmac_f64_e32 v[36:37], v[4:5], v[56:57]
	v_fmac_f64_e32 v[34:35], v[6:7], v[56:57]
	ds_read2_b64 v[0:3], v27 offset1:16
	ds_read_b128 v[54:57], v47 offset:192
	v_fmac_f64_e32 v[32:33], v[4:5], v[68:69]
	v_fmac_f64_e32 v[30:31], v[6:7], v[68:69]
	ds_read_b128 v[4:7], v47 offset:208
	ds_read_b128 v[58:61], v47 offset:4288
	ds_read2_b64 v[62:65], v27 offset0:32 offset1:48
	s_waitcnt lgkmcnt(3)
	v_fmac_f64_e32 v[36:37], v[0:1], v[54:55]
	v_fmac_f64_e32 v[34:35], v[2:3], v[54:55]
	ds_read_b128 v[66:69], v47 offset:4304
	s_waitcnt lgkmcnt(2)
	v_fmac_f64_e32 v[32:33], v[0:1], v[58:59]
	v_fmac_f64_e32 v[30:31], v[2:3], v[58:59]
	ds_read2_b64 v[0:3], v27 offset0:64 offset1:80
	s_waitcnt lgkmcnt(2)
	v_fmac_f64_e32 v[36:37], v[62:63], v[56:57]
	v_fmac_f64_e32 v[34:35], v[64:65], v[56:57]
	ds_read2_b64 v[54:57], v27 offset0:96 offset1:112
	v_fmac_f64_e32 v[32:33], v[62:63], v[60:61]
	v_fmac_f64_e32 v[30:31], v[64:65], v[60:61]
	s_waitcnt lgkmcnt(1)
	v_fmac_f64_e32 v[36:37], v[0:1], v[4:5]
	v_fmac_f64_e32 v[34:35], v[2:3], v[4:5]
	;; [unrolled: 1-line block ×4, first 2 shown]
	s_waitcnt lgkmcnt(0)
	v_fmac_f64_e32 v[36:37], v[54:55], v[6:7]
	v_fmac_f64_e32 v[34:35], v[56:57], v[6:7]
	ds_read2_b64 v[0:3], v27 offset0:128 offset1:144
	ds_read_b128 v[4:7], v47 offset:224
	v_fmac_f64_e32 v[32:33], v[54:55], v[68:69]
	v_fmac_f64_e32 v[30:31], v[56:57], v[68:69]
	ds_read_b128 v[54:57], v47 offset:240
	ds_read_b128 v[58:61], v47 offset:4320
	ds_read2_b64 v[62:65], v27 offset0:160 offset1:176
	s_waitcnt lgkmcnt(3)
	v_fmac_f64_e32 v[36:37], v[0:1], v[4:5]
	v_fmac_f64_e32 v[34:35], v[2:3], v[4:5]
	ds_read_b128 v[66:69], v47 offset:4336
	s_waitcnt lgkmcnt(2)
	v_fmac_f64_e32 v[32:33], v[0:1], v[58:59]
	v_fmac_f64_e32 v[30:31], v[2:3], v[58:59]
	ds_read2_b64 v[0:3], v27 offset0:192 offset1:208
	s_waitcnt lgkmcnt(2)
	v_fmac_f64_e32 v[36:37], v[62:63], v[6:7]
	v_fmac_f64_e32 v[34:35], v[64:65], v[6:7]
	ds_read2_b64 v[4:7], v27 offset0:224 offset1:240
	s_add_u32 s26, s26, 32
	s_addc_u32 s27, s27, 0
	v_fmac_f64_e32 v[32:33], v[62:63], v[60:61]
	v_fmac_f64_e32 v[30:31], v[64:65], v[60:61]
	s_add_u32 s20, s20, 0x100
	s_waitcnt lgkmcnt(1)
	v_fmac_f64_e32 v[36:37], v[0:1], v[54:55]
	v_fmac_f64_e32 v[34:35], v[2:3], v[54:55]
	;; [unrolled: 1-line block ×4, first 2 shown]
	s_addc_u32 s21, s21, 0
	s_waitcnt lgkmcnt(0)
	v_fmac_f64_e32 v[36:37], v[4:5], v[56:57]
	v_fmac_f64_e32 v[34:35], v[6:7], v[56:57]
	;; [unrolled: 1-line block ×4, first 2 shown]
	s_cmp_ge_i32 s26, s6
	s_barrier
	s_cbranch_scc1 .LBB44_55
.LBB44_7:                               ;   Parent Loop BB44_4 Depth=1
                                        ; =>  This Inner Loop Header: Depth=2
	v_mov_b32_e32 v0, s27
	v_add_co_u32_e64 v2, s[10:11], s26, v8
	v_addc_co_u32_e64 v3, s[10:11], v9, v0, s[10:11]
	v_mov_b32_e32 v1, s21
	v_add_co_u32_e64 v0, s[10:11], s20, v43
	v_addc_co_u32_e64 v1, s[10:11], v44, v1, s[10:11]
	v_cmp_eq_u64_e64 s[10:11], s[26:27], v[16:17]
	v_cmp_le_i64_e64 s[12:13], s[40:41], v[2:3]
	s_and_b64 s[38:39], s[22:23], s[10:11]
	v_cmp_lt_i64_e64 s[10:11], v[2:3], v[10:11]
	s_or_b64 s[16:17], s[12:13], s[10:11]
	s_or_b64 s[16:17], s[16:17], s[38:39]
	;; [unrolled: 1-line block ×3, first 2 shown]
	s_xor_b64 s[16:17], s[16:17], -1
	s_and_saveexec_b64 s[28:29], s[16:17]
	s_xor_b64 s[16:17], exec, s[28:29]
	s_cbranch_execz .LBB44_9
; %bb.8:                                ;   in Loop: Header=BB44_7 Depth=2
	global_load_dwordx2 v[4:5], v[0:1], off
	s_waitcnt vmcnt(0)
	ds_write_b64 v46, v[4:5]
.LBB44_9:                               ;   in Loop: Header=BB44_7 Depth=2
	s_or_saveexec_b64 s[16:17], s[16:17]
	s_xor_b64 s[28:29], s[38:39], -1
	s_xor_b64 exec, exec, s[16:17]
	s_cbranch_execz .LBB44_15
; %bb.10:                               ;   in Loop: Header=BB44_7 Depth=2
	s_and_saveexec_b64 s[46:47], s[28:29]
	s_xor_b64 s[46:47], exec, s[46:47]
	s_cbranch_execz .LBB44_12
; %bb.11:                               ;   in Loop: Header=BB44_7 Depth=2
	v_mov_b32_e32 v4, v28
	v_mov_b32_e32 v5, v28
	ds_write_b64 v46, v[4:5]
.LBB44_12:                              ;   in Loop: Header=BB44_7 Depth=2
	s_andn2_saveexec_b64 s[46:47], s[46:47]
	s_cbranch_execz .LBB44_14
; %bb.13:                               ;   in Loop: Header=BB44_7 Depth=2
	ds_write_b64 v46, v[28:29]
.LBB44_14:                              ;   in Loop: Header=BB44_7 Depth=2
	s_or_b64 exec, exec, s[46:47]
.LBB44_15:                              ;   in Loop: Header=BB44_7 Depth=2
	s_or_b64 exec, exec, s[16:17]
	v_cmp_eq_u64_e64 s[16:17], s[26:27], v[18:19]
	s_and_b64 s[46:47], s[22:23], s[16:17]
	v_cmp_gt_i64_e64 s[16:17], v[12:13], v[2:3]
	s_or_b64 s[12:13], s[12:13], s[16:17]
	s_or_b64 s[12:13], s[12:13], s[46:47]
	;; [unrolled: 1-line block ×3, first 2 shown]
	s_xor_b64 s[12:13], s[12:13], -1
	s_and_saveexec_b64 s[16:17], s[12:13]
	s_xor_b64 s[16:17], exec, s[16:17]
	s_cbranch_execz .LBB44_17
; %bb.16:                               ;   in Loop: Header=BB44_7 Depth=2
	v_mov_b32_e32 v5, s21
	v_add_co_u32_e64 v4, s[12:13], s20, v49
	v_addc_co_u32_e64 v5, s[12:13], v50, v5, s[12:13]
	global_load_dwordx2 v[4:5], v[4:5], off
	s_waitcnt vmcnt(0)
	ds_write_b64 v46, v[4:5] offset:128
.LBB44_17:                              ;   in Loop: Header=BB44_7 Depth=2
	s_andn2_saveexec_b64 s[12:13], s[16:17]
	s_cbranch_execz .LBB44_23
; %bb.18:                               ;   in Loop: Header=BB44_7 Depth=2
	s_xor_b64 s[16:17], s[46:47], -1
	s_and_saveexec_b64 s[46:47], s[16:17]
	s_xor_b64 s[16:17], exec, s[46:47]
	s_cbranch_execz .LBB44_20
; %bb.19:                               ;   in Loop: Header=BB44_7 Depth=2
	v_mov_b32_e32 v4, v28
	v_mov_b32_e32 v5, v28
	ds_write_b64 v46, v[4:5] offset:128
.LBB44_20:                              ;   in Loop: Header=BB44_7 Depth=2
	s_andn2_saveexec_b64 s[16:17], s[16:17]
	s_cbranch_execz .LBB44_22
; %bb.21:                               ;   in Loop: Header=BB44_7 Depth=2
	ds_write_b64 v46, v[28:29] offset:128
.LBB44_22:                              ;   in Loop: Header=BB44_7 Depth=2
	s_or_b64 exec, exec, s[16:17]
.LBB44_23:                              ;   in Loop: Header=BB44_7 Depth=2
	s_or_b64 exec, exec, s[12:13]
	v_add_co_u32_e64 v2, s[12:13], 16, v2
	v_addc_co_u32_e64 v3, s[12:13], 0, v3, s[12:13]
	v_cmp_eq_u64_e64 s[16:17], s[26:27], v[20:21]
	v_cmp_le_i64_e64 s[12:13], s[40:41], v[2:3]
	s_and_b64 s[46:47], s[22:23], s[16:17]
	v_cmp_lt_i64_e64 s[16:17], v[2:3], v[10:11]
	s_or_b64 s[16:17], s[12:13], s[16:17]
	s_or_b64 s[16:17], s[16:17], s[46:47]
	;; [unrolled: 1-line block ×3, first 2 shown]
	s_xor_b64 s[16:17], s[16:17], -1
	s_and_saveexec_b64 s[52:53], s[16:17]
	s_xor_b64 s[16:17], exec, s[52:53]
	s_cbranch_execz .LBB44_25
; %bb.24:                               ;   in Loop: Header=BB44_7 Depth=2
	global_load_dwordx2 v[0:1], v[0:1], off offset:128
	s_waitcnt vmcnt(0)
	ds_write_b64 v46, v[0:1] offset:4096
.LBB44_25:                              ;   in Loop: Header=BB44_7 Depth=2
	s_andn2_saveexec_b64 s[16:17], s[16:17]
	s_cbranch_execz .LBB44_31
; %bb.26:                               ;   in Loop: Header=BB44_7 Depth=2
	s_xor_b64 s[46:47], s[46:47], -1
	s_and_saveexec_b64 s[52:53], s[46:47]
	s_xor_b64 s[46:47], exec, s[52:53]
	s_cbranch_execz .LBB44_28
; %bb.27:                               ;   in Loop: Header=BB44_7 Depth=2
	v_mov_b32_e32 v0, v28
	v_mov_b32_e32 v1, v28
	ds_write_b64 v46, v[0:1] offset:4096
.LBB44_28:                              ;   in Loop: Header=BB44_7 Depth=2
	s_andn2_saveexec_b64 s[46:47], s[46:47]
	s_cbranch_execz .LBB44_30
; %bb.29:                               ;   in Loop: Header=BB44_7 Depth=2
	ds_write_b64 v46, v[28:29] offset:4096
.LBB44_30:                              ;   in Loop: Header=BB44_7 Depth=2
	s_or_b64 exec, exec, s[46:47]
.LBB44_31:                              ;   in Loop: Header=BB44_7 Depth=2
	s_or_b64 exec, exec, s[16:17]
	s_or_b64 s[10:11], s[12:13], s[10:11]
	s_or_b64 s[10:11], s[10:11], s[38:39]
	;; [unrolled: 1-line block ×3, first 2 shown]
	s_xor_b64 s[10:11], s[10:11], -1
	s_and_saveexec_b64 s[12:13], s[10:11]
	s_xor_b64 s[12:13], exec, s[12:13]
	s_cbranch_execz .LBB44_33
; %bb.32:                               ;   in Loop: Header=BB44_7 Depth=2
	v_mov_b32_e32 v1, s21
	v_add_co_u32_e64 v0, s[10:11], s20, v49
	v_addc_co_u32_e64 v1, s[10:11], v50, v1, s[10:11]
	global_load_dwordx2 v[0:1], v[0:1], off offset:128
	s_waitcnt vmcnt(0)
	ds_write_b64 v46, v[0:1] offset:4224
.LBB44_33:                              ;   in Loop: Header=BB44_7 Depth=2
	s_andn2_saveexec_b64 s[10:11], s[12:13]
	s_cbranch_execz .LBB44_39
; %bb.34:                               ;   in Loop: Header=BB44_7 Depth=2
	s_and_saveexec_b64 s[12:13], s[28:29]
	s_xor_b64 s[12:13], exec, s[12:13]
	s_cbranch_execz .LBB44_36
; %bb.35:                               ;   in Loop: Header=BB44_7 Depth=2
	v_mov_b32_e32 v0, v28
	v_mov_b32_e32 v1, v28
	ds_write_b64 v46, v[0:1] offset:4224
.LBB44_36:                              ;   in Loop: Header=BB44_7 Depth=2
	s_andn2_saveexec_b64 s[12:13], s[12:13]
	s_cbranch_execz .LBB44_38
; %bb.37:                               ;   in Loop: Header=BB44_7 Depth=2
	ds_write_b64 v46, v[28:29] offset:4224
.LBB44_38:                              ;   in Loop: Header=BB44_7 Depth=2
	s_or_b64 exec, exec, s[12:13]
.LBB44_39:                              ;   in Loop: Header=BB44_7 Depth=2
	s_or_b64 exec, exec, s[10:11]
	v_mov_b32_e32 v1, s27
	v_add_co_u32_e64 v0, s[10:11], s26, v10
	v_addc_co_u32_e64 v1, s[10:11], v11, v1, s[10:11]
	v_cmp_gt_i64_e64 s[10:11], s[40:41], v[0:1]
	s_and_b64 s[12:13], vcc, s[10:11]
	s_xor_b64 s[12:13], s[12:13], -1
	s_and_saveexec_b64 s[16:17], s[12:13]
	s_xor_b64 s[12:13], exec, s[16:17]
	s_cbranch_execz .LBB44_41
; %bb.40:                               ;   in Loop: Header=BB44_7 Depth=2
	v_mov_b32_e32 v2, v28
	v_mov_b32_e32 v3, v28
	ds_write_b64 v48, v[2:3]
.LBB44_41:                              ;   in Loop: Header=BB44_7 Depth=2
	s_or_saveexec_b64 s[16:17], s[12:13]
	v_mov_b32_e32 v3, s21
	v_add_co_u32_e64 v2, s[12:13], s20, v38
	v_addc_co_u32_e64 v3, s[12:13], v39, v3, s[12:13]
	s_xor_b64 exec, exec, s[16:17]
	s_cbranch_execz .LBB44_43
; %bb.42:                               ;   in Loop: Header=BB44_7 Depth=2
	global_load_dwordx2 v[4:5], v[2:3], off offset:-128
	s_waitcnt vmcnt(0)
	ds_write_b64 v48, v[4:5]
.LBB44_43:                              ;   in Loop: Header=BB44_7 Depth=2
	s_or_b64 exec, exec, s[16:17]
	v_cmp_gt_i64_e64 s[12:13], s[42:43], v[0:1]
	s_and_b64 s[16:17], vcc, s[12:13]
	s_xor_b64 s[16:17], s[16:17], -1
	s_and_saveexec_b64 s[28:29], s[16:17]
	s_xor_b64 s[16:17], exec, s[28:29]
	s_cbranch_execz .LBB44_45
; %bb.44:                               ;   in Loop: Header=BB44_7 Depth=2
	v_mov_b32_e32 v0, v28
	v_mov_b32_e32 v1, v28
	ds_write_b64 v48, v[0:1] offset:128
                                        ; implicit-def: $vgpr2_vgpr3
.LBB44_45:                              ;   in Loop: Header=BB44_7 Depth=2
	s_andn2_saveexec_b64 s[16:17], s[16:17]
	s_cbranch_execz .LBB44_47
; %bb.46:                               ;   in Loop: Header=BB44_7 Depth=2
	global_load_dwordx2 v[0:1], v[2:3], off
	s_waitcnt vmcnt(0)
	ds_write_b64 v48, v[0:1] offset:128
.LBB44_47:                              ;   in Loop: Header=BB44_7 Depth=2
	s_or_b64 exec, exec, s[16:17]
	s_and_b64 s[10:11], s[8:9], s[10:11]
	s_xor_b64 s[10:11], s[10:11], -1
	s_and_saveexec_b64 s[16:17], s[10:11]
	s_xor_b64 s[10:11], exec, s[16:17]
	s_cbranch_execz .LBB44_49
; %bb.48:                               ;   in Loop: Header=BB44_7 Depth=2
	v_mov_b32_e32 v0, v28
	v_mov_b32_e32 v1, v28
	ds_write_b64 v48, v[0:1] offset:4096
.LBB44_49:                              ;   in Loop: Header=BB44_7 Depth=2
	s_andn2_saveexec_b64 s[16:17], s[10:11]
	s_cbranch_execz .LBB44_51
; %bb.50:                               ;   in Loop: Header=BB44_7 Depth=2
	v_mov_b32_e32 v1, s21
	v_add_co_u32_e64 v0, s[10:11], s20, v40
	v_addc_co_u32_e64 v1, s[10:11], v41, v1, s[10:11]
	global_load_dwordx2 v[0:1], v[0:1], off offset:-128
	s_waitcnt vmcnt(0)
	ds_write_b64 v48, v[0:1] offset:4096
.LBB44_51:                              ;   in Loop: Header=BB44_7 Depth=2
	s_or_b64 exec, exec, s[16:17]
	s_and_b64 s[10:11], s[8:9], s[12:13]
	s_xor_b64 s[10:11], s[10:11], -1
	s_and_saveexec_b64 s[12:13], s[10:11]
	s_xor_b64 s[10:11], exec, s[12:13]
	s_cbranch_execz .LBB44_53
; %bb.52:                               ;   in Loop: Header=BB44_7 Depth=2
	v_mov_b32_e32 v0, v28
	v_mov_b32_e32 v1, v28
	ds_write_b64 v48, v[0:1] offset:4224
.LBB44_53:                              ;   in Loop: Header=BB44_7 Depth=2
	s_andn2_saveexec_b64 s[12:13], s[10:11]
	s_cbranch_execz .LBB44_6
; %bb.54:                               ;   in Loop: Header=BB44_7 Depth=2
	v_mov_b32_e32 v1, s21
	v_add_co_u32_e64 v0, s[10:11], s20, v40
	v_addc_co_u32_e64 v1, s[10:11], v41, v1, s[10:11]
	global_load_dwordx2 v[0:1], v[0:1], off
	s_waitcnt vmcnt(0)
	ds_write_b64 v48, v[0:1] offset:4224
	s_branch .LBB44_6
.LBB44_55:                              ;   in Loop: Header=BB44_4 Depth=1
	v_mul_lo_u32 v2, v52, s44
	v_mul_lo_u32 v3, v51, s45
	v_mad_u64_u32 v[0:1], s[8:9], v51, s44, 0
	v_add3_u32 v1, v1, v3, v2
	v_lshlrev_b64 v[0:1], 3, v[0:1]
	v_mov_b32_e32 v2, s49
	v_add_co_u32_e64 v0, s[8:9], s48, v0
	v_cmp_gt_i32_e32 vcc, s30, v51
	v_addc_co_u32_e64 v1, s[8:9], v2, v1, s[8:9]
	s_and_b64 s[8:9], s[4:5], vcc
	s_and_saveexec_b64 s[10:11], s[8:9]
	s_cbranch_execz .LBB44_57
; %bb.56:                               ;   in Loop: Header=BB44_4 Depth=1
	v_add_co_u32_e64 v2, s[8:9], v0, v22
	v_addc_co_u32_e64 v3, s[8:9], v1, v23, s[8:9]
	global_load_dwordx2 v[4:5], v[2:3], off
	s_waitcnt vmcnt(0)
	v_fmac_f64_e32 v[4:5], s[34:35], v[36:37]
	global_store_dwordx2 v[2:3], v[4:5], off
.LBB44_57:                              ;   in Loop: Header=BB44_4 Depth=1
	s_or_b64 exec, exec, s[10:11]
	s_and_b64 s[10:11], s[14:15], vcc
	s_and_saveexec_b64 s[8:9], s[10:11]
	s_cbranch_execz .LBB44_59
; %bb.58:                               ;   in Loop: Header=BB44_4 Depth=1
	v_lshlrev_b64 v[2:3], 3, v[14:15]
	v_add_co_u32_e32 v0, vcc, v0, v2
	v_addc_co_u32_e32 v1, vcc, v1, v3, vcc
	global_load_dwordx2 v[2:3], v[0:1], off
	s_waitcnt vmcnt(0)
	v_fmac_f64_e32 v[2:3], s[34:35], v[34:35]
	global_store_dwordx2 v[0:1], v[2:3], off
.LBB44_59:                              ;   in Loop: Header=BB44_4 Depth=1
	s_or_b64 exec, exec, s[8:9]
	v_add_u32_e32 v0, 16, v51
	v_ashrrev_i32_e32 v1, 31, v0
	v_cmp_gt_i32_e32 vcc, s30, v0
	v_mul_lo_u32 v2, v1, s44
	v_mul_lo_u32 v3, v0, s45
	v_mad_u64_u32 v[0:1], s[8:9], v0, s44, 0
	v_add3_u32 v1, v1, v3, v2
	v_lshlrev_b64 v[0:1], 3, v[0:1]
	v_mov_b32_e32 v2, s49
	v_add_co_u32_e64 v0, s[8:9], s48, v0
	v_addc_co_u32_e64 v1, s[8:9], v2, v1, s[8:9]
	s_and_b64 s[8:9], s[4:5], vcc
	s_and_saveexec_b64 s[10:11], s[8:9]
	s_cbranch_execz .LBB44_61
; %bb.60:                               ;   in Loop: Header=BB44_4 Depth=1
	v_add_co_u32_e64 v2, s[8:9], v0, v22
	v_addc_co_u32_e64 v3, s[8:9], v1, v23, s[8:9]
	global_load_dwordx2 v[4:5], v[2:3], off
	s_waitcnt vmcnt(0)
	v_fmac_f64_e32 v[4:5], s[34:35], v[32:33]
	global_store_dwordx2 v[2:3], v[4:5], off
.LBB44_61:                              ;   in Loop: Header=BB44_4 Depth=1
	s_or_b64 exec, exec, s[10:11]
	s_and_b64 s[10:11], s[14:15], vcc
	s_and_saveexec_b64 s[8:9], s[10:11]
	s_cbranch_execz .LBB44_3
; %bb.62:                               ;   in Loop: Header=BB44_4 Depth=1
	v_lshlrev_b64 v[2:3], 3, v[14:15]
	v_add_co_u32_e32 v0, vcc, v0, v2
	v_addc_co_u32_e32 v1, vcc, v1, v3, vcc
	global_load_dwordx2 v[2:3], v[0:1], off
	s_waitcnt vmcnt(0)
	v_fmac_f64_e32 v[2:3], s[34:35], v[30:31]
	global_store_dwordx2 v[0:1], v[2:3], off
	s_branch .LBB44_3
.LBB44_63:
	s_endpgm
	.section	.rodata,"a",@progbits
	.p2align	6, 0x0
	.amdhsa_kernel _ZL30rocblas_trmm_outofplace_kernelIdLi32ELi2ELb1ELb0ELb1ELb1EPKdS0_dEv17rocblas_diagonal_iiT6_lPT7_lllS5_lllPT8_llli
		.amdhsa_group_segment_fixed_size 16384
		.amdhsa_private_segment_fixed_size 0
		.amdhsa_kernarg_size 392
		.amdhsa_user_sgpr_count 6
		.amdhsa_user_sgpr_private_segment_buffer 1
		.amdhsa_user_sgpr_dispatch_ptr 0
		.amdhsa_user_sgpr_queue_ptr 0
		.amdhsa_user_sgpr_kernarg_segment_ptr 1
		.amdhsa_user_sgpr_dispatch_id 0
		.amdhsa_user_sgpr_flat_scratch_init 0
		.amdhsa_user_sgpr_kernarg_preload_length 0
		.amdhsa_user_sgpr_kernarg_preload_offset 0
		.amdhsa_user_sgpr_private_segment_size 0
		.amdhsa_uses_dynamic_stack 0
		.amdhsa_system_sgpr_private_segment_wavefront_offset 0
		.amdhsa_system_sgpr_workgroup_id_x 1
		.amdhsa_system_sgpr_workgroup_id_y 1
		.amdhsa_system_sgpr_workgroup_id_z 1
		.amdhsa_system_sgpr_workgroup_info 0
		.amdhsa_system_vgpr_workitem_id 1
		.amdhsa_next_free_vgpr 78
		.amdhsa_next_free_sgpr 54
		.amdhsa_accum_offset 80
		.amdhsa_reserve_vcc 1
		.amdhsa_reserve_flat_scratch 0
		.amdhsa_float_round_mode_32 0
		.amdhsa_float_round_mode_16_64 0
		.amdhsa_float_denorm_mode_32 3
		.amdhsa_float_denorm_mode_16_64 3
		.amdhsa_dx10_clamp 1
		.amdhsa_ieee_mode 1
		.amdhsa_fp16_overflow 0
		.amdhsa_tg_split 0
		.amdhsa_exception_fp_ieee_invalid_op 0
		.amdhsa_exception_fp_denorm_src 0
		.amdhsa_exception_fp_ieee_div_zero 0
		.amdhsa_exception_fp_ieee_overflow 0
		.amdhsa_exception_fp_ieee_underflow 0
		.amdhsa_exception_fp_ieee_inexact 0
		.amdhsa_exception_int_div_zero 0
	.end_amdhsa_kernel
	.section	.text._ZL30rocblas_trmm_outofplace_kernelIdLi32ELi2ELb1ELb0ELb1ELb1EPKdS0_dEv17rocblas_diagonal_iiT6_lPT7_lllS5_lllPT8_llli,"axG",@progbits,_ZL30rocblas_trmm_outofplace_kernelIdLi32ELi2ELb1ELb0ELb1ELb1EPKdS0_dEv17rocblas_diagonal_iiT6_lPT7_lllS5_lllPT8_llli,comdat
.Lfunc_end44:
	.size	_ZL30rocblas_trmm_outofplace_kernelIdLi32ELi2ELb1ELb0ELb1ELb1EPKdS0_dEv17rocblas_diagonal_iiT6_lPT7_lllS5_lllPT8_llli, .Lfunc_end44-_ZL30rocblas_trmm_outofplace_kernelIdLi32ELi2ELb1ELb0ELb1ELb1EPKdS0_dEv17rocblas_diagonal_iiT6_lPT7_lllS5_lllPT8_llli
                                        ; -- End function
	.section	.AMDGPU.csdata,"",@progbits
; Kernel info:
; codeLenInByte = 3464
; NumSgprs: 58
; NumVgprs: 78
; NumAgprs: 0
; TotalNumVgprs: 78
; ScratchSize: 0
; MemoryBound: 1
; FloatMode: 240
; IeeeMode: 1
; LDSByteSize: 16384 bytes/workgroup (compile time only)
; SGPRBlocks: 7
; VGPRBlocks: 9
; NumSGPRsForWavesPerEU: 58
; NumVGPRsForWavesPerEU: 78
; AccumOffset: 80
; Occupancy: 6
; WaveLimiterHint : 0
; COMPUTE_PGM_RSRC2:SCRATCH_EN: 0
; COMPUTE_PGM_RSRC2:USER_SGPR: 6
; COMPUTE_PGM_RSRC2:TRAP_HANDLER: 0
; COMPUTE_PGM_RSRC2:TGID_X_EN: 1
; COMPUTE_PGM_RSRC2:TGID_Y_EN: 1
; COMPUTE_PGM_RSRC2:TGID_Z_EN: 1
; COMPUTE_PGM_RSRC2:TIDIG_COMP_CNT: 1
; COMPUTE_PGM_RSRC3_GFX90A:ACCUM_OFFSET: 19
; COMPUTE_PGM_RSRC3_GFX90A:TG_SPLIT: 0
	.section	.text._ZL30rocblas_trmm_outofplace_kernelIdLi32ELi2ELb1ELb0ELb1ELb1EdKddEv17rocblas_diagonal_iiT6_lPT7_lllS4_lllPT8_llli,"axG",@progbits,_ZL30rocblas_trmm_outofplace_kernelIdLi32ELi2ELb1ELb0ELb1ELb1EdKddEv17rocblas_diagonal_iiT6_lPT7_lllS4_lllPT8_llli,comdat
	.globl	_ZL30rocblas_trmm_outofplace_kernelIdLi32ELi2ELb1ELb0ELb1ELb1EdKddEv17rocblas_diagonal_iiT6_lPT7_lllS4_lllPT8_llli ; -- Begin function _ZL30rocblas_trmm_outofplace_kernelIdLi32ELi2ELb1ELb0ELb1ELb1EdKddEv17rocblas_diagonal_iiT6_lPT7_lllS4_lllPT8_llli
	.p2align	8
	.type	_ZL30rocblas_trmm_outofplace_kernelIdLi32ELi2ELb1ELb0ELb1ELb1EdKddEv17rocblas_diagonal_iiT6_lPT7_lllS4_lllPT8_llli,@function
_ZL30rocblas_trmm_outofplace_kernelIdLi32ELi2ELb1ELb0ELb1ELb1EdKddEv17rocblas_diagonal_iiT6_lPT7_lllS4_lllPT8_llli: ; @_ZL30rocblas_trmm_outofplace_kernelIdLi32ELi2ELb1ELb0ELb1ELb1EdKddEv17rocblas_diagonal_iiT6_lPT7_lllS4_lllPT8_llli
; %bb.0:
	s_load_dwordx2 s[34:35], s[4:5], 0x10
	s_waitcnt lgkmcnt(0)
	v_cmp_eq_f64_e64 s[0:1], s[34:35], 0
	s_and_b64 vcc, exec, s[0:1]
	s_cbranch_vccnz .LBB45_63
; %bb.1:
	s_load_dwordx4 s[28:31], s[4:5], 0x0
	s_waitcnt lgkmcnt(0)
	s_add_i32 s0, s30, -1
	s_ashr_i32 s1, s0, 31
	s_lshr_b32 s1, s1, 27
	s_add_i32 s0, s0, s1
	s_ashr_i32 s31, s0, 5
	s_cmp_gt_i32 s7, s31
	s_cbranch_scc1 .LBB45_63
; %bb.2:
	s_load_dwordx16 s[12:27], s[4:5], 0x20
	s_load_dwordx8 s[36:43], s[4:5], 0x60
	v_and_b32_e32 v2, 0x3ff, v0
	v_bfe_u32 v42, v0, 10, 10
	s_load_dword s50, s[4:5], 0x8c
	s_waitcnt lgkmcnt(0)
	s_mul_i32 s1, s8, s19
	s_mul_hi_u32 s2, s8, s18
	s_mul_i32 s0, s8, s18
	s_add_i32 s1, s2, s1
	s_lshl_b64 s[10:11], s[0:1], 3
	s_add_u32 s0, s12, s10
	s_addc_u32 s1, s13, s11
	s_lshl_b64 s[44:45], s[14:15], 3
	s_add_u32 s2, s0, s44
	s_addc_u32 s3, s1, s45
	s_mul_i32 s0, s8, s43
	s_mul_hi_u32 s1, s8, s42
	s_add_i32 s1, s1, s0
	s_mul_i32 s0, s8, s42
	s_lshl_b64 s[0:1], s[0:1], 3
	s_add_u32 s9, s36, s0
	s_addc_u32 s14, s37, s1
	s_lshl_b64 s[0:1], s[38:39], 3
	s_add_u32 s33, s9, s0
	s_addc_u32 s48, s14, s1
	s_lshl_b32 s6, s6, 5
	v_add_u32_e32 v10, s6, v2
	v_ashrrev_i32_e32 v11, 31, v10
	v_mul_lo_u32 v3, v11, s16
	v_mul_lo_u32 v4, v10, s17
	v_mad_u64_u32 v[0:1], s[0:1], v10, s16, 0
	v_add3_u32 v1, v1, v4, v3
	v_add_u32_e32 v8, s6, v42
	v_lshlrev_b64 v[0:1], 3, v[0:1]
	v_ashrrev_i32_e32 v9, 31, v8
	v_mov_b32_e32 v3, s3
	v_add_co_u32_e32 v4, vcc, s2, v0
	v_addc_co_u32_e32 v3, vcc, v3, v1, vcc
	v_lshlrev_b64 v[0:1], 3, v[8:9]
	v_add_co_u32_e32 v43, vcc, v4, v0
	s_sub_i32 s6, s29, s6
	v_addc_co_u32_e32 v44, vcc, v3, v1, vcc
	s_cmp_gt_i32 s6, 0
	s_cselect_b64 s[18:19], -1, 0
	s_cmpk_eq_i32 s28, 0x84
	v_add_co_u32_e32 v12, vcc, 16, v10
	s_cselect_b64 s[36:37], -1, 0
	s_ashr_i32 s39, s29, 31
	s_ashr_i32 s49, s30, 31
	v_addc_co_u32_e32 v13, vcc, 0, v11, vcc
	s_add_u32 s42, s29, -16
	v_sub_co_u32_e32 v16, vcc, v10, v8
	s_mul_i32 s9, s27, s8
	s_mul_hi_u32 s27, s26, s8
	s_addc_u32 s43, s39, -1
	v_subb_co_u32_e32 v17, vcc, v11, v9, vcc
	s_add_i32 s9, s27, s9
	s_mul_i32 s8, s26, s8
	v_add_co_u32_e32 v18, vcc, 16, v16
	s_lshl_b64 s[8:9], s[8:9], 3
	s_lshl_b64 s[22:23], s[22:23], 3
	v_addc_co_u32_e32 v19, vcc, 0, v17, vcc
	s_add_u32 s8, s8, s22
	v_add_co_u32_e32 v20, vcc, -16, v16
	s_addc_u32 s9, s9, s23
	v_addc_co_u32_e32 v21, vcc, -1, v17, vcc
	v_lshlrev_b64 v[22:23], 3, v[10:11]
	s_add_u32 s8, s20, s8
	s_movk_i32 s20, 0x80
	v_add_co_u32_e32 v4, vcc, s20, v22
	v_lshlrev_b32_e32 v45, 3, v2
	s_addc_u32 s9, s21, s9
	v_addc_co_u32_e32 v2, vcc, 0, v23, vcc
	s_lshl_b64 s[20:21], s[24:25], 3
	s_lshl_b32 s51, s50, 5
	v_lshlrev_b32_e32 v3, 8, v42
	v_add_co_u32_e32 v24, vcc, s8, v4
	s_add_u32 s8, s44, s10
	v_add_u32_e32 v46, v45, v3
	v_add_u32_e32 v47, 0x2000, v3
	v_mov_b32_e32 v3, s9
	s_addc_u32 s9, s45, s11
	v_addc_co_u32_e32 v25, vcc, v2, v3, vcc
	v_mul_lo_u32 v5, s16, v2
	v_pk_mov_b32 v[2:3], s[8:9], s[8:9] op_sel:[0,1]
	v_mul_lo_u32 v6, s17, v4
	v_mad_u64_u32 v[2:3], s[8:9], s16, v4, v[2:3]
	v_add3_u32 v3, v6, v3, v5
	v_add_co_u32_e32 v0, vcc, v2, v0
	v_addc_co_u32_e32 v1, vcc, v3, v1, vcc
	s_mov_b32 s38, s29
	v_add_u32_e32 v14, 16, v10
	v_mov_b32_e32 v2, s13
	v_add_co_u32_e32 v49, vcc, s12, v0
	v_cmp_le_i32_e64 s[0:1], s29, v10
	v_cmp_le_i64_e64 s[2:3], s[38:39], v[12:13]
	v_add_u32_e32 v48, v47, v45
	v_cmp_gt_i32_e64 s[4:5], s29, v10
	v_cmp_gt_i32_e64 s[14:15], s29, v14
	v_ashrrev_i32_e32 v15, 31, v14
	v_lshl_add_u32 v26, s7, 5, v42
	v_addc_co_u32_e32 v50, vcc, v2, v1, vcc
	v_mov_b32_e32 v28, 0
	v_mov_b32_e32 v29, 0x3ff00000
	s_branch .LBB45_4
.LBB45_3:                               ;   in Loop: Header=BB45_4 Depth=1
	s_or_b64 exec, exec, s[8:9]
	s_add_i32 s7, s50, s7
	s_cmp_le_i32 s7, s31
	v_add_u32_e32 v26, s51, v26
	s_cbranch_scc0 .LBB45_63
.LBB45_4:                               ; =>This Loop Header: Depth=1
                                        ;     Child Loop BB45_7 Depth 2
	v_lshl_add_u32 v51, s7, 5, v42
	v_pk_mov_b32 v[36:37], 0, 0
	v_ashrrev_i32_e32 v52, 31, v51
	s_mov_b64 s[22:23], 0
	s_andn2_b64 vcc, exec, s[18:19]
	v_pk_mov_b32 v[34:35], v[36:37], v[36:37] op_sel:[0,1]
	v_pk_mov_b32 v[32:33], v[36:37], v[36:37] op_sel:[0,1]
	;; [unrolled: 1-line block ×3, first 2 shown]
	s_cbranch_vccnz .LBB45_55
; %bb.5:                                ;   in Loop: Header=BB45_4 Depth=1
	v_ashrrev_i32_e32 v27, 31, v26
	v_mad_u64_u32 v[38:39], s[8:9], s20, v26, v[24:25]
	v_mul_lo_u32 v0, s21, v26
	v_mul_lo_u32 v1, s20, v27
	v_add3_u32 v39, v0, v39, v1
	v_lshlrev_b64 v[0:1], 3, v[26:27]
	v_add_co_u32_e32 v0, vcc, 0x80, v0
	v_addc_co_u32_e32 v1, vcc, 0, v1, vcc
	v_mul_lo_u32 v1, s24, v1
	v_mul_lo_u32 v2, s25, v0
	v_mad_u64_u32 v[40:41], s[8:9], s24, v0, v[24:25]
	v_add3_u32 v41, v2, v41, v1
	v_mov_b32_e32 v1, s49
	v_sub_co_u32_e32 v0, vcc, s30, v51
	v_subb_co_u32_e32 v1, vcc, v1, v52, vcc
	v_pk_mov_b32 v[30:31], 0, 0
	v_cmp_lt_i64_e32 vcc, 0, v[0:1]
	v_cmp_lt_i64_e64 s[8:9], 16, v[0:1]
	s_mov_b64 s[26:27], 0
	v_pk_mov_b32 v[32:33], v[30:31], v[30:31] op_sel:[0,1]
	v_pk_mov_b32 v[34:35], v[30:31], v[30:31] op_sel:[0,1]
	;; [unrolled: 1-line block ×3, first 2 shown]
	s_branch .LBB45_7
.LBB45_6:                               ;   in Loop: Header=BB45_7 Depth=2
	s_or_b64 exec, exec, s[12:13]
	s_waitcnt lgkmcnt(0)
	s_barrier
	ds_read2_b64 v[54:57], v45 offset1:16
	ds_read_b128 v[58:61], v47
	ds_read_b128 v[62:65], v47 offset:16
	ds_read_b128 v[4:7], v47 offset:32
	;; [unrolled: 1-line block ×4, first 2 shown]
	ds_read2_b64 v[70:73], v45 offset0:32 offset1:48
	s_waitcnt lgkmcnt(5)
	v_fmac_f64_e32 v[36:37], v[54:55], v[58:59]
	v_fmac_f64_e32 v[34:35], v[56:57], v[58:59]
	ds_read_b128 v[74:77], v47 offset:4112
	s_waitcnt lgkmcnt(2)
	v_fmac_f64_e32 v[32:33], v[54:55], v[66:67]
	v_fmac_f64_e32 v[30:31], v[56:57], v[66:67]
	ds_read2_b64 v[54:57], v45 offset0:64 offset1:80
	s_waitcnt lgkmcnt(2)
	v_fmac_f64_e32 v[36:37], v[70:71], v[60:61]
	v_fmac_f64_e32 v[34:35], v[72:73], v[60:61]
	ds_read2_b64 v[58:61], v45 offset0:96 offset1:112
	v_fmac_f64_e32 v[32:33], v[70:71], v[68:69]
	v_fmac_f64_e32 v[30:31], v[72:73], v[68:69]
	ds_read_b128 v[66:69], v47 offset:4144
	s_waitcnt lgkmcnt(2)
	v_fmac_f64_e32 v[36:37], v[54:55], v[62:63]
	v_fmac_f64_e32 v[34:35], v[56:57], v[62:63]
	;; [unrolled: 1-line block ×4, first 2 shown]
	s_waitcnt lgkmcnt(1)
	v_fmac_f64_e32 v[36:37], v[58:59], v[64:65]
	ds_read2_b64 v[54:57], v45 offset0:128 offset1:144
	v_fmac_f64_e32 v[34:35], v[60:61], v[64:65]
	v_fmac_f64_e32 v[32:33], v[58:59], v[76:77]
	;; [unrolled: 1-line block ×3, first 2 shown]
	ds_read_b128 v[58:61], v47 offset:4128
	ds_read2_b64 v[62:65], v45 offset0:160 offset1:176
	s_waitcnt lgkmcnt(2)
	v_fmac_f64_e32 v[36:37], v[54:55], v[4:5]
	v_fmac_f64_e32 v[34:35], v[56:57], v[4:5]
	v_add_u32_e32 v27, 0x800, v45
	s_waitcnt lgkmcnt(1)
	v_fmac_f64_e32 v[32:33], v[54:55], v[58:59]
	v_fmac_f64_e32 v[30:31], v[56:57], v[58:59]
	ds_read2_b64 v[54:57], v45 offset0:192 offset1:208
	s_waitcnt lgkmcnt(1)
	v_fmac_f64_e32 v[36:37], v[62:63], v[6:7]
	v_fmac_f64_e32 v[34:35], v[64:65], v[6:7]
	ds_read2_b64 v[4:7], v45 offset0:224 offset1:240
	v_fmac_f64_e32 v[32:33], v[62:63], v[60:61]
	v_fmac_f64_e32 v[30:31], v[64:65], v[60:61]
	s_waitcnt lgkmcnt(1)
	v_fmac_f64_e32 v[36:37], v[54:55], v[0:1]
	v_fmac_f64_e32 v[34:35], v[56:57], v[0:1]
	;; [unrolled: 1-line block ×4, first 2 shown]
	s_waitcnt lgkmcnt(0)
	v_fmac_f64_e32 v[36:37], v[4:5], v[2:3]
	v_fmac_f64_e32 v[34:35], v[6:7], v[2:3]
	ds_read2_b64 v[0:3], v27 offset1:16
	ds_read_b128 v[54:57], v47 offset:64
	v_fmac_f64_e32 v[32:33], v[4:5], v[68:69]
	v_fmac_f64_e32 v[30:31], v[6:7], v[68:69]
	ds_read_b128 v[4:7], v47 offset:80
	ds_read_b128 v[58:61], v47 offset:4160
	ds_read2_b64 v[62:65], v27 offset0:32 offset1:48
	s_waitcnt lgkmcnt(3)
	v_fmac_f64_e32 v[36:37], v[0:1], v[54:55]
	v_fmac_f64_e32 v[34:35], v[2:3], v[54:55]
	ds_read_b128 v[66:69], v47 offset:4176
	s_waitcnt lgkmcnt(2)
	v_fmac_f64_e32 v[32:33], v[0:1], v[58:59]
	v_fmac_f64_e32 v[30:31], v[2:3], v[58:59]
	ds_read2_b64 v[0:3], v27 offset0:64 offset1:80
	s_waitcnt lgkmcnt(2)
	v_fmac_f64_e32 v[36:37], v[62:63], v[56:57]
	v_fmac_f64_e32 v[34:35], v[64:65], v[56:57]
	ds_read2_b64 v[54:57], v27 offset0:96 offset1:112
	v_fmac_f64_e32 v[32:33], v[62:63], v[60:61]
	v_fmac_f64_e32 v[30:31], v[64:65], v[60:61]
	s_waitcnt lgkmcnt(1)
	v_fmac_f64_e32 v[36:37], v[0:1], v[4:5]
	v_fmac_f64_e32 v[34:35], v[2:3], v[4:5]
	;; [unrolled: 1-line block ×4, first 2 shown]
	s_waitcnt lgkmcnt(0)
	v_fmac_f64_e32 v[36:37], v[54:55], v[6:7]
	v_fmac_f64_e32 v[34:35], v[56:57], v[6:7]
	ds_read2_b64 v[0:3], v27 offset0:128 offset1:144
	ds_read_b128 v[4:7], v47 offset:96
	v_fmac_f64_e32 v[32:33], v[54:55], v[68:69]
	v_fmac_f64_e32 v[30:31], v[56:57], v[68:69]
	ds_read_b128 v[54:57], v47 offset:112
	ds_read_b128 v[58:61], v47 offset:4192
	ds_read2_b64 v[62:65], v27 offset0:160 offset1:176
	s_waitcnt lgkmcnt(3)
	v_fmac_f64_e32 v[36:37], v[0:1], v[4:5]
	v_fmac_f64_e32 v[34:35], v[2:3], v[4:5]
	ds_read_b128 v[66:69], v47 offset:4208
	s_waitcnt lgkmcnt(2)
	v_fmac_f64_e32 v[32:33], v[0:1], v[58:59]
	v_fmac_f64_e32 v[30:31], v[2:3], v[58:59]
	ds_read2_b64 v[0:3], v27 offset0:192 offset1:208
	s_waitcnt lgkmcnt(2)
	v_fmac_f64_e32 v[36:37], v[62:63], v[6:7]
	v_fmac_f64_e32 v[34:35], v[64:65], v[6:7]
	ds_read2_b64 v[4:7], v27 offset0:224 offset1:240
	v_fmac_f64_e32 v[32:33], v[62:63], v[60:61]
	v_fmac_f64_e32 v[30:31], v[64:65], v[60:61]
	s_waitcnt lgkmcnt(1)
	v_fmac_f64_e32 v[36:37], v[0:1], v[54:55]
	v_fmac_f64_e32 v[34:35], v[2:3], v[54:55]
	;; [unrolled: 1-line block ×4, first 2 shown]
	v_add_u32_e32 v27, 0x1000, v45
	s_waitcnt lgkmcnt(0)
	v_fmac_f64_e32 v[36:37], v[4:5], v[56:57]
	v_fmac_f64_e32 v[34:35], v[6:7], v[56:57]
	ds_read2_b64 v[0:3], v27 offset1:16
	ds_read_b128 v[54:57], v47 offset:128
	v_fmac_f64_e32 v[32:33], v[4:5], v[68:69]
	v_fmac_f64_e32 v[30:31], v[6:7], v[68:69]
	ds_read_b128 v[4:7], v47 offset:144
	ds_read_b128 v[58:61], v47 offset:4224
	ds_read2_b64 v[62:65], v27 offset0:32 offset1:48
	s_waitcnt lgkmcnt(3)
	v_fmac_f64_e32 v[36:37], v[0:1], v[54:55]
	v_fmac_f64_e32 v[34:35], v[2:3], v[54:55]
	ds_read_b128 v[66:69], v47 offset:4240
	s_waitcnt lgkmcnt(2)
	v_fmac_f64_e32 v[32:33], v[0:1], v[58:59]
	v_fmac_f64_e32 v[30:31], v[2:3], v[58:59]
	ds_read2_b64 v[0:3], v27 offset0:64 offset1:80
	s_waitcnt lgkmcnt(2)
	v_fmac_f64_e32 v[36:37], v[62:63], v[56:57]
	v_fmac_f64_e32 v[34:35], v[64:65], v[56:57]
	ds_read2_b64 v[54:57], v27 offset0:96 offset1:112
	v_fmac_f64_e32 v[32:33], v[62:63], v[60:61]
	v_fmac_f64_e32 v[30:31], v[64:65], v[60:61]
	s_waitcnt lgkmcnt(1)
	v_fmac_f64_e32 v[36:37], v[0:1], v[4:5]
	v_fmac_f64_e32 v[34:35], v[2:3], v[4:5]
	;; [unrolled: 1-line block ×4, first 2 shown]
	s_waitcnt lgkmcnt(0)
	v_fmac_f64_e32 v[36:37], v[54:55], v[6:7]
	v_fmac_f64_e32 v[34:35], v[56:57], v[6:7]
	ds_read2_b64 v[0:3], v27 offset0:128 offset1:144
	ds_read_b128 v[4:7], v47 offset:160
	v_fmac_f64_e32 v[32:33], v[54:55], v[68:69]
	v_fmac_f64_e32 v[30:31], v[56:57], v[68:69]
	ds_read_b128 v[54:57], v47 offset:176
	ds_read_b128 v[58:61], v47 offset:4256
	ds_read2_b64 v[62:65], v27 offset0:160 offset1:176
	s_waitcnt lgkmcnt(3)
	v_fmac_f64_e32 v[36:37], v[0:1], v[4:5]
	v_fmac_f64_e32 v[34:35], v[2:3], v[4:5]
	ds_read_b128 v[66:69], v47 offset:4272
	s_waitcnt lgkmcnt(2)
	v_fmac_f64_e32 v[32:33], v[0:1], v[58:59]
	v_fmac_f64_e32 v[30:31], v[2:3], v[58:59]
	ds_read2_b64 v[0:3], v27 offset0:192 offset1:208
	s_waitcnt lgkmcnt(2)
	v_fmac_f64_e32 v[36:37], v[62:63], v[6:7]
	v_fmac_f64_e32 v[34:35], v[64:65], v[6:7]
	ds_read2_b64 v[4:7], v27 offset0:224 offset1:240
	v_fmac_f64_e32 v[32:33], v[62:63], v[60:61]
	v_fmac_f64_e32 v[30:31], v[64:65], v[60:61]
	s_waitcnt lgkmcnt(1)
	v_fmac_f64_e32 v[36:37], v[0:1], v[54:55]
	v_fmac_f64_e32 v[34:35], v[2:3], v[54:55]
	;; [unrolled: 1-line block ×4, first 2 shown]
	v_add_u32_e32 v27, 0x1800, v45
	s_waitcnt lgkmcnt(0)
	v_fmac_f64_e32 v[36:37], v[4:5], v[56:57]
	v_fmac_f64_e32 v[34:35], v[6:7], v[56:57]
	ds_read2_b64 v[0:3], v27 offset1:16
	ds_read_b128 v[54:57], v47 offset:192
	v_fmac_f64_e32 v[32:33], v[4:5], v[68:69]
	v_fmac_f64_e32 v[30:31], v[6:7], v[68:69]
	ds_read_b128 v[4:7], v47 offset:208
	ds_read_b128 v[58:61], v47 offset:4288
	ds_read2_b64 v[62:65], v27 offset0:32 offset1:48
	s_waitcnt lgkmcnt(3)
	v_fmac_f64_e32 v[36:37], v[0:1], v[54:55]
	v_fmac_f64_e32 v[34:35], v[2:3], v[54:55]
	ds_read_b128 v[66:69], v47 offset:4304
	s_waitcnt lgkmcnt(2)
	v_fmac_f64_e32 v[32:33], v[0:1], v[58:59]
	v_fmac_f64_e32 v[30:31], v[2:3], v[58:59]
	ds_read2_b64 v[0:3], v27 offset0:64 offset1:80
	s_waitcnt lgkmcnt(2)
	v_fmac_f64_e32 v[36:37], v[62:63], v[56:57]
	v_fmac_f64_e32 v[34:35], v[64:65], v[56:57]
	ds_read2_b64 v[54:57], v27 offset0:96 offset1:112
	v_fmac_f64_e32 v[32:33], v[62:63], v[60:61]
	v_fmac_f64_e32 v[30:31], v[64:65], v[60:61]
	s_waitcnt lgkmcnt(1)
	v_fmac_f64_e32 v[36:37], v[0:1], v[4:5]
	v_fmac_f64_e32 v[34:35], v[2:3], v[4:5]
	;; [unrolled: 1-line block ×4, first 2 shown]
	s_waitcnt lgkmcnt(0)
	v_fmac_f64_e32 v[36:37], v[54:55], v[6:7]
	v_fmac_f64_e32 v[34:35], v[56:57], v[6:7]
	ds_read2_b64 v[0:3], v27 offset0:128 offset1:144
	ds_read_b128 v[4:7], v47 offset:224
	v_fmac_f64_e32 v[32:33], v[54:55], v[68:69]
	v_fmac_f64_e32 v[30:31], v[56:57], v[68:69]
	ds_read_b128 v[54:57], v47 offset:240
	ds_read_b128 v[58:61], v47 offset:4320
	ds_read2_b64 v[62:65], v27 offset0:160 offset1:176
	s_waitcnt lgkmcnt(3)
	v_fmac_f64_e32 v[36:37], v[0:1], v[4:5]
	v_fmac_f64_e32 v[34:35], v[2:3], v[4:5]
	ds_read_b128 v[66:69], v47 offset:4336
	s_waitcnt lgkmcnt(2)
	v_fmac_f64_e32 v[32:33], v[0:1], v[58:59]
	v_fmac_f64_e32 v[30:31], v[2:3], v[58:59]
	ds_read2_b64 v[0:3], v27 offset0:192 offset1:208
	s_waitcnt lgkmcnt(2)
	v_fmac_f64_e32 v[36:37], v[62:63], v[6:7]
	v_fmac_f64_e32 v[34:35], v[64:65], v[6:7]
	ds_read2_b64 v[4:7], v27 offset0:224 offset1:240
	s_add_u32 s26, s26, 32
	s_addc_u32 s27, s27, 0
	v_fmac_f64_e32 v[32:33], v[62:63], v[60:61]
	v_fmac_f64_e32 v[30:31], v[64:65], v[60:61]
	s_add_u32 s22, s22, 0x100
	s_waitcnt lgkmcnt(1)
	v_fmac_f64_e32 v[36:37], v[0:1], v[54:55]
	v_fmac_f64_e32 v[34:35], v[2:3], v[54:55]
	;; [unrolled: 1-line block ×4, first 2 shown]
	s_addc_u32 s23, s23, 0
	s_waitcnt lgkmcnt(0)
	v_fmac_f64_e32 v[36:37], v[4:5], v[56:57]
	v_fmac_f64_e32 v[34:35], v[6:7], v[56:57]
	;; [unrolled: 1-line block ×4, first 2 shown]
	s_cmp_ge_i32 s26, s6
	s_barrier
	s_cbranch_scc1 .LBB45_55
.LBB45_7:                               ;   Parent Loop BB45_4 Depth=1
                                        ; =>  This Inner Loop Header: Depth=2
	v_mov_b32_e32 v0, s27
	v_add_co_u32_e64 v2, s[10:11], s26, v8
	v_addc_co_u32_e64 v3, s[10:11], v9, v0, s[10:11]
	v_mov_b32_e32 v1, s23
	v_add_co_u32_e64 v0, s[10:11], s22, v43
	v_addc_co_u32_e64 v1, s[10:11], v44, v1, s[10:11]
	v_cmp_eq_u64_e64 s[10:11], s[26:27], v[16:17]
	v_cmp_le_i64_e64 s[12:13], s[38:39], v[2:3]
	s_and_b64 s[44:45], s[36:37], s[10:11]
	v_cmp_lt_i64_e64 s[10:11], v[2:3], v[10:11]
	s_or_b64 s[16:17], s[12:13], s[10:11]
	s_or_b64 s[16:17], s[16:17], s[44:45]
	;; [unrolled: 1-line block ×3, first 2 shown]
	s_xor_b64 s[16:17], s[16:17], -1
	s_and_saveexec_b64 s[28:29], s[16:17]
	s_xor_b64 s[16:17], exec, s[28:29]
	s_cbranch_execz .LBB45_9
; %bb.8:                                ;   in Loop: Header=BB45_7 Depth=2
	global_load_dwordx2 v[4:5], v[0:1], off
	s_waitcnt vmcnt(0)
	ds_write_b64 v46, v[4:5]
.LBB45_9:                               ;   in Loop: Header=BB45_7 Depth=2
	s_or_saveexec_b64 s[16:17], s[16:17]
	s_xor_b64 s[28:29], s[44:45], -1
	s_xor_b64 exec, exec, s[16:17]
	s_cbranch_execz .LBB45_15
; %bb.10:                               ;   in Loop: Header=BB45_7 Depth=2
	s_and_saveexec_b64 s[46:47], s[28:29]
	s_xor_b64 s[46:47], exec, s[46:47]
	s_cbranch_execz .LBB45_12
; %bb.11:                               ;   in Loop: Header=BB45_7 Depth=2
	v_mov_b32_e32 v4, v28
	v_mov_b32_e32 v5, v28
	ds_write_b64 v46, v[4:5]
.LBB45_12:                              ;   in Loop: Header=BB45_7 Depth=2
	s_andn2_saveexec_b64 s[46:47], s[46:47]
	s_cbranch_execz .LBB45_14
; %bb.13:                               ;   in Loop: Header=BB45_7 Depth=2
	ds_write_b64 v46, v[28:29]
.LBB45_14:                              ;   in Loop: Header=BB45_7 Depth=2
	s_or_b64 exec, exec, s[46:47]
.LBB45_15:                              ;   in Loop: Header=BB45_7 Depth=2
	s_or_b64 exec, exec, s[16:17]
	v_cmp_eq_u64_e64 s[16:17], s[26:27], v[18:19]
	s_and_b64 s[46:47], s[36:37], s[16:17]
	v_cmp_gt_i64_e64 s[16:17], v[12:13], v[2:3]
	s_or_b64 s[12:13], s[12:13], s[16:17]
	s_or_b64 s[12:13], s[12:13], s[46:47]
	;; [unrolled: 1-line block ×3, first 2 shown]
	s_xor_b64 s[12:13], s[12:13], -1
	s_and_saveexec_b64 s[16:17], s[12:13]
	s_xor_b64 s[16:17], exec, s[16:17]
	s_cbranch_execz .LBB45_17
; %bb.16:                               ;   in Loop: Header=BB45_7 Depth=2
	v_mov_b32_e32 v5, s23
	v_add_co_u32_e64 v4, s[12:13], s22, v49
	v_addc_co_u32_e64 v5, s[12:13], v50, v5, s[12:13]
	global_load_dwordx2 v[4:5], v[4:5], off
	s_waitcnt vmcnt(0)
	ds_write_b64 v46, v[4:5] offset:128
.LBB45_17:                              ;   in Loop: Header=BB45_7 Depth=2
	s_andn2_saveexec_b64 s[12:13], s[16:17]
	s_cbranch_execz .LBB45_23
; %bb.18:                               ;   in Loop: Header=BB45_7 Depth=2
	s_xor_b64 s[16:17], s[46:47], -1
	s_and_saveexec_b64 s[46:47], s[16:17]
	s_xor_b64 s[16:17], exec, s[46:47]
	s_cbranch_execz .LBB45_20
; %bb.19:                               ;   in Loop: Header=BB45_7 Depth=2
	v_mov_b32_e32 v4, v28
	v_mov_b32_e32 v5, v28
	ds_write_b64 v46, v[4:5] offset:128
.LBB45_20:                              ;   in Loop: Header=BB45_7 Depth=2
	s_andn2_saveexec_b64 s[16:17], s[16:17]
	s_cbranch_execz .LBB45_22
; %bb.21:                               ;   in Loop: Header=BB45_7 Depth=2
	ds_write_b64 v46, v[28:29] offset:128
.LBB45_22:                              ;   in Loop: Header=BB45_7 Depth=2
	s_or_b64 exec, exec, s[16:17]
.LBB45_23:                              ;   in Loop: Header=BB45_7 Depth=2
	s_or_b64 exec, exec, s[12:13]
	v_add_co_u32_e64 v2, s[12:13], 16, v2
	v_addc_co_u32_e64 v3, s[12:13], 0, v3, s[12:13]
	v_cmp_eq_u64_e64 s[16:17], s[26:27], v[20:21]
	v_cmp_le_i64_e64 s[12:13], s[38:39], v[2:3]
	s_and_b64 s[46:47], s[36:37], s[16:17]
	v_cmp_lt_i64_e64 s[16:17], v[2:3], v[10:11]
	s_or_b64 s[16:17], s[12:13], s[16:17]
	s_or_b64 s[16:17], s[16:17], s[46:47]
	;; [unrolled: 1-line block ×3, first 2 shown]
	s_xor_b64 s[16:17], s[16:17], -1
	s_and_saveexec_b64 s[52:53], s[16:17]
	s_xor_b64 s[16:17], exec, s[52:53]
	s_cbranch_execz .LBB45_25
; %bb.24:                               ;   in Loop: Header=BB45_7 Depth=2
	global_load_dwordx2 v[0:1], v[0:1], off offset:128
	s_waitcnt vmcnt(0)
	ds_write_b64 v46, v[0:1] offset:4096
.LBB45_25:                              ;   in Loop: Header=BB45_7 Depth=2
	s_andn2_saveexec_b64 s[16:17], s[16:17]
	s_cbranch_execz .LBB45_31
; %bb.26:                               ;   in Loop: Header=BB45_7 Depth=2
	s_xor_b64 s[46:47], s[46:47], -1
	s_and_saveexec_b64 s[52:53], s[46:47]
	s_xor_b64 s[46:47], exec, s[52:53]
	s_cbranch_execz .LBB45_28
; %bb.27:                               ;   in Loop: Header=BB45_7 Depth=2
	v_mov_b32_e32 v0, v28
	v_mov_b32_e32 v1, v28
	ds_write_b64 v46, v[0:1] offset:4096
.LBB45_28:                              ;   in Loop: Header=BB45_7 Depth=2
	s_andn2_saveexec_b64 s[46:47], s[46:47]
	s_cbranch_execz .LBB45_30
; %bb.29:                               ;   in Loop: Header=BB45_7 Depth=2
	ds_write_b64 v46, v[28:29] offset:4096
.LBB45_30:                              ;   in Loop: Header=BB45_7 Depth=2
	s_or_b64 exec, exec, s[46:47]
.LBB45_31:                              ;   in Loop: Header=BB45_7 Depth=2
	s_or_b64 exec, exec, s[16:17]
	s_or_b64 s[10:11], s[12:13], s[10:11]
	s_or_b64 s[10:11], s[10:11], s[44:45]
	;; [unrolled: 1-line block ×3, first 2 shown]
	s_xor_b64 s[10:11], s[10:11], -1
	s_and_saveexec_b64 s[12:13], s[10:11]
	s_xor_b64 s[12:13], exec, s[12:13]
	s_cbranch_execz .LBB45_33
; %bb.32:                               ;   in Loop: Header=BB45_7 Depth=2
	v_mov_b32_e32 v1, s23
	v_add_co_u32_e64 v0, s[10:11], s22, v49
	v_addc_co_u32_e64 v1, s[10:11], v50, v1, s[10:11]
	global_load_dwordx2 v[0:1], v[0:1], off offset:128
	s_waitcnt vmcnt(0)
	ds_write_b64 v46, v[0:1] offset:4224
.LBB45_33:                              ;   in Loop: Header=BB45_7 Depth=2
	s_andn2_saveexec_b64 s[10:11], s[12:13]
	s_cbranch_execz .LBB45_39
; %bb.34:                               ;   in Loop: Header=BB45_7 Depth=2
	s_and_saveexec_b64 s[12:13], s[28:29]
	s_xor_b64 s[12:13], exec, s[12:13]
	s_cbranch_execz .LBB45_36
; %bb.35:                               ;   in Loop: Header=BB45_7 Depth=2
	v_mov_b32_e32 v0, v28
	v_mov_b32_e32 v1, v28
	ds_write_b64 v46, v[0:1] offset:4224
.LBB45_36:                              ;   in Loop: Header=BB45_7 Depth=2
	s_andn2_saveexec_b64 s[12:13], s[12:13]
	s_cbranch_execz .LBB45_38
; %bb.37:                               ;   in Loop: Header=BB45_7 Depth=2
	ds_write_b64 v46, v[28:29] offset:4224
.LBB45_38:                              ;   in Loop: Header=BB45_7 Depth=2
	s_or_b64 exec, exec, s[12:13]
.LBB45_39:                              ;   in Loop: Header=BB45_7 Depth=2
	s_or_b64 exec, exec, s[10:11]
	v_mov_b32_e32 v1, s27
	v_add_co_u32_e64 v0, s[10:11], s26, v10
	v_addc_co_u32_e64 v1, s[10:11], v11, v1, s[10:11]
	v_cmp_gt_i64_e64 s[10:11], s[38:39], v[0:1]
	s_and_b64 s[12:13], vcc, s[10:11]
	s_xor_b64 s[12:13], s[12:13], -1
	s_and_saveexec_b64 s[16:17], s[12:13]
	s_xor_b64 s[12:13], exec, s[16:17]
	s_cbranch_execz .LBB45_41
; %bb.40:                               ;   in Loop: Header=BB45_7 Depth=2
	v_mov_b32_e32 v2, v28
	v_mov_b32_e32 v3, v28
	ds_write_b64 v48, v[2:3]
.LBB45_41:                              ;   in Loop: Header=BB45_7 Depth=2
	s_or_saveexec_b64 s[16:17], s[12:13]
	v_mov_b32_e32 v3, s23
	v_add_co_u32_e64 v2, s[12:13], s22, v38
	v_addc_co_u32_e64 v3, s[12:13], v39, v3, s[12:13]
	s_xor_b64 exec, exec, s[16:17]
	s_cbranch_execz .LBB45_43
; %bb.42:                               ;   in Loop: Header=BB45_7 Depth=2
	global_load_dwordx2 v[4:5], v[2:3], off offset:-128
	s_waitcnt vmcnt(0)
	ds_write_b64 v48, v[4:5]
.LBB45_43:                              ;   in Loop: Header=BB45_7 Depth=2
	s_or_b64 exec, exec, s[16:17]
	v_cmp_gt_i64_e64 s[12:13], s[42:43], v[0:1]
	s_and_b64 s[16:17], vcc, s[12:13]
	s_xor_b64 s[16:17], s[16:17], -1
	s_and_saveexec_b64 s[28:29], s[16:17]
	s_xor_b64 s[16:17], exec, s[28:29]
	s_cbranch_execz .LBB45_45
; %bb.44:                               ;   in Loop: Header=BB45_7 Depth=2
	v_mov_b32_e32 v0, v28
	v_mov_b32_e32 v1, v28
	ds_write_b64 v48, v[0:1] offset:128
                                        ; implicit-def: $vgpr2_vgpr3
.LBB45_45:                              ;   in Loop: Header=BB45_7 Depth=2
	s_andn2_saveexec_b64 s[16:17], s[16:17]
	s_cbranch_execz .LBB45_47
; %bb.46:                               ;   in Loop: Header=BB45_7 Depth=2
	global_load_dwordx2 v[0:1], v[2:3], off
	s_waitcnt vmcnt(0)
	ds_write_b64 v48, v[0:1] offset:128
.LBB45_47:                              ;   in Loop: Header=BB45_7 Depth=2
	s_or_b64 exec, exec, s[16:17]
	s_and_b64 s[10:11], s[8:9], s[10:11]
	s_xor_b64 s[10:11], s[10:11], -1
	s_and_saveexec_b64 s[16:17], s[10:11]
	s_xor_b64 s[10:11], exec, s[16:17]
	s_cbranch_execz .LBB45_49
; %bb.48:                               ;   in Loop: Header=BB45_7 Depth=2
	v_mov_b32_e32 v0, v28
	v_mov_b32_e32 v1, v28
	ds_write_b64 v48, v[0:1] offset:4096
.LBB45_49:                              ;   in Loop: Header=BB45_7 Depth=2
	s_andn2_saveexec_b64 s[16:17], s[10:11]
	s_cbranch_execz .LBB45_51
; %bb.50:                               ;   in Loop: Header=BB45_7 Depth=2
	v_mov_b32_e32 v1, s23
	v_add_co_u32_e64 v0, s[10:11], s22, v40
	v_addc_co_u32_e64 v1, s[10:11], v41, v1, s[10:11]
	global_load_dwordx2 v[0:1], v[0:1], off offset:-128
	s_waitcnt vmcnt(0)
	ds_write_b64 v48, v[0:1] offset:4096
.LBB45_51:                              ;   in Loop: Header=BB45_7 Depth=2
	s_or_b64 exec, exec, s[16:17]
	s_and_b64 s[10:11], s[8:9], s[12:13]
	s_xor_b64 s[10:11], s[10:11], -1
	s_and_saveexec_b64 s[12:13], s[10:11]
	s_xor_b64 s[10:11], exec, s[12:13]
	s_cbranch_execz .LBB45_53
; %bb.52:                               ;   in Loop: Header=BB45_7 Depth=2
	v_mov_b32_e32 v0, v28
	v_mov_b32_e32 v1, v28
	ds_write_b64 v48, v[0:1] offset:4224
.LBB45_53:                              ;   in Loop: Header=BB45_7 Depth=2
	s_andn2_saveexec_b64 s[12:13], s[10:11]
	s_cbranch_execz .LBB45_6
; %bb.54:                               ;   in Loop: Header=BB45_7 Depth=2
	v_mov_b32_e32 v1, s23
	v_add_co_u32_e64 v0, s[10:11], s22, v40
	v_addc_co_u32_e64 v1, s[10:11], v41, v1, s[10:11]
	global_load_dwordx2 v[0:1], v[0:1], off
	s_waitcnt vmcnt(0)
	ds_write_b64 v48, v[0:1] offset:4224
	s_branch .LBB45_6
.LBB45_55:                              ;   in Loop: Header=BB45_4 Depth=1
	v_mul_lo_u32 v2, v52, s40
	v_mul_lo_u32 v3, v51, s41
	v_mad_u64_u32 v[0:1], s[8:9], v51, s40, 0
	v_add3_u32 v1, v1, v3, v2
	v_lshlrev_b64 v[0:1], 3, v[0:1]
	v_mov_b32_e32 v2, s48
	v_add_co_u32_e64 v0, s[8:9], s33, v0
	v_cmp_gt_i32_e32 vcc, s30, v51
	v_addc_co_u32_e64 v1, s[8:9], v2, v1, s[8:9]
	s_and_b64 s[8:9], s[4:5], vcc
	s_and_saveexec_b64 s[10:11], s[8:9]
	s_cbranch_execz .LBB45_57
; %bb.56:                               ;   in Loop: Header=BB45_4 Depth=1
	v_add_co_u32_e64 v2, s[8:9], v0, v22
	v_addc_co_u32_e64 v3, s[8:9], v1, v23, s[8:9]
	global_load_dwordx2 v[4:5], v[2:3], off
	s_waitcnt vmcnt(0)
	v_fmac_f64_e32 v[4:5], s[34:35], v[36:37]
	global_store_dwordx2 v[2:3], v[4:5], off
.LBB45_57:                              ;   in Loop: Header=BB45_4 Depth=1
	s_or_b64 exec, exec, s[10:11]
	s_and_b64 s[10:11], s[14:15], vcc
	s_and_saveexec_b64 s[8:9], s[10:11]
	s_cbranch_execz .LBB45_59
; %bb.58:                               ;   in Loop: Header=BB45_4 Depth=1
	v_lshlrev_b64 v[2:3], 3, v[14:15]
	v_add_co_u32_e32 v0, vcc, v0, v2
	v_addc_co_u32_e32 v1, vcc, v1, v3, vcc
	global_load_dwordx2 v[2:3], v[0:1], off
	s_waitcnt vmcnt(0)
	v_fmac_f64_e32 v[2:3], s[34:35], v[34:35]
	global_store_dwordx2 v[0:1], v[2:3], off
.LBB45_59:                              ;   in Loop: Header=BB45_4 Depth=1
	s_or_b64 exec, exec, s[8:9]
	v_add_u32_e32 v0, 16, v51
	v_ashrrev_i32_e32 v1, 31, v0
	v_cmp_gt_i32_e32 vcc, s30, v0
	v_mul_lo_u32 v2, v1, s40
	v_mul_lo_u32 v3, v0, s41
	v_mad_u64_u32 v[0:1], s[8:9], v0, s40, 0
	v_add3_u32 v1, v1, v3, v2
	v_lshlrev_b64 v[0:1], 3, v[0:1]
	v_mov_b32_e32 v2, s48
	v_add_co_u32_e64 v0, s[8:9], s33, v0
	v_addc_co_u32_e64 v1, s[8:9], v2, v1, s[8:9]
	s_and_b64 s[8:9], s[4:5], vcc
	s_and_saveexec_b64 s[10:11], s[8:9]
	s_cbranch_execz .LBB45_61
; %bb.60:                               ;   in Loop: Header=BB45_4 Depth=1
	v_add_co_u32_e64 v2, s[8:9], v0, v22
	v_addc_co_u32_e64 v3, s[8:9], v1, v23, s[8:9]
	global_load_dwordx2 v[4:5], v[2:3], off
	s_waitcnt vmcnt(0)
	v_fmac_f64_e32 v[4:5], s[34:35], v[32:33]
	global_store_dwordx2 v[2:3], v[4:5], off
.LBB45_61:                              ;   in Loop: Header=BB45_4 Depth=1
	s_or_b64 exec, exec, s[10:11]
	s_and_b64 s[10:11], s[14:15], vcc
	s_and_saveexec_b64 s[8:9], s[10:11]
	s_cbranch_execz .LBB45_3
; %bb.62:                               ;   in Loop: Header=BB45_4 Depth=1
	v_lshlrev_b64 v[2:3], 3, v[14:15]
	v_add_co_u32_e32 v0, vcc, v0, v2
	v_addc_co_u32_e32 v1, vcc, v1, v3, vcc
	global_load_dwordx2 v[2:3], v[0:1], off
	s_waitcnt vmcnt(0)
	v_fmac_f64_e32 v[2:3], s[34:35], v[30:31]
	global_store_dwordx2 v[0:1], v[2:3], off
	s_branch .LBB45_3
.LBB45_63:
	s_endpgm
	.section	.rodata,"a",@progbits
	.p2align	6, 0x0
	.amdhsa_kernel _ZL30rocblas_trmm_outofplace_kernelIdLi32ELi2ELb1ELb0ELb1ELb1EdKddEv17rocblas_diagonal_iiT6_lPT7_lllS4_lllPT8_llli
		.amdhsa_group_segment_fixed_size 16384
		.amdhsa_private_segment_fixed_size 0
		.amdhsa_kernarg_size 392
		.amdhsa_user_sgpr_count 6
		.amdhsa_user_sgpr_private_segment_buffer 1
		.amdhsa_user_sgpr_dispatch_ptr 0
		.amdhsa_user_sgpr_queue_ptr 0
		.amdhsa_user_sgpr_kernarg_segment_ptr 1
		.amdhsa_user_sgpr_dispatch_id 0
		.amdhsa_user_sgpr_flat_scratch_init 0
		.amdhsa_user_sgpr_kernarg_preload_length 0
		.amdhsa_user_sgpr_kernarg_preload_offset 0
		.amdhsa_user_sgpr_private_segment_size 0
		.amdhsa_uses_dynamic_stack 0
		.amdhsa_system_sgpr_private_segment_wavefront_offset 0
		.amdhsa_system_sgpr_workgroup_id_x 1
		.amdhsa_system_sgpr_workgroup_id_y 1
		.amdhsa_system_sgpr_workgroup_id_z 1
		.amdhsa_system_sgpr_workgroup_info 0
		.amdhsa_system_vgpr_workitem_id 1
		.amdhsa_next_free_vgpr 78
		.amdhsa_next_free_sgpr 54
		.amdhsa_accum_offset 80
		.amdhsa_reserve_vcc 1
		.amdhsa_reserve_flat_scratch 0
		.amdhsa_float_round_mode_32 0
		.amdhsa_float_round_mode_16_64 0
		.amdhsa_float_denorm_mode_32 3
		.amdhsa_float_denorm_mode_16_64 3
		.amdhsa_dx10_clamp 1
		.amdhsa_ieee_mode 1
		.amdhsa_fp16_overflow 0
		.amdhsa_tg_split 0
		.amdhsa_exception_fp_ieee_invalid_op 0
		.amdhsa_exception_fp_denorm_src 0
		.amdhsa_exception_fp_ieee_div_zero 0
		.amdhsa_exception_fp_ieee_overflow 0
		.amdhsa_exception_fp_ieee_underflow 0
		.amdhsa_exception_fp_ieee_inexact 0
		.amdhsa_exception_int_div_zero 0
	.end_amdhsa_kernel
	.section	.text._ZL30rocblas_trmm_outofplace_kernelIdLi32ELi2ELb1ELb0ELb1ELb1EdKddEv17rocblas_diagonal_iiT6_lPT7_lllS4_lllPT8_llli,"axG",@progbits,_ZL30rocblas_trmm_outofplace_kernelIdLi32ELi2ELb1ELb0ELb1ELb1EdKddEv17rocblas_diagonal_iiT6_lPT7_lllS4_lllPT8_llli,comdat
.Lfunc_end45:
	.size	_ZL30rocblas_trmm_outofplace_kernelIdLi32ELi2ELb1ELb0ELb1ELb1EdKddEv17rocblas_diagonal_iiT6_lPT7_lllS4_lllPT8_llli, .Lfunc_end45-_ZL30rocblas_trmm_outofplace_kernelIdLi32ELi2ELb1ELb0ELb1ELb1EdKddEv17rocblas_diagonal_iiT6_lPT7_lllS4_lllPT8_llli
                                        ; -- End function
	.section	.AMDGPU.csdata,"",@progbits
; Kernel info:
; codeLenInByte = 3424
; NumSgprs: 58
; NumVgprs: 78
; NumAgprs: 0
; TotalNumVgprs: 78
; ScratchSize: 0
; MemoryBound: 1
; FloatMode: 240
; IeeeMode: 1
; LDSByteSize: 16384 bytes/workgroup (compile time only)
; SGPRBlocks: 7
; VGPRBlocks: 9
; NumSGPRsForWavesPerEU: 58
; NumVGPRsForWavesPerEU: 78
; AccumOffset: 80
; Occupancy: 6
; WaveLimiterHint : 0
; COMPUTE_PGM_RSRC2:SCRATCH_EN: 0
; COMPUTE_PGM_RSRC2:USER_SGPR: 6
; COMPUTE_PGM_RSRC2:TRAP_HANDLER: 0
; COMPUTE_PGM_RSRC2:TGID_X_EN: 1
; COMPUTE_PGM_RSRC2:TGID_Y_EN: 1
; COMPUTE_PGM_RSRC2:TGID_Z_EN: 1
; COMPUTE_PGM_RSRC2:TIDIG_COMP_CNT: 1
; COMPUTE_PGM_RSRC3_GFX90A:ACCUM_OFFSET: 19
; COMPUTE_PGM_RSRC3_GFX90A:TG_SPLIT: 0
	.section	.text._ZL30rocblas_trmm_outofplace_kernelIdLi32ELi2ELb1ELb1ELb1ELb1EPKdS0_dEv17rocblas_diagonal_iiT6_lPT7_lllS5_lllPT8_llli,"axG",@progbits,_ZL30rocblas_trmm_outofplace_kernelIdLi32ELi2ELb1ELb1ELb1ELb1EPKdS0_dEv17rocblas_diagonal_iiT6_lPT7_lllS5_lllPT8_llli,comdat
	.globl	_ZL30rocblas_trmm_outofplace_kernelIdLi32ELi2ELb1ELb1ELb1ELb1EPKdS0_dEv17rocblas_diagonal_iiT6_lPT7_lllS5_lllPT8_llli ; -- Begin function _ZL30rocblas_trmm_outofplace_kernelIdLi32ELi2ELb1ELb1ELb1ELb1EPKdS0_dEv17rocblas_diagonal_iiT6_lPT7_lllS5_lllPT8_llli
	.p2align	8
	.type	_ZL30rocblas_trmm_outofplace_kernelIdLi32ELi2ELb1ELb1ELb1ELb1EPKdS0_dEv17rocblas_diagonal_iiT6_lPT7_lllS5_lllPT8_llli,@function
_ZL30rocblas_trmm_outofplace_kernelIdLi32ELi2ELb1ELb1ELb1ELb1EPKdS0_dEv17rocblas_diagonal_iiT6_lPT7_lllS5_lllPT8_llli: ; @_ZL30rocblas_trmm_outofplace_kernelIdLi32ELi2ELb1ELb1ELb1ELb1EPKdS0_dEv17rocblas_diagonal_iiT6_lPT7_lllS5_lllPT8_llli
; %bb.0:
	s_load_dwordx16 s[12:27], s[4:5], 0x10
	s_waitcnt lgkmcnt(0)
	s_mul_i32 s0, s8, s15
	s_mul_hi_u32 s1, s8, s14
	s_add_i32 s1, s1, s0
	s_mul_i32 s0, s8, s14
	s_lshl_b64 s[0:1], s[0:1], 3
	s_add_u32 s0, s12, s0
	s_addc_u32 s1, s13, s1
	s_load_dwordx2 s[34:35], s[0:1], 0x0
	s_waitcnt lgkmcnt(0)
	v_cmp_eq_f64_e64 s[0:1], s[34:35], 0
	s_and_b64 vcc, exec, s[0:1]
	s_cbranch_vccnz .LBB46_63
; %bb.1:
	s_load_dwordx4 s[28:31], s[4:5], 0x0
	s_waitcnt lgkmcnt(0)
	s_add_i32 s0, s30, -1
	s_ashr_i32 s1, s0, 31
	s_lshr_b32 s1, s1, 27
	s_add_i32 s0, s0, s1
	s_ashr_i32 s31, s0, 5
	s_cmp_gt_i32 s7, s31
	s_cbranch_scc1 .LBB46_63
; %bb.2:
	s_mul_i32 s0, s8, s23
	s_mul_hi_u32 s1, s8, s22
	s_add_i32 s1, s1, s0
	s_mul_i32 s0, s8, s22
	s_load_dwordx4 s[44:47], s[4:5], 0x70
	s_load_dword s33, s[4:5], 0x8c
	s_lshl_b64 s[10:11], s[0:1], 3
	s_add_u32 s0, s16, s10
	s_load_dwordx8 s[36:43], s[4:5], 0x50
	s_addc_u32 s1, s17, s11
	s_lshl_b64 s[12:13], s[18:19], 3
	s_add_u32 s2, s0, s12
	s_addc_u32 s3, s1, s13
	s_waitcnt lgkmcnt(0)
	s_mul_i32 s0, s8, s47
	s_mul_hi_u32 s1, s8, s46
	s_add_i32 s1, s1, s0
	s_mul_i32 s0, s8, s46
	s_lshl_b64 s[0:1], s[0:1], 3
	s_add_u32 s4, s40, s0
	s_addc_u32 s5, s41, s1
	s_lshl_b64 s[0:1], s[42:43], 3
	s_add_u32 s48, s4, s0
	s_addc_u32 s49, s5, s1
	s_lshl_b32 s50, s6, 5
	v_and_b32_e32 v12, 0x3ff, v0
	v_add_u32_e32 v14, s50, v12
	v_ashrrev_i32_e32 v15, 31, v14
	v_bfe_u32 v8, v0, 10, 10
	v_mul_lo_u32 v2, v15, s20
	v_mul_lo_u32 v3, v14, s21
	v_mad_u64_u32 v[0:1], s[0:1], v14, s20, 0
	v_add3_u32 v1, v1, v3, v2
	v_lshlrev_b64 v[0:1], 3, v[0:1]
	v_mov_b32_e32 v2, s3
	v_add_co_u32_e32 v0, vcc, s2, v0
	v_addc_co_u32_e32 v1, vcc, v2, v1, vcc
	v_lshlrev_b32_e32 v2, 3, v8
	v_add_co_u32_e32 v9, vcc, v0, v2
	s_cmp_gt_i32 s6, -1
	v_addc_co_u32_e32 v13, vcc, 0, v1, vcc
	s_cselect_b64 s[18:19], -1, 0
	s_cmpk_eq_i32 s28, 0x84
	s_cselect_b64 s[22:23], -1, 0
	s_ashr_i32 s41, s29, 31
	s_ashr_i32 s6, s30, 31
	v_add_co_u32_e32 v16, vcc, 16, v14
	v_addc_co_u32_e32 v17, vcc, 0, v15, vcc
	s_add_u32 s42, s29, -16
	s_mul_i32 s9, s39, s8
	s_mul_hi_u32 s28, s38, s8
	s_addc_u32 s43, s41, -1
	v_sub_co_u32_e32 v20, vcc, v14, v8
	s_add_i32 s9, s28, s9
	s_mul_i32 s8, s38, s8
	v_subbrev_co_u32_e32 v21, vcc, 0, v15, vcc
	s_lshl_b64 s[8:9], s[8:9], 3
	s_lshl_b64 s[26:27], s[26:27], 3
	v_add_co_u32_e32 v22, vcc, 16, v20
	s_add_u32 s8, s8, s26
	v_addc_co_u32_e32 v23, vcc, 0, v21, vcc
	s_addc_u32 s9, s9, s27
	v_add_co_u32_e32 v24, vcc, -16, v20
	s_add_u32 s8, s24, s8
	v_lshlrev_b32_e32 v0, 8, v8
	v_lshlrev_b32_e32 v44, 3, v12
	v_addc_co_u32_e32 v25, vcc, -1, v21, vcc
	s_addc_u32 s9, s25, s9
	v_add_u32_e32 v45, v44, v0
	v_add_u32_e32 v46, 0x2000, v0
	v_mov_b32_e32 v0, s9
	v_add_co_u32_e32 v1, vcc, s8, v44
	v_addc_co_u32_e32 v0, vcc, 0, v0, vcc
	s_movk_i32 s8, 0x80
	v_add_co_u32_e32 v26, vcc, s8, v1
	v_addc_co_u32_e32 v27, vcc, 0, v0, vcc
	s_lshl_b64 s[24:25], s[36:37], 3
	s_lshl_b32 s51, s33, 5
	v_lshlrev_b64 v[30:31], 3, v[14:15]
	v_add_co_u32_e32 v3, vcc, s8, v30
	s_add_u32 s8, s12, s10
	v_addc_co_u32_e32 v0, vcc, 0, v31, vcc
	s_addc_u32 s9, s13, s11
	v_mul_lo_u32 v4, s20, v0
	v_pk_mov_b32 v[0:1], s[8:9], s[8:9] op_sel:[0,1]
	v_mul_lo_u32 v5, s21, v3
	v_mad_u64_u32 v[0:1], s[8:9], s20, v3, v[0:1]
	v_add3_u32 v1, v5, v1, v4
	v_add_co_u32_e32 v0, vcc, v0, v2
	v_addc_co_u32_e32 v1, vcc, 0, v1, vcc
	s_mov_b32 s40, s29
	v_add_u32_e32 v18, 16, v14
	v_mov_b32_e32 v2, s17
	v_add_co_u32_e32 v48, vcc, s16, v0
	v_mov_b32_e32 v10, 0
	v_cmp_le_i32_e64 s[0:1], s29, v14
	v_cmp_le_i64_e64 s[2:3], s[40:41], v[16:17]
	v_add_u32_e32 v47, v46, v44
	v_cmp_gt_i32_e64 s[4:5], s29, v14
	v_cmp_gt_i32_e64 s[14:15], s29, v18
	v_ashrrev_i32_e32 v19, 31, v18
	v_lshl_add_u32 v28, s7, 5, v8
	v_addc_co_u32_e32 v49, vcc, v2, v1, vcc
	v_mov_b32_e32 v11, 0x3ff00000
	s_branch .LBB46_4
.LBB46_3:                               ;   in Loop: Header=BB46_4 Depth=1
	s_or_b64 exec, exec, s[8:9]
	s_add_i32 s7, s33, s7
	s_cmp_le_i32 s7, s31
	v_add_u32_e32 v28, s51, v28
	s_cbranch_scc0 .LBB46_63
.LBB46_4:                               ; =>This Loop Header: Depth=1
                                        ;     Child Loop BB46_7 Depth 2
	v_lshl_add_u32 v50, s7, 5, v8
	v_pk_mov_b32 v[38:39], 0, 0
	v_ashrrev_i32_e32 v51, 31, v50
	s_mov_b64 s[20:21], 0
	s_andn2_b64 vcc, exec, s[18:19]
	v_pk_mov_b32 v[36:37], v[38:39], v[38:39] op_sel:[0,1]
	v_pk_mov_b32 v[34:35], v[38:39], v[38:39] op_sel:[0,1]
	;; [unrolled: 1-line block ×3, first 2 shown]
	s_cbranch_vccnz .LBB46_55
; %bb.5:                                ;   in Loop: Header=BB46_4 Depth=1
	v_ashrrev_i32_e32 v29, 31, v28
	v_mad_u64_u32 v[40:41], s[8:9], s24, v28, v[26:27]
	v_mul_lo_u32 v0, s25, v28
	v_mul_lo_u32 v1, s24, v29
	v_add3_u32 v41, v0, v41, v1
	v_lshlrev_b64 v[0:1], 3, v[28:29]
	v_add_co_u32_e32 v0, vcc, 0x80, v0
	v_addc_co_u32_e32 v1, vcc, 0, v1, vcc
	v_mul_lo_u32 v1, s36, v1
	v_mul_lo_u32 v2, s37, v0
	v_mad_u64_u32 v[42:43], s[8:9], s36, v0, v[26:27]
	v_add3_u32 v43, v2, v43, v1
	v_mov_b32_e32 v1, s6
	v_sub_co_u32_e32 v0, vcc, s30, v50
	v_subb_co_u32_e32 v1, vcc, v1, v51, vcc
	v_pk_mov_b32 v[32:33], 0, 0
	v_cmp_lt_i64_e32 vcc, 0, v[0:1]
	v_cmp_lt_i64_e64 s[8:9], 16, v[0:1]
	s_mov_b64 s[26:27], 0
	v_pk_mov_b32 v[34:35], v[32:33], v[32:33] op_sel:[0,1]
	v_pk_mov_b32 v[36:37], v[32:33], v[32:33] op_sel:[0,1]
	;; [unrolled: 1-line block ×3, first 2 shown]
	s_branch .LBB46_7
.LBB46_6:                               ;   in Loop: Header=BB46_7 Depth=2
	s_or_b64 exec, exec, s[12:13]
	s_waitcnt lgkmcnt(0)
	s_barrier
	ds_read2_b64 v[52:55], v44 offset1:16
	ds_read_b128 v[56:59], v46
	ds_read_b128 v[60:63], v46 offset:16
	ds_read_b128 v[4:7], v46 offset:32
	;; [unrolled: 1-line block ×4, first 2 shown]
	ds_read2_b64 v[68:71], v44 offset0:32 offset1:48
	s_waitcnt lgkmcnt(5)
	v_fmac_f64_e32 v[38:39], v[52:53], v[56:57]
	v_fmac_f64_e32 v[36:37], v[54:55], v[56:57]
	ds_read_b128 v[72:75], v46 offset:4112
	s_waitcnt lgkmcnt(2)
	v_fmac_f64_e32 v[34:35], v[52:53], v[64:65]
	v_fmac_f64_e32 v[32:33], v[54:55], v[64:65]
	ds_read2_b64 v[52:55], v44 offset0:64 offset1:80
	s_waitcnt lgkmcnt(2)
	v_fmac_f64_e32 v[38:39], v[68:69], v[58:59]
	v_fmac_f64_e32 v[36:37], v[70:71], v[58:59]
	ds_read2_b64 v[56:59], v44 offset0:96 offset1:112
	v_fmac_f64_e32 v[34:35], v[68:69], v[66:67]
	v_fmac_f64_e32 v[32:33], v[70:71], v[66:67]
	ds_read_b128 v[64:67], v46 offset:4144
	s_waitcnt lgkmcnt(2)
	v_fmac_f64_e32 v[38:39], v[52:53], v[60:61]
	v_fmac_f64_e32 v[36:37], v[54:55], v[60:61]
	v_fmac_f64_e32 v[34:35], v[52:53], v[72:73]
	v_fmac_f64_e32 v[32:33], v[54:55], v[72:73]
	s_waitcnt lgkmcnt(1)
	v_fmac_f64_e32 v[38:39], v[56:57], v[62:63]
	ds_read2_b64 v[52:55], v44 offset0:128 offset1:144
	v_fmac_f64_e32 v[36:37], v[58:59], v[62:63]
	v_fmac_f64_e32 v[34:35], v[56:57], v[74:75]
	;; [unrolled: 1-line block ×3, first 2 shown]
	ds_read_b128 v[56:59], v46 offset:4128
	ds_read2_b64 v[60:63], v44 offset0:160 offset1:176
	s_waitcnt lgkmcnt(2)
	v_fmac_f64_e32 v[38:39], v[52:53], v[4:5]
	v_fmac_f64_e32 v[36:37], v[54:55], v[4:5]
	v_add_u32_e32 v29, 0x800, v44
	s_waitcnt lgkmcnt(1)
	v_fmac_f64_e32 v[34:35], v[52:53], v[56:57]
	v_fmac_f64_e32 v[32:33], v[54:55], v[56:57]
	ds_read2_b64 v[52:55], v44 offset0:192 offset1:208
	s_waitcnt lgkmcnt(1)
	v_fmac_f64_e32 v[38:39], v[60:61], v[6:7]
	v_fmac_f64_e32 v[36:37], v[62:63], v[6:7]
	ds_read2_b64 v[4:7], v44 offset0:224 offset1:240
	v_fmac_f64_e32 v[34:35], v[60:61], v[58:59]
	v_fmac_f64_e32 v[32:33], v[62:63], v[58:59]
	s_waitcnt lgkmcnt(1)
	v_fmac_f64_e32 v[38:39], v[52:53], v[0:1]
	v_fmac_f64_e32 v[36:37], v[54:55], v[0:1]
	;; [unrolled: 1-line block ×4, first 2 shown]
	s_waitcnt lgkmcnt(0)
	v_fmac_f64_e32 v[38:39], v[4:5], v[2:3]
	v_fmac_f64_e32 v[36:37], v[6:7], v[2:3]
	ds_read2_b64 v[0:3], v29 offset1:16
	ds_read_b128 v[52:55], v46 offset:64
	v_fmac_f64_e32 v[34:35], v[4:5], v[66:67]
	v_fmac_f64_e32 v[32:33], v[6:7], v[66:67]
	ds_read_b128 v[4:7], v46 offset:80
	ds_read_b128 v[56:59], v46 offset:4160
	ds_read2_b64 v[60:63], v29 offset0:32 offset1:48
	s_waitcnt lgkmcnt(3)
	v_fmac_f64_e32 v[38:39], v[0:1], v[52:53]
	v_fmac_f64_e32 v[36:37], v[2:3], v[52:53]
	ds_read_b128 v[64:67], v46 offset:4176
	s_waitcnt lgkmcnt(2)
	v_fmac_f64_e32 v[34:35], v[0:1], v[56:57]
	v_fmac_f64_e32 v[32:33], v[2:3], v[56:57]
	ds_read2_b64 v[0:3], v29 offset0:64 offset1:80
	s_waitcnt lgkmcnt(2)
	v_fmac_f64_e32 v[38:39], v[60:61], v[54:55]
	v_fmac_f64_e32 v[36:37], v[62:63], v[54:55]
	ds_read2_b64 v[52:55], v29 offset0:96 offset1:112
	v_fmac_f64_e32 v[34:35], v[60:61], v[58:59]
	v_fmac_f64_e32 v[32:33], v[62:63], v[58:59]
	s_waitcnt lgkmcnt(1)
	v_fmac_f64_e32 v[38:39], v[0:1], v[4:5]
	v_fmac_f64_e32 v[36:37], v[2:3], v[4:5]
	;; [unrolled: 1-line block ×4, first 2 shown]
	s_waitcnt lgkmcnt(0)
	v_fmac_f64_e32 v[38:39], v[52:53], v[6:7]
	v_fmac_f64_e32 v[36:37], v[54:55], v[6:7]
	ds_read2_b64 v[0:3], v29 offset0:128 offset1:144
	ds_read_b128 v[4:7], v46 offset:96
	v_fmac_f64_e32 v[34:35], v[52:53], v[66:67]
	v_fmac_f64_e32 v[32:33], v[54:55], v[66:67]
	ds_read_b128 v[52:55], v46 offset:112
	ds_read_b128 v[56:59], v46 offset:4192
	ds_read2_b64 v[60:63], v29 offset0:160 offset1:176
	s_waitcnt lgkmcnt(3)
	v_fmac_f64_e32 v[38:39], v[0:1], v[4:5]
	v_fmac_f64_e32 v[36:37], v[2:3], v[4:5]
	ds_read_b128 v[64:67], v46 offset:4208
	s_waitcnt lgkmcnt(2)
	v_fmac_f64_e32 v[34:35], v[0:1], v[56:57]
	v_fmac_f64_e32 v[32:33], v[2:3], v[56:57]
	ds_read2_b64 v[0:3], v29 offset0:192 offset1:208
	s_waitcnt lgkmcnt(2)
	v_fmac_f64_e32 v[38:39], v[60:61], v[6:7]
	v_fmac_f64_e32 v[36:37], v[62:63], v[6:7]
	ds_read2_b64 v[4:7], v29 offset0:224 offset1:240
	v_fmac_f64_e32 v[34:35], v[60:61], v[58:59]
	v_fmac_f64_e32 v[32:33], v[62:63], v[58:59]
	s_waitcnt lgkmcnt(1)
	v_fmac_f64_e32 v[38:39], v[0:1], v[52:53]
	v_fmac_f64_e32 v[36:37], v[2:3], v[52:53]
	;; [unrolled: 1-line block ×4, first 2 shown]
	v_add_u32_e32 v29, 0x1000, v44
	s_waitcnt lgkmcnt(0)
	v_fmac_f64_e32 v[38:39], v[4:5], v[54:55]
	v_fmac_f64_e32 v[36:37], v[6:7], v[54:55]
	ds_read2_b64 v[0:3], v29 offset1:16
	ds_read_b128 v[52:55], v46 offset:128
	v_fmac_f64_e32 v[34:35], v[4:5], v[66:67]
	v_fmac_f64_e32 v[32:33], v[6:7], v[66:67]
	ds_read_b128 v[4:7], v46 offset:144
	ds_read_b128 v[56:59], v46 offset:4224
	ds_read2_b64 v[60:63], v29 offset0:32 offset1:48
	s_waitcnt lgkmcnt(3)
	v_fmac_f64_e32 v[38:39], v[0:1], v[52:53]
	v_fmac_f64_e32 v[36:37], v[2:3], v[52:53]
	ds_read_b128 v[64:67], v46 offset:4240
	s_waitcnt lgkmcnt(2)
	v_fmac_f64_e32 v[34:35], v[0:1], v[56:57]
	v_fmac_f64_e32 v[32:33], v[2:3], v[56:57]
	ds_read2_b64 v[0:3], v29 offset0:64 offset1:80
	s_waitcnt lgkmcnt(2)
	v_fmac_f64_e32 v[38:39], v[60:61], v[54:55]
	v_fmac_f64_e32 v[36:37], v[62:63], v[54:55]
	ds_read2_b64 v[52:55], v29 offset0:96 offset1:112
	v_fmac_f64_e32 v[34:35], v[60:61], v[58:59]
	v_fmac_f64_e32 v[32:33], v[62:63], v[58:59]
	s_waitcnt lgkmcnt(1)
	v_fmac_f64_e32 v[38:39], v[0:1], v[4:5]
	v_fmac_f64_e32 v[36:37], v[2:3], v[4:5]
	;; [unrolled: 1-line block ×4, first 2 shown]
	s_waitcnt lgkmcnt(0)
	v_fmac_f64_e32 v[38:39], v[52:53], v[6:7]
	v_fmac_f64_e32 v[36:37], v[54:55], v[6:7]
	ds_read2_b64 v[0:3], v29 offset0:128 offset1:144
	ds_read_b128 v[4:7], v46 offset:160
	v_fmac_f64_e32 v[34:35], v[52:53], v[66:67]
	v_fmac_f64_e32 v[32:33], v[54:55], v[66:67]
	ds_read_b128 v[52:55], v46 offset:176
	ds_read_b128 v[56:59], v46 offset:4256
	ds_read2_b64 v[60:63], v29 offset0:160 offset1:176
	s_waitcnt lgkmcnt(3)
	v_fmac_f64_e32 v[38:39], v[0:1], v[4:5]
	v_fmac_f64_e32 v[36:37], v[2:3], v[4:5]
	ds_read_b128 v[64:67], v46 offset:4272
	s_waitcnt lgkmcnt(2)
	v_fmac_f64_e32 v[34:35], v[0:1], v[56:57]
	v_fmac_f64_e32 v[32:33], v[2:3], v[56:57]
	ds_read2_b64 v[0:3], v29 offset0:192 offset1:208
	s_waitcnt lgkmcnt(2)
	v_fmac_f64_e32 v[38:39], v[60:61], v[6:7]
	v_fmac_f64_e32 v[36:37], v[62:63], v[6:7]
	ds_read2_b64 v[4:7], v29 offset0:224 offset1:240
	v_fmac_f64_e32 v[34:35], v[60:61], v[58:59]
	v_fmac_f64_e32 v[32:33], v[62:63], v[58:59]
	s_waitcnt lgkmcnt(1)
	v_fmac_f64_e32 v[38:39], v[0:1], v[52:53]
	v_fmac_f64_e32 v[36:37], v[2:3], v[52:53]
	;; [unrolled: 1-line block ×4, first 2 shown]
	v_add_u32_e32 v29, 0x1800, v44
	s_waitcnt lgkmcnt(0)
	v_fmac_f64_e32 v[38:39], v[4:5], v[54:55]
	v_fmac_f64_e32 v[36:37], v[6:7], v[54:55]
	ds_read2_b64 v[0:3], v29 offset1:16
	ds_read_b128 v[52:55], v46 offset:192
	v_fmac_f64_e32 v[34:35], v[4:5], v[66:67]
	v_fmac_f64_e32 v[32:33], v[6:7], v[66:67]
	ds_read_b128 v[4:7], v46 offset:208
	ds_read_b128 v[56:59], v46 offset:4288
	ds_read2_b64 v[60:63], v29 offset0:32 offset1:48
	s_waitcnt lgkmcnt(3)
	v_fmac_f64_e32 v[38:39], v[0:1], v[52:53]
	v_fmac_f64_e32 v[36:37], v[2:3], v[52:53]
	ds_read_b128 v[64:67], v46 offset:4304
	s_waitcnt lgkmcnt(2)
	v_fmac_f64_e32 v[34:35], v[0:1], v[56:57]
	v_fmac_f64_e32 v[32:33], v[2:3], v[56:57]
	ds_read2_b64 v[0:3], v29 offset0:64 offset1:80
	s_waitcnt lgkmcnt(2)
	v_fmac_f64_e32 v[38:39], v[60:61], v[54:55]
	v_fmac_f64_e32 v[36:37], v[62:63], v[54:55]
	ds_read2_b64 v[52:55], v29 offset0:96 offset1:112
	v_fmac_f64_e32 v[34:35], v[60:61], v[58:59]
	v_fmac_f64_e32 v[32:33], v[62:63], v[58:59]
	s_waitcnt lgkmcnt(1)
	v_fmac_f64_e32 v[38:39], v[0:1], v[4:5]
	v_fmac_f64_e32 v[36:37], v[2:3], v[4:5]
	;; [unrolled: 1-line block ×4, first 2 shown]
	s_waitcnt lgkmcnt(0)
	v_fmac_f64_e32 v[38:39], v[52:53], v[6:7]
	v_fmac_f64_e32 v[36:37], v[54:55], v[6:7]
	ds_read2_b64 v[0:3], v29 offset0:128 offset1:144
	ds_read_b128 v[4:7], v46 offset:224
	v_fmac_f64_e32 v[34:35], v[52:53], v[66:67]
	v_fmac_f64_e32 v[32:33], v[54:55], v[66:67]
	ds_read_b128 v[52:55], v46 offset:240
	ds_read_b128 v[56:59], v46 offset:4320
	ds_read2_b64 v[60:63], v29 offset0:160 offset1:176
	s_waitcnt lgkmcnt(3)
	v_fmac_f64_e32 v[38:39], v[0:1], v[4:5]
	v_fmac_f64_e32 v[36:37], v[2:3], v[4:5]
	ds_read_b128 v[64:67], v46 offset:4336
	s_waitcnt lgkmcnt(2)
	v_fmac_f64_e32 v[34:35], v[0:1], v[56:57]
	v_fmac_f64_e32 v[32:33], v[2:3], v[56:57]
	ds_read2_b64 v[0:3], v29 offset0:192 offset1:208
	s_waitcnt lgkmcnt(2)
	v_fmac_f64_e32 v[38:39], v[60:61], v[6:7]
	v_fmac_f64_e32 v[36:37], v[62:63], v[6:7]
	ds_read2_b64 v[4:7], v29 offset0:224 offset1:240
	s_add_u32 s26, s26, 32
	s_addc_u32 s27, s27, 0
	s_sub_i32 s10, s26, 32
	v_fmac_f64_e32 v[34:35], v[60:61], v[58:59]
	v_fmac_f64_e32 v[32:33], v[62:63], v[58:59]
	s_add_u32 s20, s20, 0x100
	s_waitcnt lgkmcnt(1)
	v_fmac_f64_e32 v[38:39], v[0:1], v[52:53]
	v_fmac_f64_e32 v[36:37], v[2:3], v[52:53]
	;; [unrolled: 1-line block ×4, first 2 shown]
	s_addc_u32 s21, s21, 0
	s_waitcnt lgkmcnt(0)
	v_fmac_f64_e32 v[38:39], v[4:5], v[54:55]
	v_fmac_f64_e32 v[36:37], v[6:7], v[54:55]
	;; [unrolled: 1-line block ×4, first 2 shown]
	s_cmp_ge_i32 s10, s50
	s_barrier
	s_cbranch_scc1 .LBB46_55
.LBB46_7:                               ;   Parent Loop BB46_4 Depth=1
                                        ; =>  This Inner Loop Header: Depth=2
	v_mov_b32_e32 v0, s27
	v_add_co_u32_e64 v2, s[10:11], s26, v8
	v_addc_co_u32_e64 v3, s[10:11], 0, v0, s[10:11]
	v_mov_b32_e32 v1, s21
	v_add_co_u32_e64 v0, s[10:11], s20, v9
	v_addc_co_u32_e64 v1, s[10:11], v13, v1, s[10:11]
	v_cmp_eq_u64_e64 s[10:11], s[26:27], v[20:21]
	v_cmp_le_i64_e64 s[12:13], s[40:41], v[2:3]
	s_and_b64 s[38:39], s[22:23], s[10:11]
	v_cmp_gt_i64_e64 s[10:11], v[2:3], v[14:15]
	s_or_b64 s[16:17], s[12:13], s[10:11]
	s_or_b64 s[16:17], s[16:17], s[38:39]
	;; [unrolled: 1-line block ×3, first 2 shown]
	s_xor_b64 s[16:17], s[16:17], -1
	s_and_saveexec_b64 s[28:29], s[16:17]
	s_xor_b64 s[16:17], exec, s[28:29]
	s_cbranch_execz .LBB46_9
; %bb.8:                                ;   in Loop: Header=BB46_7 Depth=2
	global_load_dwordx2 v[4:5], v[0:1], off
	s_waitcnt vmcnt(0)
	ds_write_b64 v45, v[4:5]
.LBB46_9:                               ;   in Loop: Header=BB46_7 Depth=2
	s_or_saveexec_b64 s[16:17], s[16:17]
	s_xor_b64 s[28:29], s[38:39], -1
	s_xor_b64 exec, exec, s[16:17]
	s_cbranch_execz .LBB46_15
; %bb.10:                               ;   in Loop: Header=BB46_7 Depth=2
	s_and_saveexec_b64 s[46:47], s[28:29]
	s_xor_b64 s[46:47], exec, s[46:47]
	s_cbranch_execz .LBB46_12
; %bb.11:                               ;   in Loop: Header=BB46_7 Depth=2
	v_mov_b32_e32 v4, v10
	v_mov_b32_e32 v5, v10
	ds_write_b64 v45, v[4:5]
.LBB46_12:                              ;   in Loop: Header=BB46_7 Depth=2
	s_andn2_saveexec_b64 s[46:47], s[46:47]
	s_cbranch_execz .LBB46_14
; %bb.13:                               ;   in Loop: Header=BB46_7 Depth=2
	ds_write_b64 v45, v[10:11]
.LBB46_14:                              ;   in Loop: Header=BB46_7 Depth=2
	s_or_b64 exec, exec, s[46:47]
.LBB46_15:                              ;   in Loop: Header=BB46_7 Depth=2
	s_or_b64 exec, exec, s[16:17]
	v_cmp_eq_u64_e64 s[16:17], s[26:27], v[22:23]
	s_and_b64 s[46:47], s[22:23], s[16:17]
	v_cmp_lt_i64_e64 s[16:17], v[16:17], v[2:3]
	s_or_b64 s[12:13], s[12:13], s[16:17]
	s_or_b64 s[12:13], s[12:13], s[46:47]
	;; [unrolled: 1-line block ×3, first 2 shown]
	s_xor_b64 s[12:13], s[12:13], -1
	s_and_saveexec_b64 s[16:17], s[12:13]
	s_xor_b64 s[16:17], exec, s[16:17]
	s_cbranch_execz .LBB46_17
; %bb.16:                               ;   in Loop: Header=BB46_7 Depth=2
	v_mov_b32_e32 v5, s21
	v_add_co_u32_e64 v4, s[12:13], s20, v48
	v_addc_co_u32_e64 v5, s[12:13], v49, v5, s[12:13]
	global_load_dwordx2 v[4:5], v[4:5], off
	s_waitcnt vmcnt(0)
	ds_write_b64 v45, v[4:5] offset:128
.LBB46_17:                              ;   in Loop: Header=BB46_7 Depth=2
	s_andn2_saveexec_b64 s[12:13], s[16:17]
	s_cbranch_execz .LBB46_23
; %bb.18:                               ;   in Loop: Header=BB46_7 Depth=2
	s_xor_b64 s[16:17], s[46:47], -1
	s_and_saveexec_b64 s[46:47], s[16:17]
	s_xor_b64 s[16:17], exec, s[46:47]
	s_cbranch_execz .LBB46_20
; %bb.19:                               ;   in Loop: Header=BB46_7 Depth=2
	v_mov_b32_e32 v4, v10
	v_mov_b32_e32 v5, v10
	ds_write_b64 v45, v[4:5] offset:128
.LBB46_20:                              ;   in Loop: Header=BB46_7 Depth=2
	s_andn2_saveexec_b64 s[16:17], s[16:17]
	s_cbranch_execz .LBB46_22
; %bb.21:                               ;   in Loop: Header=BB46_7 Depth=2
	ds_write_b64 v45, v[10:11] offset:128
.LBB46_22:                              ;   in Loop: Header=BB46_7 Depth=2
	s_or_b64 exec, exec, s[16:17]
.LBB46_23:                              ;   in Loop: Header=BB46_7 Depth=2
	s_or_b64 exec, exec, s[12:13]
	v_add_co_u32_e64 v2, s[12:13], 16, v2
	v_addc_co_u32_e64 v3, s[12:13], 0, v3, s[12:13]
	v_cmp_eq_u64_e64 s[16:17], s[26:27], v[24:25]
	v_cmp_le_i64_e64 s[12:13], s[40:41], v[2:3]
	s_and_b64 s[46:47], s[22:23], s[16:17]
	v_cmp_gt_i64_e64 s[16:17], v[2:3], v[14:15]
	s_or_b64 s[16:17], s[12:13], s[16:17]
	s_or_b64 s[16:17], s[16:17], s[46:47]
	;; [unrolled: 1-line block ×3, first 2 shown]
	s_xor_b64 s[16:17], s[16:17], -1
	s_and_saveexec_b64 s[52:53], s[16:17]
	s_xor_b64 s[16:17], exec, s[52:53]
	s_cbranch_execz .LBB46_25
; %bb.24:                               ;   in Loop: Header=BB46_7 Depth=2
	global_load_dwordx2 v[0:1], v[0:1], off offset:128
	s_waitcnt vmcnt(0)
	ds_write_b64 v45, v[0:1] offset:4096
.LBB46_25:                              ;   in Loop: Header=BB46_7 Depth=2
	s_andn2_saveexec_b64 s[16:17], s[16:17]
	s_cbranch_execz .LBB46_31
; %bb.26:                               ;   in Loop: Header=BB46_7 Depth=2
	s_xor_b64 s[46:47], s[46:47], -1
	s_and_saveexec_b64 s[52:53], s[46:47]
	s_xor_b64 s[46:47], exec, s[52:53]
	s_cbranch_execz .LBB46_28
; %bb.27:                               ;   in Loop: Header=BB46_7 Depth=2
	v_mov_b32_e32 v0, v10
	v_mov_b32_e32 v1, v10
	ds_write_b64 v45, v[0:1] offset:4096
.LBB46_28:                              ;   in Loop: Header=BB46_7 Depth=2
	s_andn2_saveexec_b64 s[46:47], s[46:47]
	s_cbranch_execz .LBB46_30
; %bb.29:                               ;   in Loop: Header=BB46_7 Depth=2
	ds_write_b64 v45, v[10:11] offset:4096
.LBB46_30:                              ;   in Loop: Header=BB46_7 Depth=2
	s_or_b64 exec, exec, s[46:47]
.LBB46_31:                              ;   in Loop: Header=BB46_7 Depth=2
	s_or_b64 exec, exec, s[16:17]
	s_or_b64 s[10:11], s[12:13], s[10:11]
	s_or_b64 s[10:11], s[10:11], s[38:39]
	;; [unrolled: 1-line block ×3, first 2 shown]
	s_xor_b64 s[10:11], s[10:11], -1
	s_and_saveexec_b64 s[12:13], s[10:11]
	s_xor_b64 s[12:13], exec, s[12:13]
	s_cbranch_execz .LBB46_33
; %bb.32:                               ;   in Loop: Header=BB46_7 Depth=2
	v_mov_b32_e32 v1, s21
	v_add_co_u32_e64 v0, s[10:11], s20, v48
	v_addc_co_u32_e64 v1, s[10:11], v49, v1, s[10:11]
	global_load_dwordx2 v[0:1], v[0:1], off offset:128
	s_waitcnt vmcnt(0)
	ds_write_b64 v45, v[0:1] offset:4224
.LBB46_33:                              ;   in Loop: Header=BB46_7 Depth=2
	s_andn2_saveexec_b64 s[10:11], s[12:13]
	s_cbranch_execz .LBB46_39
; %bb.34:                               ;   in Loop: Header=BB46_7 Depth=2
	s_and_saveexec_b64 s[12:13], s[28:29]
	s_xor_b64 s[12:13], exec, s[12:13]
	s_cbranch_execz .LBB46_36
; %bb.35:                               ;   in Loop: Header=BB46_7 Depth=2
	v_mov_b32_e32 v0, v10
	v_mov_b32_e32 v1, v10
	ds_write_b64 v45, v[0:1] offset:4224
.LBB46_36:                              ;   in Loop: Header=BB46_7 Depth=2
	s_andn2_saveexec_b64 s[12:13], s[12:13]
	s_cbranch_execz .LBB46_38
; %bb.37:                               ;   in Loop: Header=BB46_7 Depth=2
	ds_write_b64 v45, v[10:11] offset:4224
.LBB46_38:                              ;   in Loop: Header=BB46_7 Depth=2
	s_or_b64 exec, exec, s[12:13]
.LBB46_39:                              ;   in Loop: Header=BB46_7 Depth=2
	s_or_b64 exec, exec, s[10:11]
	v_mov_b32_e32 v1, s27
	v_add_co_u32_e64 v0, s[10:11], s26, v12
	v_addc_co_u32_e64 v1, s[10:11], 0, v1, s[10:11]
	v_cmp_gt_i64_e64 s[10:11], s[40:41], v[0:1]
	s_and_b64 s[12:13], vcc, s[10:11]
	s_xor_b64 s[12:13], s[12:13], -1
	s_and_saveexec_b64 s[16:17], s[12:13]
	s_xor_b64 s[12:13], exec, s[16:17]
	s_cbranch_execz .LBB46_41
; %bb.40:                               ;   in Loop: Header=BB46_7 Depth=2
	v_mov_b32_e32 v2, v10
	v_mov_b32_e32 v3, v10
	ds_write_b64 v47, v[2:3]
.LBB46_41:                              ;   in Loop: Header=BB46_7 Depth=2
	s_or_saveexec_b64 s[16:17], s[12:13]
	v_mov_b32_e32 v3, s21
	v_add_co_u32_e64 v2, s[12:13], s20, v40
	v_addc_co_u32_e64 v3, s[12:13], v41, v3, s[12:13]
	s_xor_b64 exec, exec, s[16:17]
	s_cbranch_execz .LBB46_43
; %bb.42:                               ;   in Loop: Header=BB46_7 Depth=2
	global_load_dwordx2 v[4:5], v[2:3], off offset:-128
	s_waitcnt vmcnt(0)
	ds_write_b64 v47, v[4:5]
.LBB46_43:                              ;   in Loop: Header=BB46_7 Depth=2
	s_or_b64 exec, exec, s[16:17]
	v_cmp_gt_i64_e64 s[12:13], s[42:43], v[0:1]
	s_and_b64 s[16:17], vcc, s[12:13]
	s_xor_b64 s[16:17], s[16:17], -1
	s_and_saveexec_b64 s[28:29], s[16:17]
	s_xor_b64 s[16:17], exec, s[28:29]
	s_cbranch_execz .LBB46_45
; %bb.44:                               ;   in Loop: Header=BB46_7 Depth=2
	v_mov_b32_e32 v0, v10
	v_mov_b32_e32 v1, v10
	ds_write_b64 v47, v[0:1] offset:128
                                        ; implicit-def: $vgpr2_vgpr3
.LBB46_45:                              ;   in Loop: Header=BB46_7 Depth=2
	s_andn2_saveexec_b64 s[16:17], s[16:17]
	s_cbranch_execz .LBB46_47
; %bb.46:                               ;   in Loop: Header=BB46_7 Depth=2
	global_load_dwordx2 v[0:1], v[2:3], off
	s_waitcnt vmcnt(0)
	ds_write_b64 v47, v[0:1] offset:128
.LBB46_47:                              ;   in Loop: Header=BB46_7 Depth=2
	s_or_b64 exec, exec, s[16:17]
	s_and_b64 s[10:11], s[8:9], s[10:11]
	s_xor_b64 s[10:11], s[10:11], -1
	s_and_saveexec_b64 s[16:17], s[10:11]
	s_xor_b64 s[10:11], exec, s[16:17]
	s_cbranch_execz .LBB46_49
; %bb.48:                               ;   in Loop: Header=BB46_7 Depth=2
	v_mov_b32_e32 v0, v10
	v_mov_b32_e32 v1, v10
	ds_write_b64 v47, v[0:1] offset:4096
.LBB46_49:                              ;   in Loop: Header=BB46_7 Depth=2
	s_andn2_saveexec_b64 s[16:17], s[10:11]
	s_cbranch_execz .LBB46_51
; %bb.50:                               ;   in Loop: Header=BB46_7 Depth=2
	v_mov_b32_e32 v1, s21
	v_add_co_u32_e64 v0, s[10:11], s20, v42
	v_addc_co_u32_e64 v1, s[10:11], v43, v1, s[10:11]
	global_load_dwordx2 v[0:1], v[0:1], off offset:-128
	s_waitcnt vmcnt(0)
	ds_write_b64 v47, v[0:1] offset:4096
.LBB46_51:                              ;   in Loop: Header=BB46_7 Depth=2
	s_or_b64 exec, exec, s[16:17]
	s_and_b64 s[10:11], s[8:9], s[12:13]
	s_xor_b64 s[10:11], s[10:11], -1
	s_and_saveexec_b64 s[12:13], s[10:11]
	s_xor_b64 s[10:11], exec, s[12:13]
	s_cbranch_execz .LBB46_53
; %bb.52:                               ;   in Loop: Header=BB46_7 Depth=2
	v_mov_b32_e32 v0, v10
	v_mov_b32_e32 v1, v10
	ds_write_b64 v47, v[0:1] offset:4224
.LBB46_53:                              ;   in Loop: Header=BB46_7 Depth=2
	s_andn2_saveexec_b64 s[12:13], s[10:11]
	s_cbranch_execz .LBB46_6
; %bb.54:                               ;   in Loop: Header=BB46_7 Depth=2
	v_mov_b32_e32 v1, s21
	v_add_co_u32_e64 v0, s[10:11], s20, v42
	v_addc_co_u32_e64 v1, s[10:11], v43, v1, s[10:11]
	global_load_dwordx2 v[0:1], v[0:1], off
	s_waitcnt vmcnt(0)
	ds_write_b64 v47, v[0:1] offset:4224
	s_branch .LBB46_6
.LBB46_55:                              ;   in Loop: Header=BB46_4 Depth=1
	v_mul_lo_u32 v2, v51, s44
	v_mul_lo_u32 v3, v50, s45
	v_mad_u64_u32 v[0:1], s[8:9], v50, s44, 0
	v_add3_u32 v1, v1, v3, v2
	v_lshlrev_b64 v[0:1], 3, v[0:1]
	v_mov_b32_e32 v2, s49
	v_add_co_u32_e64 v0, s[8:9], s48, v0
	v_cmp_gt_i32_e32 vcc, s30, v50
	v_addc_co_u32_e64 v1, s[8:9], v2, v1, s[8:9]
	s_and_b64 s[8:9], s[4:5], vcc
	s_and_saveexec_b64 s[10:11], s[8:9]
	s_cbranch_execz .LBB46_57
; %bb.56:                               ;   in Loop: Header=BB46_4 Depth=1
	v_add_co_u32_e64 v2, s[8:9], v0, v30
	v_addc_co_u32_e64 v3, s[8:9], v1, v31, s[8:9]
	global_load_dwordx2 v[4:5], v[2:3], off
	s_waitcnt vmcnt(0)
	v_fmac_f64_e32 v[4:5], s[34:35], v[38:39]
	global_store_dwordx2 v[2:3], v[4:5], off
.LBB46_57:                              ;   in Loop: Header=BB46_4 Depth=1
	s_or_b64 exec, exec, s[10:11]
	s_and_b64 s[10:11], s[14:15], vcc
	s_and_saveexec_b64 s[8:9], s[10:11]
	s_cbranch_execz .LBB46_59
; %bb.58:                               ;   in Loop: Header=BB46_4 Depth=1
	v_lshlrev_b64 v[2:3], 3, v[18:19]
	v_add_co_u32_e32 v0, vcc, v0, v2
	v_addc_co_u32_e32 v1, vcc, v1, v3, vcc
	global_load_dwordx2 v[2:3], v[0:1], off
	s_waitcnt vmcnt(0)
	v_fmac_f64_e32 v[2:3], s[34:35], v[36:37]
	global_store_dwordx2 v[0:1], v[2:3], off
.LBB46_59:                              ;   in Loop: Header=BB46_4 Depth=1
	s_or_b64 exec, exec, s[8:9]
	v_add_u32_e32 v0, 16, v50
	v_ashrrev_i32_e32 v1, 31, v0
	v_cmp_gt_i32_e32 vcc, s30, v0
	v_mul_lo_u32 v2, v1, s44
	v_mul_lo_u32 v3, v0, s45
	v_mad_u64_u32 v[0:1], s[8:9], v0, s44, 0
	v_add3_u32 v1, v1, v3, v2
	v_lshlrev_b64 v[0:1], 3, v[0:1]
	v_mov_b32_e32 v2, s49
	v_add_co_u32_e64 v0, s[8:9], s48, v0
	v_addc_co_u32_e64 v1, s[8:9], v2, v1, s[8:9]
	s_and_b64 s[8:9], s[4:5], vcc
	s_and_saveexec_b64 s[10:11], s[8:9]
	s_cbranch_execz .LBB46_61
; %bb.60:                               ;   in Loop: Header=BB46_4 Depth=1
	v_add_co_u32_e64 v2, s[8:9], v0, v30
	v_addc_co_u32_e64 v3, s[8:9], v1, v31, s[8:9]
	global_load_dwordx2 v[4:5], v[2:3], off
	s_waitcnt vmcnt(0)
	v_fmac_f64_e32 v[4:5], s[34:35], v[34:35]
	global_store_dwordx2 v[2:3], v[4:5], off
.LBB46_61:                              ;   in Loop: Header=BB46_4 Depth=1
	s_or_b64 exec, exec, s[10:11]
	s_and_b64 s[10:11], s[14:15], vcc
	s_and_saveexec_b64 s[8:9], s[10:11]
	s_cbranch_execz .LBB46_3
; %bb.62:                               ;   in Loop: Header=BB46_4 Depth=1
	v_lshlrev_b64 v[2:3], 3, v[18:19]
	v_add_co_u32_e32 v0, vcc, v0, v2
	v_addc_co_u32_e32 v1, vcc, v1, v3, vcc
	global_load_dwordx2 v[2:3], v[0:1], off
	s_waitcnt vmcnt(0)
	v_fmac_f64_e32 v[2:3], s[34:35], v[32:33]
	global_store_dwordx2 v[0:1], v[2:3], off
	s_branch .LBB46_3
.LBB46_63:
	s_endpgm
	.section	.rodata,"a",@progbits
	.p2align	6, 0x0
	.amdhsa_kernel _ZL30rocblas_trmm_outofplace_kernelIdLi32ELi2ELb1ELb1ELb1ELb1EPKdS0_dEv17rocblas_diagonal_iiT6_lPT7_lllS5_lllPT8_llli
		.amdhsa_group_segment_fixed_size 16384
		.amdhsa_private_segment_fixed_size 0
		.amdhsa_kernarg_size 392
		.amdhsa_user_sgpr_count 6
		.amdhsa_user_sgpr_private_segment_buffer 1
		.amdhsa_user_sgpr_dispatch_ptr 0
		.amdhsa_user_sgpr_queue_ptr 0
		.amdhsa_user_sgpr_kernarg_segment_ptr 1
		.amdhsa_user_sgpr_dispatch_id 0
		.amdhsa_user_sgpr_flat_scratch_init 0
		.amdhsa_user_sgpr_kernarg_preload_length 0
		.amdhsa_user_sgpr_kernarg_preload_offset 0
		.amdhsa_user_sgpr_private_segment_size 0
		.amdhsa_uses_dynamic_stack 0
		.amdhsa_system_sgpr_private_segment_wavefront_offset 0
		.amdhsa_system_sgpr_workgroup_id_x 1
		.amdhsa_system_sgpr_workgroup_id_y 1
		.amdhsa_system_sgpr_workgroup_id_z 1
		.amdhsa_system_sgpr_workgroup_info 0
		.amdhsa_system_vgpr_workitem_id 1
		.amdhsa_next_free_vgpr 76
		.amdhsa_next_free_sgpr 54
		.amdhsa_accum_offset 76
		.amdhsa_reserve_vcc 1
		.amdhsa_reserve_flat_scratch 0
		.amdhsa_float_round_mode_32 0
		.amdhsa_float_round_mode_16_64 0
		.amdhsa_float_denorm_mode_32 3
		.amdhsa_float_denorm_mode_16_64 3
		.amdhsa_dx10_clamp 1
		.amdhsa_ieee_mode 1
		.amdhsa_fp16_overflow 0
		.amdhsa_tg_split 0
		.amdhsa_exception_fp_ieee_invalid_op 0
		.amdhsa_exception_fp_denorm_src 0
		.amdhsa_exception_fp_ieee_div_zero 0
		.amdhsa_exception_fp_ieee_overflow 0
		.amdhsa_exception_fp_ieee_underflow 0
		.amdhsa_exception_fp_ieee_inexact 0
		.amdhsa_exception_int_div_zero 0
	.end_amdhsa_kernel
	.section	.text._ZL30rocblas_trmm_outofplace_kernelIdLi32ELi2ELb1ELb1ELb1ELb1EPKdS0_dEv17rocblas_diagonal_iiT6_lPT7_lllS5_lllPT8_llli,"axG",@progbits,_ZL30rocblas_trmm_outofplace_kernelIdLi32ELi2ELb1ELb1ELb1ELb1EPKdS0_dEv17rocblas_diagonal_iiT6_lPT7_lllS5_lllPT8_llli,comdat
.Lfunc_end46:
	.size	_ZL30rocblas_trmm_outofplace_kernelIdLi32ELi2ELb1ELb1ELb1ELb1EPKdS0_dEv17rocblas_diagonal_iiT6_lPT7_lllS5_lllPT8_llli, .Lfunc_end46-_ZL30rocblas_trmm_outofplace_kernelIdLi32ELi2ELb1ELb1ELb1ELb1EPKdS0_dEv17rocblas_diagonal_iiT6_lPT7_lllS5_lllPT8_llli
                                        ; -- End function
	.section	.AMDGPU.csdata,"",@progbits
; Kernel info:
; codeLenInByte = 3460
; NumSgprs: 58
; NumVgprs: 76
; NumAgprs: 0
; TotalNumVgprs: 76
; ScratchSize: 0
; MemoryBound: 1
; FloatMode: 240
; IeeeMode: 1
; LDSByteSize: 16384 bytes/workgroup (compile time only)
; SGPRBlocks: 7
; VGPRBlocks: 9
; NumSGPRsForWavesPerEU: 58
; NumVGPRsForWavesPerEU: 76
; AccumOffset: 76
; Occupancy: 6
; WaveLimiterHint : 0
; COMPUTE_PGM_RSRC2:SCRATCH_EN: 0
; COMPUTE_PGM_RSRC2:USER_SGPR: 6
; COMPUTE_PGM_RSRC2:TRAP_HANDLER: 0
; COMPUTE_PGM_RSRC2:TGID_X_EN: 1
; COMPUTE_PGM_RSRC2:TGID_Y_EN: 1
; COMPUTE_PGM_RSRC2:TGID_Z_EN: 1
; COMPUTE_PGM_RSRC2:TIDIG_COMP_CNT: 1
; COMPUTE_PGM_RSRC3_GFX90A:ACCUM_OFFSET: 18
; COMPUTE_PGM_RSRC3_GFX90A:TG_SPLIT: 0
	.section	.text._ZL30rocblas_trmm_outofplace_kernelIdLi32ELi2ELb1ELb1ELb1ELb1EdKddEv17rocblas_diagonal_iiT6_lPT7_lllS4_lllPT8_llli,"axG",@progbits,_ZL30rocblas_trmm_outofplace_kernelIdLi32ELi2ELb1ELb1ELb1ELb1EdKddEv17rocblas_diagonal_iiT6_lPT7_lllS4_lllPT8_llli,comdat
	.globl	_ZL30rocblas_trmm_outofplace_kernelIdLi32ELi2ELb1ELb1ELb1ELb1EdKddEv17rocblas_diagonal_iiT6_lPT7_lllS4_lllPT8_llli ; -- Begin function _ZL30rocblas_trmm_outofplace_kernelIdLi32ELi2ELb1ELb1ELb1ELb1EdKddEv17rocblas_diagonal_iiT6_lPT7_lllS4_lllPT8_llli
	.p2align	8
	.type	_ZL30rocblas_trmm_outofplace_kernelIdLi32ELi2ELb1ELb1ELb1ELb1EdKddEv17rocblas_diagonal_iiT6_lPT7_lllS4_lllPT8_llli,@function
_ZL30rocblas_trmm_outofplace_kernelIdLi32ELi2ELb1ELb1ELb1ELb1EdKddEv17rocblas_diagonal_iiT6_lPT7_lllS4_lllPT8_llli: ; @_ZL30rocblas_trmm_outofplace_kernelIdLi32ELi2ELb1ELb1ELb1ELb1EdKddEv17rocblas_diagonal_iiT6_lPT7_lllS4_lllPT8_llli
; %bb.0:
	s_load_dwordx2 s[34:35], s[4:5], 0x10
	s_waitcnt lgkmcnt(0)
	v_cmp_eq_f64_e64 s[0:1], s[34:35], 0
	s_and_b64 vcc, exec, s[0:1]
	s_cbranch_vccnz .LBB47_63
; %bb.1:
	s_load_dwordx4 s[28:31], s[4:5], 0x0
	s_waitcnt lgkmcnt(0)
	s_add_i32 s0, s30, -1
	s_ashr_i32 s1, s0, 31
	s_lshr_b32 s1, s1, 27
	s_add_i32 s0, s0, s1
	s_ashr_i32 s31, s0, 5
	s_cmp_gt_i32 s7, s31
	s_cbranch_scc1 .LBB47_63
; %bb.2:
	s_load_dwordx16 s[12:27], s[4:5], 0x20
	s_load_dwordx8 s[36:43], s[4:5], 0x60
	v_and_b32_e32 v12, 0x3ff, v0
	v_bfe_u32 v8, v0, 10, 10
	s_load_dword s50, s[4:5], 0x8c
	s_waitcnt lgkmcnt(0)
	s_mul_i32 s1, s8, s19
	s_mul_hi_u32 s2, s8, s18
	s_mul_i32 s0, s8, s18
	s_add_i32 s1, s2, s1
	s_lshl_b64 s[10:11], s[0:1], 3
	s_add_u32 s0, s12, s10
	s_addc_u32 s1, s13, s11
	s_lshl_b64 s[44:45], s[14:15], 3
	s_add_u32 s2, s0, s44
	s_addc_u32 s3, s1, s45
	s_mul_i32 s0, s8, s43
	s_mul_hi_u32 s1, s8, s42
	s_add_i32 s1, s1, s0
	s_mul_i32 s0, s8, s42
	s_lshl_b64 s[0:1], s[0:1], 3
	s_add_u32 s9, s36, s0
	s_addc_u32 s14, s37, s1
	s_lshl_b64 s[0:1], s[38:39], 3
	s_add_u32 s33, s9, s0
	s_addc_u32 s48, s14, s1
	s_lshl_b32 s49, s6, 5
	v_add_u32_e32 v14, s49, v12
	v_ashrrev_i32_e32 v15, 31, v14
	v_mul_lo_u32 v2, v15, s16
	v_mul_lo_u32 v3, v14, s17
	v_mad_u64_u32 v[0:1], s[0:1], v14, s16, 0
	v_add3_u32 v1, v1, v3, v2
	v_lshlrev_b64 v[0:1], 3, v[0:1]
	v_mov_b32_e32 v2, s3
	v_add_co_u32_e32 v0, vcc, s2, v0
	v_addc_co_u32_e32 v1, vcc, v2, v1, vcc
	v_lshlrev_b32_e32 v2, 3, v8
	v_add_co_u32_e32 v9, vcc, v0, v2
	s_cmp_gt_i32 s6, -1
	v_addc_co_u32_e32 v13, vcc, 0, v1, vcc
	s_cselect_b64 s[18:19], -1, 0
	s_cmpk_eq_i32 s28, 0x84
	s_cselect_b64 s[36:37], -1, 0
	s_ashr_i32 s39, s29, 31
	s_ashr_i32 s6, s30, 31
	v_add_co_u32_e32 v16, vcc, 16, v14
	v_addc_co_u32_e32 v17, vcc, 0, v15, vcc
	s_add_u32 s42, s29, -16
	s_mul_i32 s9, s27, s8
	s_mul_hi_u32 s27, s26, s8
	s_addc_u32 s43, s39, -1
	v_sub_co_u32_e32 v20, vcc, v14, v8
	s_add_i32 s9, s27, s9
	s_mul_i32 s8, s26, s8
	v_subbrev_co_u32_e32 v21, vcc, 0, v15, vcc
	s_lshl_b64 s[8:9], s[8:9], 3
	s_lshl_b64 s[22:23], s[22:23], 3
	v_add_co_u32_e32 v22, vcc, 16, v20
	s_add_u32 s8, s8, s22
	v_addc_co_u32_e32 v23, vcc, 0, v21, vcc
	s_addc_u32 s9, s9, s23
	v_add_co_u32_e32 v24, vcc, -16, v20
	s_add_u32 s8, s20, s8
	v_lshlrev_b32_e32 v0, 8, v8
	v_lshlrev_b32_e32 v44, 3, v12
	v_addc_co_u32_e32 v25, vcc, -1, v21, vcc
	s_addc_u32 s9, s21, s9
	v_add_u32_e32 v45, v44, v0
	v_add_u32_e32 v46, 0x2000, v0
	v_mov_b32_e32 v0, s9
	v_add_co_u32_e32 v1, vcc, s8, v44
	v_addc_co_u32_e32 v0, vcc, 0, v0, vcc
	s_movk_i32 s8, 0x80
	v_add_co_u32_e32 v26, vcc, s8, v1
	v_addc_co_u32_e32 v27, vcc, 0, v0, vcc
	s_lshl_b64 s[20:21], s[24:25], 3
	s_lshl_b32 s51, s50, 5
	v_lshlrev_b64 v[30:31], 3, v[14:15]
	v_add_co_u32_e32 v3, vcc, s8, v30
	s_add_u32 s8, s44, s10
	v_addc_co_u32_e32 v0, vcc, 0, v31, vcc
	s_addc_u32 s9, s45, s11
	v_mul_lo_u32 v4, s16, v0
	v_pk_mov_b32 v[0:1], s[8:9], s[8:9] op_sel:[0,1]
	v_mul_lo_u32 v5, s17, v3
	v_mad_u64_u32 v[0:1], s[8:9], s16, v3, v[0:1]
	v_add3_u32 v1, v5, v1, v4
	v_add_co_u32_e32 v0, vcc, v0, v2
	v_addc_co_u32_e32 v1, vcc, 0, v1, vcc
	s_mov_b32 s38, s29
	v_add_u32_e32 v18, 16, v14
	v_mov_b32_e32 v2, s13
	v_add_co_u32_e32 v48, vcc, s12, v0
	v_mov_b32_e32 v10, 0
	v_cmp_le_i32_e64 s[0:1], s29, v14
	v_cmp_le_i64_e64 s[2:3], s[38:39], v[16:17]
	v_add_u32_e32 v47, v46, v44
	v_cmp_gt_i32_e64 s[4:5], s29, v14
	v_cmp_gt_i32_e64 s[14:15], s29, v18
	v_ashrrev_i32_e32 v19, 31, v18
	v_lshl_add_u32 v28, s7, 5, v8
	v_addc_co_u32_e32 v49, vcc, v2, v1, vcc
	v_mov_b32_e32 v11, 0x3ff00000
	s_branch .LBB47_4
.LBB47_3:                               ;   in Loop: Header=BB47_4 Depth=1
	s_or_b64 exec, exec, s[8:9]
	s_add_i32 s7, s50, s7
	s_cmp_le_i32 s7, s31
	v_add_u32_e32 v28, s51, v28
	s_cbranch_scc0 .LBB47_63
.LBB47_4:                               ; =>This Loop Header: Depth=1
                                        ;     Child Loop BB47_7 Depth 2
	v_lshl_add_u32 v50, s7, 5, v8
	v_pk_mov_b32 v[38:39], 0, 0
	v_ashrrev_i32_e32 v51, 31, v50
	s_mov_b64 s[22:23], 0
	s_andn2_b64 vcc, exec, s[18:19]
	v_pk_mov_b32 v[36:37], v[38:39], v[38:39] op_sel:[0,1]
	v_pk_mov_b32 v[34:35], v[38:39], v[38:39] op_sel:[0,1]
	v_pk_mov_b32 v[32:33], v[38:39], v[38:39] op_sel:[0,1]
	s_cbranch_vccnz .LBB47_55
; %bb.5:                                ;   in Loop: Header=BB47_4 Depth=1
	v_ashrrev_i32_e32 v29, 31, v28
	v_mad_u64_u32 v[40:41], s[8:9], s20, v28, v[26:27]
	v_mul_lo_u32 v0, s21, v28
	v_mul_lo_u32 v1, s20, v29
	v_add3_u32 v41, v0, v41, v1
	v_lshlrev_b64 v[0:1], 3, v[28:29]
	v_add_co_u32_e32 v0, vcc, 0x80, v0
	v_addc_co_u32_e32 v1, vcc, 0, v1, vcc
	v_mul_lo_u32 v1, s24, v1
	v_mul_lo_u32 v2, s25, v0
	v_mad_u64_u32 v[42:43], s[8:9], s24, v0, v[26:27]
	v_add3_u32 v43, v2, v43, v1
	v_mov_b32_e32 v1, s6
	v_sub_co_u32_e32 v0, vcc, s30, v50
	v_subb_co_u32_e32 v1, vcc, v1, v51, vcc
	v_pk_mov_b32 v[32:33], 0, 0
	v_cmp_lt_i64_e32 vcc, 0, v[0:1]
	v_cmp_lt_i64_e64 s[8:9], 16, v[0:1]
	s_mov_b64 s[26:27], 0
	v_pk_mov_b32 v[34:35], v[32:33], v[32:33] op_sel:[0,1]
	v_pk_mov_b32 v[36:37], v[32:33], v[32:33] op_sel:[0,1]
	;; [unrolled: 1-line block ×3, first 2 shown]
	s_branch .LBB47_7
.LBB47_6:                               ;   in Loop: Header=BB47_7 Depth=2
	s_or_b64 exec, exec, s[12:13]
	s_waitcnt lgkmcnt(0)
	s_barrier
	ds_read2_b64 v[52:55], v44 offset1:16
	ds_read_b128 v[56:59], v46
	ds_read_b128 v[60:63], v46 offset:16
	ds_read_b128 v[4:7], v46 offset:32
	;; [unrolled: 1-line block ×4, first 2 shown]
	ds_read2_b64 v[68:71], v44 offset0:32 offset1:48
	s_waitcnt lgkmcnt(5)
	v_fmac_f64_e32 v[38:39], v[52:53], v[56:57]
	v_fmac_f64_e32 v[36:37], v[54:55], v[56:57]
	ds_read_b128 v[72:75], v46 offset:4112
	s_waitcnt lgkmcnt(2)
	v_fmac_f64_e32 v[34:35], v[52:53], v[64:65]
	v_fmac_f64_e32 v[32:33], v[54:55], v[64:65]
	ds_read2_b64 v[52:55], v44 offset0:64 offset1:80
	s_waitcnt lgkmcnt(2)
	v_fmac_f64_e32 v[38:39], v[68:69], v[58:59]
	v_fmac_f64_e32 v[36:37], v[70:71], v[58:59]
	ds_read2_b64 v[56:59], v44 offset0:96 offset1:112
	v_fmac_f64_e32 v[34:35], v[68:69], v[66:67]
	v_fmac_f64_e32 v[32:33], v[70:71], v[66:67]
	ds_read_b128 v[64:67], v46 offset:4144
	s_waitcnt lgkmcnt(2)
	v_fmac_f64_e32 v[38:39], v[52:53], v[60:61]
	v_fmac_f64_e32 v[36:37], v[54:55], v[60:61]
	v_fmac_f64_e32 v[34:35], v[52:53], v[72:73]
	v_fmac_f64_e32 v[32:33], v[54:55], v[72:73]
	s_waitcnt lgkmcnt(1)
	v_fmac_f64_e32 v[38:39], v[56:57], v[62:63]
	ds_read2_b64 v[52:55], v44 offset0:128 offset1:144
	v_fmac_f64_e32 v[36:37], v[58:59], v[62:63]
	v_fmac_f64_e32 v[34:35], v[56:57], v[74:75]
	;; [unrolled: 1-line block ×3, first 2 shown]
	ds_read_b128 v[56:59], v46 offset:4128
	ds_read2_b64 v[60:63], v44 offset0:160 offset1:176
	s_waitcnt lgkmcnt(2)
	v_fmac_f64_e32 v[38:39], v[52:53], v[4:5]
	v_fmac_f64_e32 v[36:37], v[54:55], v[4:5]
	v_add_u32_e32 v29, 0x800, v44
	s_waitcnt lgkmcnt(1)
	v_fmac_f64_e32 v[34:35], v[52:53], v[56:57]
	v_fmac_f64_e32 v[32:33], v[54:55], v[56:57]
	ds_read2_b64 v[52:55], v44 offset0:192 offset1:208
	s_waitcnt lgkmcnt(1)
	v_fmac_f64_e32 v[38:39], v[60:61], v[6:7]
	v_fmac_f64_e32 v[36:37], v[62:63], v[6:7]
	ds_read2_b64 v[4:7], v44 offset0:224 offset1:240
	v_fmac_f64_e32 v[34:35], v[60:61], v[58:59]
	v_fmac_f64_e32 v[32:33], v[62:63], v[58:59]
	s_waitcnt lgkmcnt(1)
	v_fmac_f64_e32 v[38:39], v[52:53], v[0:1]
	v_fmac_f64_e32 v[36:37], v[54:55], v[0:1]
	;; [unrolled: 1-line block ×4, first 2 shown]
	s_waitcnt lgkmcnt(0)
	v_fmac_f64_e32 v[38:39], v[4:5], v[2:3]
	v_fmac_f64_e32 v[36:37], v[6:7], v[2:3]
	ds_read2_b64 v[0:3], v29 offset1:16
	ds_read_b128 v[52:55], v46 offset:64
	v_fmac_f64_e32 v[34:35], v[4:5], v[66:67]
	v_fmac_f64_e32 v[32:33], v[6:7], v[66:67]
	ds_read_b128 v[4:7], v46 offset:80
	ds_read_b128 v[56:59], v46 offset:4160
	ds_read2_b64 v[60:63], v29 offset0:32 offset1:48
	s_waitcnt lgkmcnt(3)
	v_fmac_f64_e32 v[38:39], v[0:1], v[52:53]
	v_fmac_f64_e32 v[36:37], v[2:3], v[52:53]
	ds_read_b128 v[64:67], v46 offset:4176
	s_waitcnt lgkmcnt(2)
	v_fmac_f64_e32 v[34:35], v[0:1], v[56:57]
	v_fmac_f64_e32 v[32:33], v[2:3], v[56:57]
	ds_read2_b64 v[0:3], v29 offset0:64 offset1:80
	s_waitcnt lgkmcnt(2)
	v_fmac_f64_e32 v[38:39], v[60:61], v[54:55]
	v_fmac_f64_e32 v[36:37], v[62:63], v[54:55]
	ds_read2_b64 v[52:55], v29 offset0:96 offset1:112
	v_fmac_f64_e32 v[34:35], v[60:61], v[58:59]
	v_fmac_f64_e32 v[32:33], v[62:63], v[58:59]
	s_waitcnt lgkmcnt(1)
	v_fmac_f64_e32 v[38:39], v[0:1], v[4:5]
	v_fmac_f64_e32 v[36:37], v[2:3], v[4:5]
	;; [unrolled: 1-line block ×4, first 2 shown]
	s_waitcnt lgkmcnt(0)
	v_fmac_f64_e32 v[38:39], v[52:53], v[6:7]
	v_fmac_f64_e32 v[36:37], v[54:55], v[6:7]
	ds_read2_b64 v[0:3], v29 offset0:128 offset1:144
	ds_read_b128 v[4:7], v46 offset:96
	v_fmac_f64_e32 v[34:35], v[52:53], v[66:67]
	v_fmac_f64_e32 v[32:33], v[54:55], v[66:67]
	ds_read_b128 v[52:55], v46 offset:112
	ds_read_b128 v[56:59], v46 offset:4192
	ds_read2_b64 v[60:63], v29 offset0:160 offset1:176
	s_waitcnt lgkmcnt(3)
	v_fmac_f64_e32 v[38:39], v[0:1], v[4:5]
	v_fmac_f64_e32 v[36:37], v[2:3], v[4:5]
	ds_read_b128 v[64:67], v46 offset:4208
	s_waitcnt lgkmcnt(2)
	v_fmac_f64_e32 v[34:35], v[0:1], v[56:57]
	v_fmac_f64_e32 v[32:33], v[2:3], v[56:57]
	ds_read2_b64 v[0:3], v29 offset0:192 offset1:208
	s_waitcnt lgkmcnt(2)
	v_fmac_f64_e32 v[38:39], v[60:61], v[6:7]
	v_fmac_f64_e32 v[36:37], v[62:63], v[6:7]
	ds_read2_b64 v[4:7], v29 offset0:224 offset1:240
	v_fmac_f64_e32 v[34:35], v[60:61], v[58:59]
	v_fmac_f64_e32 v[32:33], v[62:63], v[58:59]
	s_waitcnt lgkmcnt(1)
	v_fmac_f64_e32 v[38:39], v[0:1], v[52:53]
	v_fmac_f64_e32 v[36:37], v[2:3], v[52:53]
	;; [unrolled: 1-line block ×4, first 2 shown]
	v_add_u32_e32 v29, 0x1000, v44
	s_waitcnt lgkmcnt(0)
	v_fmac_f64_e32 v[38:39], v[4:5], v[54:55]
	v_fmac_f64_e32 v[36:37], v[6:7], v[54:55]
	ds_read2_b64 v[0:3], v29 offset1:16
	ds_read_b128 v[52:55], v46 offset:128
	v_fmac_f64_e32 v[34:35], v[4:5], v[66:67]
	v_fmac_f64_e32 v[32:33], v[6:7], v[66:67]
	ds_read_b128 v[4:7], v46 offset:144
	ds_read_b128 v[56:59], v46 offset:4224
	ds_read2_b64 v[60:63], v29 offset0:32 offset1:48
	s_waitcnt lgkmcnt(3)
	v_fmac_f64_e32 v[38:39], v[0:1], v[52:53]
	v_fmac_f64_e32 v[36:37], v[2:3], v[52:53]
	ds_read_b128 v[64:67], v46 offset:4240
	s_waitcnt lgkmcnt(2)
	v_fmac_f64_e32 v[34:35], v[0:1], v[56:57]
	v_fmac_f64_e32 v[32:33], v[2:3], v[56:57]
	ds_read2_b64 v[0:3], v29 offset0:64 offset1:80
	s_waitcnt lgkmcnt(2)
	v_fmac_f64_e32 v[38:39], v[60:61], v[54:55]
	v_fmac_f64_e32 v[36:37], v[62:63], v[54:55]
	ds_read2_b64 v[52:55], v29 offset0:96 offset1:112
	v_fmac_f64_e32 v[34:35], v[60:61], v[58:59]
	v_fmac_f64_e32 v[32:33], v[62:63], v[58:59]
	s_waitcnt lgkmcnt(1)
	v_fmac_f64_e32 v[38:39], v[0:1], v[4:5]
	v_fmac_f64_e32 v[36:37], v[2:3], v[4:5]
	;; [unrolled: 1-line block ×4, first 2 shown]
	s_waitcnt lgkmcnt(0)
	v_fmac_f64_e32 v[38:39], v[52:53], v[6:7]
	v_fmac_f64_e32 v[36:37], v[54:55], v[6:7]
	ds_read2_b64 v[0:3], v29 offset0:128 offset1:144
	ds_read_b128 v[4:7], v46 offset:160
	v_fmac_f64_e32 v[34:35], v[52:53], v[66:67]
	v_fmac_f64_e32 v[32:33], v[54:55], v[66:67]
	ds_read_b128 v[52:55], v46 offset:176
	ds_read_b128 v[56:59], v46 offset:4256
	ds_read2_b64 v[60:63], v29 offset0:160 offset1:176
	s_waitcnt lgkmcnt(3)
	v_fmac_f64_e32 v[38:39], v[0:1], v[4:5]
	v_fmac_f64_e32 v[36:37], v[2:3], v[4:5]
	ds_read_b128 v[64:67], v46 offset:4272
	s_waitcnt lgkmcnt(2)
	v_fmac_f64_e32 v[34:35], v[0:1], v[56:57]
	v_fmac_f64_e32 v[32:33], v[2:3], v[56:57]
	ds_read2_b64 v[0:3], v29 offset0:192 offset1:208
	s_waitcnt lgkmcnt(2)
	v_fmac_f64_e32 v[38:39], v[60:61], v[6:7]
	v_fmac_f64_e32 v[36:37], v[62:63], v[6:7]
	ds_read2_b64 v[4:7], v29 offset0:224 offset1:240
	v_fmac_f64_e32 v[34:35], v[60:61], v[58:59]
	v_fmac_f64_e32 v[32:33], v[62:63], v[58:59]
	s_waitcnt lgkmcnt(1)
	v_fmac_f64_e32 v[38:39], v[0:1], v[52:53]
	v_fmac_f64_e32 v[36:37], v[2:3], v[52:53]
	;; [unrolled: 1-line block ×4, first 2 shown]
	v_add_u32_e32 v29, 0x1800, v44
	s_waitcnt lgkmcnt(0)
	v_fmac_f64_e32 v[38:39], v[4:5], v[54:55]
	v_fmac_f64_e32 v[36:37], v[6:7], v[54:55]
	ds_read2_b64 v[0:3], v29 offset1:16
	ds_read_b128 v[52:55], v46 offset:192
	v_fmac_f64_e32 v[34:35], v[4:5], v[66:67]
	v_fmac_f64_e32 v[32:33], v[6:7], v[66:67]
	ds_read_b128 v[4:7], v46 offset:208
	ds_read_b128 v[56:59], v46 offset:4288
	ds_read2_b64 v[60:63], v29 offset0:32 offset1:48
	s_waitcnt lgkmcnt(3)
	v_fmac_f64_e32 v[38:39], v[0:1], v[52:53]
	v_fmac_f64_e32 v[36:37], v[2:3], v[52:53]
	ds_read_b128 v[64:67], v46 offset:4304
	s_waitcnt lgkmcnt(2)
	v_fmac_f64_e32 v[34:35], v[0:1], v[56:57]
	v_fmac_f64_e32 v[32:33], v[2:3], v[56:57]
	ds_read2_b64 v[0:3], v29 offset0:64 offset1:80
	s_waitcnt lgkmcnt(2)
	v_fmac_f64_e32 v[38:39], v[60:61], v[54:55]
	v_fmac_f64_e32 v[36:37], v[62:63], v[54:55]
	ds_read2_b64 v[52:55], v29 offset0:96 offset1:112
	v_fmac_f64_e32 v[34:35], v[60:61], v[58:59]
	v_fmac_f64_e32 v[32:33], v[62:63], v[58:59]
	s_waitcnt lgkmcnt(1)
	v_fmac_f64_e32 v[38:39], v[0:1], v[4:5]
	v_fmac_f64_e32 v[36:37], v[2:3], v[4:5]
	;; [unrolled: 1-line block ×4, first 2 shown]
	s_waitcnt lgkmcnt(0)
	v_fmac_f64_e32 v[38:39], v[52:53], v[6:7]
	v_fmac_f64_e32 v[36:37], v[54:55], v[6:7]
	ds_read2_b64 v[0:3], v29 offset0:128 offset1:144
	ds_read_b128 v[4:7], v46 offset:224
	v_fmac_f64_e32 v[34:35], v[52:53], v[66:67]
	v_fmac_f64_e32 v[32:33], v[54:55], v[66:67]
	ds_read_b128 v[52:55], v46 offset:240
	ds_read_b128 v[56:59], v46 offset:4320
	ds_read2_b64 v[60:63], v29 offset0:160 offset1:176
	s_waitcnt lgkmcnt(3)
	v_fmac_f64_e32 v[38:39], v[0:1], v[4:5]
	v_fmac_f64_e32 v[36:37], v[2:3], v[4:5]
	ds_read_b128 v[64:67], v46 offset:4336
	s_waitcnt lgkmcnt(2)
	v_fmac_f64_e32 v[34:35], v[0:1], v[56:57]
	v_fmac_f64_e32 v[32:33], v[2:3], v[56:57]
	ds_read2_b64 v[0:3], v29 offset0:192 offset1:208
	s_waitcnt lgkmcnt(2)
	v_fmac_f64_e32 v[38:39], v[60:61], v[6:7]
	v_fmac_f64_e32 v[36:37], v[62:63], v[6:7]
	ds_read2_b64 v[4:7], v29 offset0:224 offset1:240
	s_add_u32 s26, s26, 32
	s_addc_u32 s27, s27, 0
	s_sub_i32 s10, s26, 32
	v_fmac_f64_e32 v[34:35], v[60:61], v[58:59]
	v_fmac_f64_e32 v[32:33], v[62:63], v[58:59]
	s_add_u32 s22, s22, 0x100
	s_waitcnt lgkmcnt(1)
	v_fmac_f64_e32 v[38:39], v[0:1], v[52:53]
	v_fmac_f64_e32 v[36:37], v[2:3], v[52:53]
	;; [unrolled: 1-line block ×4, first 2 shown]
	s_addc_u32 s23, s23, 0
	s_waitcnt lgkmcnt(0)
	v_fmac_f64_e32 v[38:39], v[4:5], v[54:55]
	v_fmac_f64_e32 v[36:37], v[6:7], v[54:55]
	;; [unrolled: 1-line block ×4, first 2 shown]
	s_cmp_ge_i32 s10, s49
	s_barrier
	s_cbranch_scc1 .LBB47_55
.LBB47_7:                               ;   Parent Loop BB47_4 Depth=1
                                        ; =>  This Inner Loop Header: Depth=2
	v_mov_b32_e32 v0, s27
	v_add_co_u32_e64 v2, s[10:11], s26, v8
	v_addc_co_u32_e64 v3, s[10:11], 0, v0, s[10:11]
	v_mov_b32_e32 v1, s23
	v_add_co_u32_e64 v0, s[10:11], s22, v9
	v_addc_co_u32_e64 v1, s[10:11], v13, v1, s[10:11]
	v_cmp_eq_u64_e64 s[10:11], s[26:27], v[20:21]
	v_cmp_le_i64_e64 s[12:13], s[38:39], v[2:3]
	s_and_b64 s[44:45], s[36:37], s[10:11]
	v_cmp_gt_i64_e64 s[10:11], v[2:3], v[14:15]
	s_or_b64 s[16:17], s[12:13], s[10:11]
	s_or_b64 s[16:17], s[16:17], s[44:45]
	;; [unrolled: 1-line block ×3, first 2 shown]
	s_xor_b64 s[16:17], s[16:17], -1
	s_and_saveexec_b64 s[28:29], s[16:17]
	s_xor_b64 s[16:17], exec, s[28:29]
	s_cbranch_execz .LBB47_9
; %bb.8:                                ;   in Loop: Header=BB47_7 Depth=2
	global_load_dwordx2 v[4:5], v[0:1], off
	s_waitcnt vmcnt(0)
	ds_write_b64 v45, v[4:5]
.LBB47_9:                               ;   in Loop: Header=BB47_7 Depth=2
	s_or_saveexec_b64 s[16:17], s[16:17]
	s_xor_b64 s[28:29], s[44:45], -1
	s_xor_b64 exec, exec, s[16:17]
	s_cbranch_execz .LBB47_15
; %bb.10:                               ;   in Loop: Header=BB47_7 Depth=2
	s_and_saveexec_b64 s[46:47], s[28:29]
	s_xor_b64 s[46:47], exec, s[46:47]
	s_cbranch_execz .LBB47_12
; %bb.11:                               ;   in Loop: Header=BB47_7 Depth=2
	v_mov_b32_e32 v4, v10
	v_mov_b32_e32 v5, v10
	ds_write_b64 v45, v[4:5]
.LBB47_12:                              ;   in Loop: Header=BB47_7 Depth=2
	s_andn2_saveexec_b64 s[46:47], s[46:47]
	s_cbranch_execz .LBB47_14
; %bb.13:                               ;   in Loop: Header=BB47_7 Depth=2
	ds_write_b64 v45, v[10:11]
.LBB47_14:                              ;   in Loop: Header=BB47_7 Depth=2
	s_or_b64 exec, exec, s[46:47]
.LBB47_15:                              ;   in Loop: Header=BB47_7 Depth=2
	s_or_b64 exec, exec, s[16:17]
	v_cmp_eq_u64_e64 s[16:17], s[26:27], v[22:23]
	s_and_b64 s[46:47], s[36:37], s[16:17]
	v_cmp_lt_i64_e64 s[16:17], v[16:17], v[2:3]
	s_or_b64 s[12:13], s[12:13], s[16:17]
	s_or_b64 s[12:13], s[12:13], s[46:47]
	s_or_b64 s[12:13], s[2:3], s[12:13]
	s_xor_b64 s[12:13], s[12:13], -1
	s_and_saveexec_b64 s[16:17], s[12:13]
	s_xor_b64 s[16:17], exec, s[16:17]
	s_cbranch_execz .LBB47_17
; %bb.16:                               ;   in Loop: Header=BB47_7 Depth=2
	v_mov_b32_e32 v5, s23
	v_add_co_u32_e64 v4, s[12:13], s22, v48
	v_addc_co_u32_e64 v5, s[12:13], v49, v5, s[12:13]
	global_load_dwordx2 v[4:5], v[4:5], off
	s_waitcnt vmcnt(0)
	ds_write_b64 v45, v[4:5] offset:128
.LBB47_17:                              ;   in Loop: Header=BB47_7 Depth=2
	s_andn2_saveexec_b64 s[12:13], s[16:17]
	s_cbranch_execz .LBB47_23
; %bb.18:                               ;   in Loop: Header=BB47_7 Depth=2
	s_xor_b64 s[16:17], s[46:47], -1
	s_and_saveexec_b64 s[46:47], s[16:17]
	s_xor_b64 s[16:17], exec, s[46:47]
	s_cbranch_execz .LBB47_20
; %bb.19:                               ;   in Loop: Header=BB47_7 Depth=2
	v_mov_b32_e32 v4, v10
	v_mov_b32_e32 v5, v10
	ds_write_b64 v45, v[4:5] offset:128
.LBB47_20:                              ;   in Loop: Header=BB47_7 Depth=2
	s_andn2_saveexec_b64 s[16:17], s[16:17]
	s_cbranch_execz .LBB47_22
; %bb.21:                               ;   in Loop: Header=BB47_7 Depth=2
	ds_write_b64 v45, v[10:11] offset:128
.LBB47_22:                              ;   in Loop: Header=BB47_7 Depth=2
	s_or_b64 exec, exec, s[16:17]
.LBB47_23:                              ;   in Loop: Header=BB47_7 Depth=2
	s_or_b64 exec, exec, s[12:13]
	v_add_co_u32_e64 v2, s[12:13], 16, v2
	v_addc_co_u32_e64 v3, s[12:13], 0, v3, s[12:13]
	v_cmp_eq_u64_e64 s[16:17], s[26:27], v[24:25]
	v_cmp_le_i64_e64 s[12:13], s[38:39], v[2:3]
	s_and_b64 s[46:47], s[36:37], s[16:17]
	v_cmp_gt_i64_e64 s[16:17], v[2:3], v[14:15]
	s_or_b64 s[16:17], s[12:13], s[16:17]
	s_or_b64 s[16:17], s[16:17], s[46:47]
	;; [unrolled: 1-line block ×3, first 2 shown]
	s_xor_b64 s[16:17], s[16:17], -1
	s_and_saveexec_b64 s[52:53], s[16:17]
	s_xor_b64 s[16:17], exec, s[52:53]
	s_cbranch_execz .LBB47_25
; %bb.24:                               ;   in Loop: Header=BB47_7 Depth=2
	global_load_dwordx2 v[0:1], v[0:1], off offset:128
	s_waitcnt vmcnt(0)
	ds_write_b64 v45, v[0:1] offset:4096
.LBB47_25:                              ;   in Loop: Header=BB47_7 Depth=2
	s_andn2_saveexec_b64 s[16:17], s[16:17]
	s_cbranch_execz .LBB47_31
; %bb.26:                               ;   in Loop: Header=BB47_7 Depth=2
	s_xor_b64 s[46:47], s[46:47], -1
	s_and_saveexec_b64 s[52:53], s[46:47]
	s_xor_b64 s[46:47], exec, s[52:53]
	s_cbranch_execz .LBB47_28
; %bb.27:                               ;   in Loop: Header=BB47_7 Depth=2
	v_mov_b32_e32 v0, v10
	v_mov_b32_e32 v1, v10
	ds_write_b64 v45, v[0:1] offset:4096
.LBB47_28:                              ;   in Loop: Header=BB47_7 Depth=2
	s_andn2_saveexec_b64 s[46:47], s[46:47]
	s_cbranch_execz .LBB47_30
; %bb.29:                               ;   in Loop: Header=BB47_7 Depth=2
	ds_write_b64 v45, v[10:11] offset:4096
.LBB47_30:                              ;   in Loop: Header=BB47_7 Depth=2
	s_or_b64 exec, exec, s[46:47]
.LBB47_31:                              ;   in Loop: Header=BB47_7 Depth=2
	s_or_b64 exec, exec, s[16:17]
	s_or_b64 s[10:11], s[12:13], s[10:11]
	s_or_b64 s[10:11], s[10:11], s[44:45]
	;; [unrolled: 1-line block ×3, first 2 shown]
	s_xor_b64 s[10:11], s[10:11], -1
	s_and_saveexec_b64 s[12:13], s[10:11]
	s_xor_b64 s[12:13], exec, s[12:13]
	s_cbranch_execz .LBB47_33
; %bb.32:                               ;   in Loop: Header=BB47_7 Depth=2
	v_mov_b32_e32 v1, s23
	v_add_co_u32_e64 v0, s[10:11], s22, v48
	v_addc_co_u32_e64 v1, s[10:11], v49, v1, s[10:11]
	global_load_dwordx2 v[0:1], v[0:1], off offset:128
	s_waitcnt vmcnt(0)
	ds_write_b64 v45, v[0:1] offset:4224
.LBB47_33:                              ;   in Loop: Header=BB47_7 Depth=2
	s_andn2_saveexec_b64 s[10:11], s[12:13]
	s_cbranch_execz .LBB47_39
; %bb.34:                               ;   in Loop: Header=BB47_7 Depth=2
	s_and_saveexec_b64 s[12:13], s[28:29]
	s_xor_b64 s[12:13], exec, s[12:13]
	s_cbranch_execz .LBB47_36
; %bb.35:                               ;   in Loop: Header=BB47_7 Depth=2
	v_mov_b32_e32 v0, v10
	v_mov_b32_e32 v1, v10
	ds_write_b64 v45, v[0:1] offset:4224
.LBB47_36:                              ;   in Loop: Header=BB47_7 Depth=2
	s_andn2_saveexec_b64 s[12:13], s[12:13]
	s_cbranch_execz .LBB47_38
; %bb.37:                               ;   in Loop: Header=BB47_7 Depth=2
	ds_write_b64 v45, v[10:11] offset:4224
.LBB47_38:                              ;   in Loop: Header=BB47_7 Depth=2
	s_or_b64 exec, exec, s[12:13]
.LBB47_39:                              ;   in Loop: Header=BB47_7 Depth=2
	s_or_b64 exec, exec, s[10:11]
	v_mov_b32_e32 v1, s27
	v_add_co_u32_e64 v0, s[10:11], s26, v12
	v_addc_co_u32_e64 v1, s[10:11], 0, v1, s[10:11]
	v_cmp_gt_i64_e64 s[10:11], s[38:39], v[0:1]
	s_and_b64 s[12:13], vcc, s[10:11]
	s_xor_b64 s[12:13], s[12:13], -1
	s_and_saveexec_b64 s[16:17], s[12:13]
	s_xor_b64 s[12:13], exec, s[16:17]
	s_cbranch_execz .LBB47_41
; %bb.40:                               ;   in Loop: Header=BB47_7 Depth=2
	v_mov_b32_e32 v2, v10
	v_mov_b32_e32 v3, v10
	ds_write_b64 v47, v[2:3]
.LBB47_41:                              ;   in Loop: Header=BB47_7 Depth=2
	s_or_saveexec_b64 s[16:17], s[12:13]
	v_mov_b32_e32 v3, s23
	v_add_co_u32_e64 v2, s[12:13], s22, v40
	v_addc_co_u32_e64 v3, s[12:13], v41, v3, s[12:13]
	s_xor_b64 exec, exec, s[16:17]
	s_cbranch_execz .LBB47_43
; %bb.42:                               ;   in Loop: Header=BB47_7 Depth=2
	global_load_dwordx2 v[4:5], v[2:3], off offset:-128
	s_waitcnt vmcnt(0)
	ds_write_b64 v47, v[4:5]
.LBB47_43:                              ;   in Loop: Header=BB47_7 Depth=2
	s_or_b64 exec, exec, s[16:17]
	v_cmp_gt_i64_e64 s[12:13], s[42:43], v[0:1]
	s_and_b64 s[16:17], vcc, s[12:13]
	s_xor_b64 s[16:17], s[16:17], -1
	s_and_saveexec_b64 s[28:29], s[16:17]
	s_xor_b64 s[16:17], exec, s[28:29]
	s_cbranch_execz .LBB47_45
; %bb.44:                               ;   in Loop: Header=BB47_7 Depth=2
	v_mov_b32_e32 v0, v10
	v_mov_b32_e32 v1, v10
	ds_write_b64 v47, v[0:1] offset:128
                                        ; implicit-def: $vgpr2_vgpr3
.LBB47_45:                              ;   in Loop: Header=BB47_7 Depth=2
	s_andn2_saveexec_b64 s[16:17], s[16:17]
	s_cbranch_execz .LBB47_47
; %bb.46:                               ;   in Loop: Header=BB47_7 Depth=2
	global_load_dwordx2 v[0:1], v[2:3], off
	s_waitcnt vmcnt(0)
	ds_write_b64 v47, v[0:1] offset:128
.LBB47_47:                              ;   in Loop: Header=BB47_7 Depth=2
	s_or_b64 exec, exec, s[16:17]
	s_and_b64 s[10:11], s[8:9], s[10:11]
	s_xor_b64 s[10:11], s[10:11], -1
	s_and_saveexec_b64 s[16:17], s[10:11]
	s_xor_b64 s[10:11], exec, s[16:17]
	s_cbranch_execz .LBB47_49
; %bb.48:                               ;   in Loop: Header=BB47_7 Depth=2
	v_mov_b32_e32 v0, v10
	v_mov_b32_e32 v1, v10
	ds_write_b64 v47, v[0:1] offset:4096
.LBB47_49:                              ;   in Loop: Header=BB47_7 Depth=2
	s_andn2_saveexec_b64 s[16:17], s[10:11]
	s_cbranch_execz .LBB47_51
; %bb.50:                               ;   in Loop: Header=BB47_7 Depth=2
	v_mov_b32_e32 v1, s23
	v_add_co_u32_e64 v0, s[10:11], s22, v42
	v_addc_co_u32_e64 v1, s[10:11], v43, v1, s[10:11]
	global_load_dwordx2 v[0:1], v[0:1], off offset:-128
	s_waitcnt vmcnt(0)
	ds_write_b64 v47, v[0:1] offset:4096
.LBB47_51:                              ;   in Loop: Header=BB47_7 Depth=2
	s_or_b64 exec, exec, s[16:17]
	s_and_b64 s[10:11], s[8:9], s[12:13]
	s_xor_b64 s[10:11], s[10:11], -1
	s_and_saveexec_b64 s[12:13], s[10:11]
	s_xor_b64 s[10:11], exec, s[12:13]
	s_cbranch_execz .LBB47_53
; %bb.52:                               ;   in Loop: Header=BB47_7 Depth=2
	v_mov_b32_e32 v0, v10
	v_mov_b32_e32 v1, v10
	ds_write_b64 v47, v[0:1] offset:4224
.LBB47_53:                              ;   in Loop: Header=BB47_7 Depth=2
	s_andn2_saveexec_b64 s[12:13], s[10:11]
	s_cbranch_execz .LBB47_6
; %bb.54:                               ;   in Loop: Header=BB47_7 Depth=2
	v_mov_b32_e32 v1, s23
	v_add_co_u32_e64 v0, s[10:11], s22, v42
	v_addc_co_u32_e64 v1, s[10:11], v43, v1, s[10:11]
	global_load_dwordx2 v[0:1], v[0:1], off
	s_waitcnt vmcnt(0)
	ds_write_b64 v47, v[0:1] offset:4224
	s_branch .LBB47_6
.LBB47_55:                              ;   in Loop: Header=BB47_4 Depth=1
	v_mul_lo_u32 v2, v51, s40
	v_mul_lo_u32 v3, v50, s41
	v_mad_u64_u32 v[0:1], s[8:9], v50, s40, 0
	v_add3_u32 v1, v1, v3, v2
	v_lshlrev_b64 v[0:1], 3, v[0:1]
	v_mov_b32_e32 v2, s48
	v_add_co_u32_e64 v0, s[8:9], s33, v0
	v_cmp_gt_i32_e32 vcc, s30, v50
	v_addc_co_u32_e64 v1, s[8:9], v2, v1, s[8:9]
	s_and_b64 s[8:9], s[4:5], vcc
	s_and_saveexec_b64 s[10:11], s[8:9]
	s_cbranch_execz .LBB47_57
; %bb.56:                               ;   in Loop: Header=BB47_4 Depth=1
	v_add_co_u32_e64 v2, s[8:9], v0, v30
	v_addc_co_u32_e64 v3, s[8:9], v1, v31, s[8:9]
	global_load_dwordx2 v[4:5], v[2:3], off
	s_waitcnt vmcnt(0)
	v_fmac_f64_e32 v[4:5], s[34:35], v[38:39]
	global_store_dwordx2 v[2:3], v[4:5], off
.LBB47_57:                              ;   in Loop: Header=BB47_4 Depth=1
	s_or_b64 exec, exec, s[10:11]
	s_and_b64 s[10:11], s[14:15], vcc
	s_and_saveexec_b64 s[8:9], s[10:11]
	s_cbranch_execz .LBB47_59
; %bb.58:                               ;   in Loop: Header=BB47_4 Depth=1
	v_lshlrev_b64 v[2:3], 3, v[18:19]
	v_add_co_u32_e32 v0, vcc, v0, v2
	v_addc_co_u32_e32 v1, vcc, v1, v3, vcc
	global_load_dwordx2 v[2:3], v[0:1], off
	s_waitcnt vmcnt(0)
	v_fmac_f64_e32 v[2:3], s[34:35], v[36:37]
	global_store_dwordx2 v[0:1], v[2:3], off
.LBB47_59:                              ;   in Loop: Header=BB47_4 Depth=1
	s_or_b64 exec, exec, s[8:9]
	v_add_u32_e32 v0, 16, v50
	v_ashrrev_i32_e32 v1, 31, v0
	v_cmp_gt_i32_e32 vcc, s30, v0
	v_mul_lo_u32 v2, v1, s40
	v_mul_lo_u32 v3, v0, s41
	v_mad_u64_u32 v[0:1], s[8:9], v0, s40, 0
	v_add3_u32 v1, v1, v3, v2
	v_lshlrev_b64 v[0:1], 3, v[0:1]
	v_mov_b32_e32 v2, s48
	v_add_co_u32_e64 v0, s[8:9], s33, v0
	v_addc_co_u32_e64 v1, s[8:9], v2, v1, s[8:9]
	s_and_b64 s[8:9], s[4:5], vcc
	s_and_saveexec_b64 s[10:11], s[8:9]
	s_cbranch_execz .LBB47_61
; %bb.60:                               ;   in Loop: Header=BB47_4 Depth=1
	v_add_co_u32_e64 v2, s[8:9], v0, v30
	v_addc_co_u32_e64 v3, s[8:9], v1, v31, s[8:9]
	global_load_dwordx2 v[4:5], v[2:3], off
	s_waitcnt vmcnt(0)
	v_fmac_f64_e32 v[4:5], s[34:35], v[34:35]
	global_store_dwordx2 v[2:3], v[4:5], off
.LBB47_61:                              ;   in Loop: Header=BB47_4 Depth=1
	s_or_b64 exec, exec, s[10:11]
	s_and_b64 s[10:11], s[14:15], vcc
	s_and_saveexec_b64 s[8:9], s[10:11]
	s_cbranch_execz .LBB47_3
; %bb.62:                               ;   in Loop: Header=BB47_4 Depth=1
	v_lshlrev_b64 v[2:3], 3, v[18:19]
	v_add_co_u32_e32 v0, vcc, v0, v2
	v_addc_co_u32_e32 v1, vcc, v1, v3, vcc
	global_load_dwordx2 v[2:3], v[0:1], off
	s_waitcnt vmcnt(0)
	v_fmac_f64_e32 v[2:3], s[34:35], v[32:33]
	global_store_dwordx2 v[0:1], v[2:3], off
	s_branch .LBB47_3
.LBB47_63:
	s_endpgm
	.section	.rodata,"a",@progbits
	.p2align	6, 0x0
	.amdhsa_kernel _ZL30rocblas_trmm_outofplace_kernelIdLi32ELi2ELb1ELb1ELb1ELb1EdKddEv17rocblas_diagonal_iiT6_lPT7_lllS4_lllPT8_llli
		.amdhsa_group_segment_fixed_size 16384
		.amdhsa_private_segment_fixed_size 0
		.amdhsa_kernarg_size 392
		.amdhsa_user_sgpr_count 6
		.amdhsa_user_sgpr_private_segment_buffer 1
		.amdhsa_user_sgpr_dispatch_ptr 0
		.amdhsa_user_sgpr_queue_ptr 0
		.amdhsa_user_sgpr_kernarg_segment_ptr 1
		.amdhsa_user_sgpr_dispatch_id 0
		.amdhsa_user_sgpr_flat_scratch_init 0
		.amdhsa_user_sgpr_kernarg_preload_length 0
		.amdhsa_user_sgpr_kernarg_preload_offset 0
		.amdhsa_user_sgpr_private_segment_size 0
		.amdhsa_uses_dynamic_stack 0
		.amdhsa_system_sgpr_private_segment_wavefront_offset 0
		.amdhsa_system_sgpr_workgroup_id_x 1
		.amdhsa_system_sgpr_workgroup_id_y 1
		.amdhsa_system_sgpr_workgroup_id_z 1
		.amdhsa_system_sgpr_workgroup_info 0
		.amdhsa_system_vgpr_workitem_id 1
		.amdhsa_next_free_vgpr 76
		.amdhsa_next_free_sgpr 54
		.amdhsa_accum_offset 76
		.amdhsa_reserve_vcc 1
		.amdhsa_reserve_flat_scratch 0
		.amdhsa_float_round_mode_32 0
		.amdhsa_float_round_mode_16_64 0
		.amdhsa_float_denorm_mode_32 3
		.amdhsa_float_denorm_mode_16_64 3
		.amdhsa_dx10_clamp 1
		.amdhsa_ieee_mode 1
		.amdhsa_fp16_overflow 0
		.amdhsa_tg_split 0
		.amdhsa_exception_fp_ieee_invalid_op 0
		.amdhsa_exception_fp_denorm_src 0
		.amdhsa_exception_fp_ieee_div_zero 0
		.amdhsa_exception_fp_ieee_overflow 0
		.amdhsa_exception_fp_ieee_underflow 0
		.amdhsa_exception_fp_ieee_inexact 0
		.amdhsa_exception_int_div_zero 0
	.end_amdhsa_kernel
	.section	.text._ZL30rocblas_trmm_outofplace_kernelIdLi32ELi2ELb1ELb1ELb1ELb1EdKddEv17rocblas_diagonal_iiT6_lPT7_lllS4_lllPT8_llli,"axG",@progbits,_ZL30rocblas_trmm_outofplace_kernelIdLi32ELi2ELb1ELb1ELb1ELb1EdKddEv17rocblas_diagonal_iiT6_lPT7_lllS4_lllPT8_llli,comdat
.Lfunc_end47:
	.size	_ZL30rocblas_trmm_outofplace_kernelIdLi32ELi2ELb1ELb1ELb1ELb1EdKddEv17rocblas_diagonal_iiT6_lPT7_lllS4_lllPT8_llli, .Lfunc_end47-_ZL30rocblas_trmm_outofplace_kernelIdLi32ELi2ELb1ELb1ELb1ELb1EdKddEv17rocblas_diagonal_iiT6_lPT7_lllS4_lllPT8_llli
                                        ; -- End function
	.section	.AMDGPU.csdata,"",@progbits
; Kernel info:
; codeLenInByte = 3420
; NumSgprs: 58
; NumVgprs: 76
; NumAgprs: 0
; TotalNumVgprs: 76
; ScratchSize: 0
; MemoryBound: 1
; FloatMode: 240
; IeeeMode: 1
; LDSByteSize: 16384 bytes/workgroup (compile time only)
; SGPRBlocks: 7
; VGPRBlocks: 9
; NumSGPRsForWavesPerEU: 58
; NumVGPRsForWavesPerEU: 76
; AccumOffset: 76
; Occupancy: 6
; WaveLimiterHint : 0
; COMPUTE_PGM_RSRC2:SCRATCH_EN: 0
; COMPUTE_PGM_RSRC2:USER_SGPR: 6
; COMPUTE_PGM_RSRC2:TRAP_HANDLER: 0
; COMPUTE_PGM_RSRC2:TGID_X_EN: 1
; COMPUTE_PGM_RSRC2:TGID_Y_EN: 1
; COMPUTE_PGM_RSRC2:TGID_Z_EN: 1
; COMPUTE_PGM_RSRC2:TIDIG_COMP_CNT: 1
; COMPUTE_PGM_RSRC3_GFX90A:ACCUM_OFFSET: 18
; COMPUTE_PGM_RSRC3_GFX90A:TG_SPLIT: 0
	.section	.text._ZL30rocblas_trmm_outofplace_kernelIdLi32ELi2ELb0ELb0ELb0ELb0EPKdS0_dEv17rocblas_diagonal_iiT6_lPT7_lllS5_lllPT8_llli,"axG",@progbits,_ZL30rocblas_trmm_outofplace_kernelIdLi32ELi2ELb0ELb0ELb0ELb0EPKdS0_dEv17rocblas_diagonal_iiT6_lPT7_lllS5_lllPT8_llli,comdat
	.globl	_ZL30rocblas_trmm_outofplace_kernelIdLi32ELi2ELb0ELb0ELb0ELb0EPKdS0_dEv17rocblas_diagonal_iiT6_lPT7_lllS5_lllPT8_llli ; -- Begin function _ZL30rocblas_trmm_outofplace_kernelIdLi32ELi2ELb0ELb0ELb0ELb0EPKdS0_dEv17rocblas_diagonal_iiT6_lPT7_lllS5_lllPT8_llli
	.p2align	8
	.type	_ZL30rocblas_trmm_outofplace_kernelIdLi32ELi2ELb0ELb0ELb0ELb0EPKdS0_dEv17rocblas_diagonal_iiT6_lPT7_lllS5_lllPT8_llli,@function
_ZL30rocblas_trmm_outofplace_kernelIdLi32ELi2ELb0ELb0ELb0ELb0EPKdS0_dEv17rocblas_diagonal_iiT6_lPT7_lllS5_lllPT8_llli: ; @_ZL30rocblas_trmm_outofplace_kernelIdLi32ELi2ELb0ELb0ELb0ELb0EPKdS0_dEv17rocblas_diagonal_iiT6_lPT7_lllS5_lllPT8_llli
; %bb.0:
	s_load_dwordx16 s[16:31], s[4:5], 0x10
	s_waitcnt lgkmcnt(0)
	s_mul_i32 s0, s8, s19
	s_mul_hi_u32 s1, s8, s18
	s_add_i32 s1, s1, s0
	s_mul_i32 s0, s8, s18
	s_lshl_b64 s[0:1], s[0:1], 3
	s_add_u32 s0, s16, s0
	s_addc_u32 s1, s17, s1
	s_load_dwordx2 s[34:35], s[0:1], 0x0
	s_waitcnt lgkmcnt(0)
	v_cmp_eq_f64_e64 s[0:1], s[34:35], 0
	s_and_b64 vcc, exec, s[0:1]
	s_cbranch_vccnz .LBB48_63
; %bb.1:
	s_load_dwordx4 s[44:47], s[4:5], 0x0
	s_waitcnt lgkmcnt(0)
	s_add_i32 s0, s46, -1
	s_ashr_i32 s1, s0, 31
	s_lshr_b32 s1, s1, 27
	s_add_i32 s0, s0, s1
	s_ashr_i32 s33, s0, 5
	s_cmp_gt_i32 s7, s33
	s_cbranch_scc1 .LBB48_63
; %bb.2:
	s_load_dwordx8 s[36:43], s[4:5], 0x50
	s_load_dwordx4 s[48:51], s[4:5], 0x70
	s_load_dword s52, s[4:5], 0x8c
	v_and_b32_e32 v4, 0x3ff, v0
	v_bfe_u32 v50, v0, 10, 10
	s_waitcnt lgkmcnt(0)
	s_mul_i32 s1, s8, s39
	s_mul_hi_u32 s2, s8, s38
	s_mul_i32 s0, s8, s38
	s_add_i32 s1, s2, s1
	s_lshl_b64 s[0:1], s[0:1], 3
	s_add_u32 s2, s28, s0
	s_addc_u32 s3, s29, s1
	s_lshl_b64 s[0:1], s[30:31], 3
	s_add_u32 s2, s2, s0
	s_addc_u32 s3, s3, s1
	s_mul_i32 s0, s8, s51
	s_mul_hi_u32 s1, s8, s50
	s_add_i32 s1, s1, s0
	s_mul_i32 s0, s8, s50
	s_lshl_b64 s[0:1], s[0:1], 3
	s_add_u32 s4, s40, s0
	s_addc_u32 s5, s41, s1
	s_lshl_b64 s[0:1], s[42:43], 3
	s_add_u32 s53, s4, s0
	s_addc_u32 s54, s5, s1
	s_cmpk_eq_i32 s44, 0x84
	s_cselect_b64 s[28:29], -1, 0
	s_ashr_i32 s47, s46, 31
	s_ashr_i32 s0, s45, 31
	s_lshl_b64 s[30:31], s[36:37], 8
	v_lshl_add_u32 v0, s6, 5, v4
	s_add_u32 s38, s46, -16
	v_ashrrev_i32_e32 v1, 31, v0
	s_addc_u32 s39, s47, -1
	s_lshl_b32 s9, s7, 5
	v_lshlrev_b64 v[8:9], 3, v[0:1]
	v_add_u32_e32 v14, s9, v4
	v_add_u32_e32 v16, s9, v50
	s_mul_i32 s9, s27, s8
	s_mul_hi_u32 s10, s26, s8
	v_mov_b32_e32 v2, s3
	v_add_co_u32_e32 v10, vcc, s2, v8
	s_add_i32 s9, s10, s9
	s_mul_i32 s8, s26, s8
	v_addc_co_u32_e32 v11, vcc, v2, v9, vcc
	s_lshl_b32 s6, s52, 5
	s_lshl_b64 s[40:41], s[36:37], 3
	s_lshl_b64 s[8:9], s[8:9], 3
	;; [unrolled: 1-line block ×3, first 2 shown]
	v_mov_b32_e32 v3, s0
	v_sub_co_u32_e32 v2, vcc, s45, v0
	s_add_u32 s8, s8, s10
	v_subb_co_u32_e32 v3, vcc, v3, v1, vcc
	v_lshlrev_b32_e32 v1, 3, v4
	s_addc_u32 s9, s9, s11
	v_lshlrev_b32_e32 v51, 8, v50
	v_or_b32_e32 v53, 0x2000, v1
	v_add_u32_e32 v12, 16, v0
	s_add_u32 s20, s20, s8
	v_add_u32_e32 v52, v51, v1
	v_cmp_gt_i64_e64 s[0:1], 1, v[2:3]
	v_add_u32_e32 v54, v53, v51
	v_cmp_gt_i64_e64 s[2:3], 17, v[2:3]
	v_cmp_gt_i32_e64 s[4:5], s45, v0
	v_cmp_gt_i32_e64 s[16:17], s45, v12
	v_ashrrev_i32_e32 v13, 31, v12
	s_addc_u32 s21, s21, s9
	s_lshl_b64 s[22:23], s[24:25], 3
	s_movk_i32 s55, 0x80
	v_mov_b32_e32 v18, 0
	v_mov_b32_e32 v19, 0x3ff00000
	s_branch .LBB48_4
.LBB48_3:                               ;   in Loop: Header=BB48_4 Depth=1
	s_or_b64 exec, exec, s[8:9]
	s_add_i32 s7, s52, s7
	v_add_u32_e32 v14, s6, v14
	s_cmp_le_i32 s7, s33
	v_add_u32_e32 v16, s6, v16
	s_cbranch_scc0 .LBB48_63
.LBB48_4:                               ; =>This Loop Header: Depth=1
                                        ;     Child Loop BB48_7 Depth 2
	s_lshl_b32 s8, s7, 5
	v_add_u32_e32 v20, s8, v50
	s_sub_i32 s56, s46, s8
	v_pk_mov_b32 v[36:37], 0, 0
	v_ashrrev_i32_e32 v15, 31, v14
	v_ashrrev_i32_e32 v17, 31, v16
	;; [unrolled: 1-line block ×3, first 2 shown]
	s_cmp_lt_i32 s56, 1
	v_pk_mov_b32 v[26:27], v[36:37], v[36:37] op_sel:[0,1]
	v_pk_mov_b32 v[24:25], v[36:37], v[36:37] op_sel:[0,1]
	;; [unrolled: 1-line block ×3, first 2 shown]
	s_cbranch_scc1 .LBB48_55
; %bb.5:                                ;   in Loop: Header=BB48_4 Depth=1
	v_mov_b32_e32 v0, 0x80
	v_mov_b32_e32 v1, 0
	v_mad_u64_u32 v[30:31], s[8:9], s40, v16, v[0:1]
	v_mul_lo_u32 v2, s40, v17
	v_mul_lo_u32 v3, s41, v16
	v_add3_u32 v31, v3, v31, v2
	v_pk_mov_b32 v[2:3], s[20:21], s[20:21] op_sel:[0,1]
	v_sub_co_u32_e32 v28, vcc, v16, v14
	v_mad_u64_u32 v[34:35], s[8:9], s22, v16, v[2:3]
	v_mul_lo_u32 v4, s22, v17
	v_mul_lo_u32 v5, s23, v16
	v_subb_co_u32_e32 v29, vcc, v17, v15, vcc
	v_add3_u32 v35, v5, v35, v4
	v_lshlrev_b64 v[4:5], 3, v[16:17]
	v_add_co_u32_e32 v4, vcc, s55, v4
	v_addc_co_u32_e32 v5, vcc, 0, v5, vcc
	v_add_co_u32_e32 v42, vcc, 16, v20
	v_addc_co_u32_e32 v43, vcc, 0, v21, vcc
	;; [unrolled: 2-line block ×3, first 2 shown]
	v_mul_lo_u32 v6, s24, v5
	v_mul_lo_u32 v7, s25, v4
	v_mad_u64_u32 v[38:39], s[8:9], s24, v4, v[2:3]
	v_mul_lo_u32 v2, s36, v5
	v_mul_lo_u32 v3, s37, v4
	v_mad_u64_u32 v[40:41], s[8:9], s36, v4, v[0:1]
	v_add_co_u32_e32 v46, vcc, -16, v28
	v_pk_mov_b32 v[22:23], 0, 0
	v_lshlrev_b64 v[32:33], 3, v[14:15]
	v_add3_u32 v39, v7, v39, v6
	v_add3_u32 v41, v3, v41, v2
	v_cmp_le_i32_e64 s[8:9], s46, v20
	v_cmp_le_i64_e64 s[10:11], s[46:47], v[42:43]
	v_addc_co_u32_e32 v47, vcc, -1, v29, vcc
	s_mov_b64 s[26:27], 0
	v_pk_mov_b32 v[48:49], v[10:11], v[10:11] op_sel:[0,1]
	v_pk_mov_b32 v[24:25], v[22:23], v[22:23] op_sel:[0,1]
	;; [unrolled: 1-line block ×4, first 2 shown]
	s_branch .LBB48_7
.LBB48_6:                               ;   in Loop: Header=BB48_7 Depth=2
	s_or_b64 exec, exec, s[12:13]
	s_waitcnt lgkmcnt(0)
	s_barrier
	ds_read2_b64 v[56:59], v53 offset1:16
	ds_read_b128 v[60:63], v51
	ds_read_b128 v[64:67], v51 offset:16
	ds_read_b128 v[4:7], v51 offset:32
	ds_read_b128 v[0:3], v51 offset:48
	ds_read_b128 v[68:71], v51 offset:4096
	ds_read2_b64 v[72:75], v53 offset0:32 offset1:48
	s_waitcnt lgkmcnt(5)
	v_fmac_f64_e32 v[36:37], v[56:57], v[60:61]
	v_fmac_f64_e32 v[26:27], v[58:59], v[60:61]
	ds_read_b128 v[76:79], v51 offset:4112
	s_waitcnt lgkmcnt(2)
	v_fmac_f64_e32 v[24:25], v[56:57], v[68:69]
	v_fmac_f64_e32 v[22:23], v[58:59], v[68:69]
	ds_read2_b64 v[56:59], v53 offset0:64 offset1:80
	s_waitcnt lgkmcnt(2)
	v_fmac_f64_e32 v[36:37], v[72:73], v[62:63]
	v_fmac_f64_e32 v[26:27], v[74:75], v[62:63]
	ds_read2_b64 v[60:63], v53 offset0:96 offset1:112
	v_fmac_f64_e32 v[24:25], v[72:73], v[70:71]
	v_fmac_f64_e32 v[22:23], v[74:75], v[70:71]
	ds_read_b128 v[68:71], v51 offset:4144
	s_waitcnt lgkmcnt(2)
	v_fmac_f64_e32 v[36:37], v[56:57], v[64:65]
	v_fmac_f64_e32 v[26:27], v[58:59], v[64:65]
	v_fmac_f64_e32 v[24:25], v[56:57], v[76:77]
	v_fmac_f64_e32 v[22:23], v[58:59], v[76:77]
	s_waitcnt lgkmcnt(1)
	v_fmac_f64_e32 v[36:37], v[60:61], v[66:67]
	ds_read2_b64 v[56:59], v53 offset0:128 offset1:144
	v_fmac_f64_e32 v[26:27], v[62:63], v[66:67]
	v_fmac_f64_e32 v[24:25], v[60:61], v[78:79]
	;; [unrolled: 1-line block ×3, first 2 shown]
	ds_read_b128 v[60:63], v51 offset:4128
	ds_read2_b64 v[64:67], v53 offset0:160 offset1:176
	s_waitcnt lgkmcnt(2)
	v_fmac_f64_e32 v[36:37], v[56:57], v[4:5]
	v_fmac_f64_e32 v[26:27], v[58:59], v[4:5]
	v_add_u32_e32 v55, 0x800, v53
	s_waitcnt lgkmcnt(1)
	v_fmac_f64_e32 v[24:25], v[56:57], v[60:61]
	v_fmac_f64_e32 v[22:23], v[58:59], v[60:61]
	ds_read2_b64 v[56:59], v53 offset0:192 offset1:208
	s_waitcnt lgkmcnt(1)
	v_fmac_f64_e32 v[36:37], v[64:65], v[6:7]
	v_fmac_f64_e32 v[26:27], v[66:67], v[6:7]
	ds_read2_b64 v[4:7], v53 offset0:224 offset1:240
	v_fmac_f64_e32 v[24:25], v[64:65], v[62:63]
	v_fmac_f64_e32 v[22:23], v[66:67], v[62:63]
	s_waitcnt lgkmcnt(1)
	v_fmac_f64_e32 v[36:37], v[56:57], v[0:1]
	v_fmac_f64_e32 v[26:27], v[58:59], v[0:1]
	;; [unrolled: 1-line block ×4, first 2 shown]
	s_waitcnt lgkmcnt(0)
	v_fmac_f64_e32 v[36:37], v[4:5], v[2:3]
	v_fmac_f64_e32 v[26:27], v[6:7], v[2:3]
	ds_read2_b64 v[0:3], v55 offset1:16
	ds_read_b128 v[56:59], v51 offset:64
	v_fmac_f64_e32 v[24:25], v[4:5], v[70:71]
	v_fmac_f64_e32 v[22:23], v[6:7], v[70:71]
	ds_read_b128 v[4:7], v51 offset:80
	ds_read_b128 v[60:63], v51 offset:4160
	ds_read2_b64 v[64:67], v55 offset0:32 offset1:48
	s_waitcnt lgkmcnt(3)
	v_fmac_f64_e32 v[36:37], v[0:1], v[56:57]
	v_fmac_f64_e32 v[26:27], v[2:3], v[56:57]
	ds_read_b128 v[68:71], v51 offset:4176
	s_waitcnt lgkmcnt(2)
	v_fmac_f64_e32 v[24:25], v[0:1], v[60:61]
	v_fmac_f64_e32 v[22:23], v[2:3], v[60:61]
	ds_read2_b64 v[0:3], v55 offset0:64 offset1:80
	s_waitcnt lgkmcnt(2)
	v_fmac_f64_e32 v[36:37], v[64:65], v[58:59]
	v_fmac_f64_e32 v[26:27], v[66:67], v[58:59]
	ds_read2_b64 v[56:59], v55 offset0:96 offset1:112
	v_fmac_f64_e32 v[24:25], v[64:65], v[62:63]
	v_fmac_f64_e32 v[22:23], v[66:67], v[62:63]
	s_waitcnt lgkmcnt(1)
	v_fmac_f64_e32 v[36:37], v[0:1], v[4:5]
	v_fmac_f64_e32 v[26:27], v[2:3], v[4:5]
	;; [unrolled: 1-line block ×4, first 2 shown]
	s_waitcnt lgkmcnt(0)
	v_fmac_f64_e32 v[36:37], v[56:57], v[6:7]
	v_fmac_f64_e32 v[26:27], v[58:59], v[6:7]
	ds_read2_b64 v[0:3], v55 offset0:128 offset1:144
	ds_read_b128 v[4:7], v51 offset:96
	v_fmac_f64_e32 v[24:25], v[56:57], v[70:71]
	v_fmac_f64_e32 v[22:23], v[58:59], v[70:71]
	ds_read_b128 v[56:59], v51 offset:112
	ds_read_b128 v[60:63], v51 offset:4192
	ds_read2_b64 v[64:67], v55 offset0:160 offset1:176
	s_waitcnt lgkmcnt(3)
	v_fmac_f64_e32 v[36:37], v[0:1], v[4:5]
	v_fmac_f64_e32 v[26:27], v[2:3], v[4:5]
	ds_read_b128 v[68:71], v51 offset:4208
	s_waitcnt lgkmcnt(2)
	v_fmac_f64_e32 v[24:25], v[0:1], v[60:61]
	v_fmac_f64_e32 v[22:23], v[2:3], v[60:61]
	ds_read2_b64 v[0:3], v55 offset0:192 offset1:208
	s_waitcnt lgkmcnt(2)
	v_fmac_f64_e32 v[36:37], v[64:65], v[6:7]
	v_fmac_f64_e32 v[26:27], v[66:67], v[6:7]
	ds_read2_b64 v[4:7], v55 offset0:224 offset1:240
	v_fmac_f64_e32 v[24:25], v[64:65], v[62:63]
	v_fmac_f64_e32 v[22:23], v[66:67], v[62:63]
	s_waitcnt lgkmcnt(1)
	v_fmac_f64_e32 v[36:37], v[0:1], v[56:57]
	v_fmac_f64_e32 v[26:27], v[2:3], v[56:57]
	;; [unrolled: 1-line block ×4, first 2 shown]
	v_add_u32_e32 v55, 0x1000, v53
	s_waitcnt lgkmcnt(0)
	v_fmac_f64_e32 v[36:37], v[4:5], v[58:59]
	v_fmac_f64_e32 v[26:27], v[6:7], v[58:59]
	ds_read2_b64 v[0:3], v55 offset1:16
	ds_read_b128 v[56:59], v51 offset:128
	v_fmac_f64_e32 v[24:25], v[4:5], v[70:71]
	v_fmac_f64_e32 v[22:23], v[6:7], v[70:71]
	ds_read_b128 v[4:7], v51 offset:144
	ds_read_b128 v[60:63], v51 offset:4224
	ds_read2_b64 v[64:67], v55 offset0:32 offset1:48
	s_waitcnt lgkmcnt(3)
	v_fmac_f64_e32 v[36:37], v[0:1], v[56:57]
	v_fmac_f64_e32 v[26:27], v[2:3], v[56:57]
	ds_read_b128 v[68:71], v51 offset:4240
	s_waitcnt lgkmcnt(2)
	v_fmac_f64_e32 v[24:25], v[0:1], v[60:61]
	v_fmac_f64_e32 v[22:23], v[2:3], v[60:61]
	ds_read2_b64 v[0:3], v55 offset0:64 offset1:80
	s_waitcnt lgkmcnt(2)
	v_fmac_f64_e32 v[36:37], v[64:65], v[58:59]
	v_fmac_f64_e32 v[26:27], v[66:67], v[58:59]
	ds_read2_b64 v[56:59], v55 offset0:96 offset1:112
	v_fmac_f64_e32 v[24:25], v[64:65], v[62:63]
	v_fmac_f64_e32 v[22:23], v[66:67], v[62:63]
	s_waitcnt lgkmcnt(1)
	v_fmac_f64_e32 v[36:37], v[0:1], v[4:5]
	v_fmac_f64_e32 v[26:27], v[2:3], v[4:5]
	;; [unrolled: 1-line block ×4, first 2 shown]
	s_waitcnt lgkmcnt(0)
	v_fmac_f64_e32 v[36:37], v[56:57], v[6:7]
	v_fmac_f64_e32 v[26:27], v[58:59], v[6:7]
	ds_read2_b64 v[0:3], v55 offset0:128 offset1:144
	ds_read_b128 v[4:7], v51 offset:160
	v_fmac_f64_e32 v[24:25], v[56:57], v[70:71]
	v_fmac_f64_e32 v[22:23], v[58:59], v[70:71]
	ds_read_b128 v[56:59], v51 offset:176
	ds_read_b128 v[60:63], v51 offset:4256
	ds_read2_b64 v[64:67], v55 offset0:160 offset1:176
	s_waitcnt lgkmcnt(3)
	v_fmac_f64_e32 v[36:37], v[0:1], v[4:5]
	v_fmac_f64_e32 v[26:27], v[2:3], v[4:5]
	ds_read_b128 v[68:71], v51 offset:4272
	s_waitcnt lgkmcnt(2)
	v_fmac_f64_e32 v[24:25], v[0:1], v[60:61]
	v_fmac_f64_e32 v[22:23], v[2:3], v[60:61]
	ds_read2_b64 v[0:3], v55 offset0:192 offset1:208
	s_waitcnt lgkmcnt(2)
	v_fmac_f64_e32 v[36:37], v[64:65], v[6:7]
	v_fmac_f64_e32 v[26:27], v[66:67], v[6:7]
	ds_read2_b64 v[4:7], v55 offset0:224 offset1:240
	v_fmac_f64_e32 v[24:25], v[64:65], v[62:63]
	v_fmac_f64_e32 v[22:23], v[66:67], v[62:63]
	s_waitcnt lgkmcnt(1)
	v_fmac_f64_e32 v[36:37], v[0:1], v[56:57]
	v_fmac_f64_e32 v[26:27], v[2:3], v[56:57]
	;; [unrolled: 1-line block ×4, first 2 shown]
	v_add_u32_e32 v55, 0x1800, v53
	s_waitcnt lgkmcnt(0)
	v_fmac_f64_e32 v[36:37], v[4:5], v[58:59]
	v_fmac_f64_e32 v[26:27], v[6:7], v[58:59]
	ds_read2_b64 v[0:3], v55 offset1:16
	ds_read_b128 v[56:59], v51 offset:192
	v_fmac_f64_e32 v[24:25], v[4:5], v[70:71]
	v_fmac_f64_e32 v[22:23], v[6:7], v[70:71]
	ds_read_b128 v[4:7], v51 offset:208
	ds_read_b128 v[60:63], v51 offset:4288
	ds_read2_b64 v[64:67], v55 offset0:32 offset1:48
	s_waitcnt lgkmcnt(3)
	v_fmac_f64_e32 v[36:37], v[0:1], v[56:57]
	v_fmac_f64_e32 v[26:27], v[2:3], v[56:57]
	ds_read_b128 v[68:71], v51 offset:4304
	s_waitcnt lgkmcnt(2)
	v_fmac_f64_e32 v[24:25], v[0:1], v[60:61]
	v_fmac_f64_e32 v[22:23], v[2:3], v[60:61]
	ds_read2_b64 v[0:3], v55 offset0:64 offset1:80
	s_waitcnt lgkmcnt(2)
	v_fmac_f64_e32 v[36:37], v[64:65], v[58:59]
	v_fmac_f64_e32 v[26:27], v[66:67], v[58:59]
	ds_read2_b64 v[56:59], v55 offset0:96 offset1:112
	v_fmac_f64_e32 v[24:25], v[64:65], v[62:63]
	v_fmac_f64_e32 v[22:23], v[66:67], v[62:63]
	s_waitcnt lgkmcnt(1)
	v_fmac_f64_e32 v[36:37], v[0:1], v[4:5]
	v_fmac_f64_e32 v[26:27], v[2:3], v[4:5]
	;; [unrolled: 1-line block ×4, first 2 shown]
	s_waitcnt lgkmcnt(0)
	v_fmac_f64_e32 v[36:37], v[56:57], v[6:7]
	v_fmac_f64_e32 v[26:27], v[58:59], v[6:7]
	ds_read2_b64 v[0:3], v55 offset0:128 offset1:144
	ds_read_b128 v[4:7], v51 offset:224
	v_fmac_f64_e32 v[24:25], v[56:57], v[70:71]
	v_fmac_f64_e32 v[22:23], v[58:59], v[70:71]
	ds_read_b128 v[56:59], v51 offset:240
	ds_read_b128 v[60:63], v51 offset:4320
	ds_read2_b64 v[64:67], v55 offset0:160 offset1:176
	s_waitcnt lgkmcnt(3)
	v_fmac_f64_e32 v[36:37], v[0:1], v[4:5]
	v_fmac_f64_e32 v[26:27], v[2:3], v[4:5]
	ds_read_b128 v[68:71], v51 offset:4336
	s_waitcnt lgkmcnt(2)
	v_fmac_f64_e32 v[24:25], v[0:1], v[60:61]
	v_fmac_f64_e32 v[22:23], v[2:3], v[60:61]
	ds_read2_b64 v[0:3], v55 offset0:192 offset1:208
	s_waitcnt lgkmcnt(2)
	v_fmac_f64_e32 v[36:37], v[64:65], v[6:7]
	v_fmac_f64_e32 v[24:25], v[64:65], v[62:63]
	;; [unrolled: 1-line block ×3, first 2 shown]
	ds_read2_b64 v[4:7], v55 offset0:224 offset1:240
	s_waitcnt lgkmcnt(1)
	v_fmac_f64_e32 v[36:37], v[0:1], v[56:57]
	v_fmac_f64_e32 v[24:25], v[0:1], v[68:69]
	v_mov_b32_e32 v0, s31
	v_add_co_u32_e32 v48, vcc, s30, v48
	v_addc_co_u32_e32 v49, vcc, v49, v0, vcc
	v_add_co_u32_e32 v34, vcc, 0x100, v34
	v_fmac_f64_e32 v[22:23], v[66:67], v[62:63]
	s_add_u32 s26, s26, 32
	v_addc_co_u32_e32 v35, vcc, 0, v35, vcc
	v_fmac_f64_e32 v[26:27], v[2:3], v[56:57]
	v_fmac_f64_e32 v[22:23], v[2:3], v[68:69]
	s_addc_u32 s27, s27, 0
	v_add_co_u32_e32 v38, vcc, 0x100, v38
	s_waitcnt lgkmcnt(0)
	v_fmac_f64_e32 v[36:37], v[4:5], v[58:59]
	v_fmac_f64_e32 v[26:27], v[6:7], v[58:59]
	;; [unrolled: 1-line block ×4, first 2 shown]
	s_cmp_ge_i32 s26, s56
	v_addc_co_u32_e32 v39, vcc, 0, v39, vcc
	s_barrier
	s_cbranch_scc1 .LBB48_55
.LBB48_7:                               ;   Parent Loop BB48_4 Depth=1
                                        ; =>  This Inner Loop Header: Depth=2
	v_mov_b32_e32 v1, s27
	v_add_co_u32_e32 v0, vcc, s26, v14
	v_addc_co_u32_e32 v1, vcc, v15, v1, vcc
	v_add_co_u32_e32 v2, vcc, v34, v32
	v_addc_co_u32_e32 v3, vcc, v35, v33, vcc
	v_cmp_eq_u64_e32 vcc, s[26:27], v[28:29]
	s_and_b64 s[44:45], s[28:29], vcc
	v_cmp_lt_i64_e32 vcc, v[0:1], v[20:21]
	v_cmp_le_i64_e64 s[12:13], s[46:47], v[0:1]
	s_or_b64 s[14:15], s[8:9], vcc
	s_or_b64 s[14:15], s[12:13], s[14:15]
	s_or_b64 s[14:15], s[14:15], s[44:45]
	s_xor_b64 s[14:15], s[14:15], -1
	s_and_saveexec_b64 s[18:19], s[14:15]
	s_xor_b64 s[14:15], exec, s[18:19]
	s_cbranch_execz .LBB48_9
; %bb.8:                                ;   in Loop: Header=BB48_7 Depth=2
	global_load_dwordx2 v[4:5], v[2:3], off
	s_waitcnt vmcnt(0)
	ds_write_b64 v52, v[4:5]
.LBB48_9:                               ;   in Loop: Header=BB48_7 Depth=2
	s_or_saveexec_b64 s[14:15], s[14:15]
	s_xor_b64 s[42:43], s[44:45], -1
	s_xor_b64 exec, exec, s[14:15]
	s_cbranch_execz .LBB48_15
; %bb.10:                               ;   in Loop: Header=BB48_7 Depth=2
	s_and_saveexec_b64 s[18:19], s[42:43]
	s_xor_b64 s[18:19], exec, s[18:19]
	s_cbranch_execz .LBB48_12
; %bb.11:                               ;   in Loop: Header=BB48_7 Depth=2
	v_mov_b32_e32 v4, v18
	v_mov_b32_e32 v5, v18
	ds_write_b64 v52, v[4:5]
.LBB48_12:                              ;   in Loop: Header=BB48_7 Depth=2
	s_andn2_saveexec_b64 s[18:19], s[18:19]
	s_cbranch_execz .LBB48_14
; %bb.13:                               ;   in Loop: Header=BB48_7 Depth=2
	ds_write_b64 v52, v[18:19]
.LBB48_14:                              ;   in Loop: Header=BB48_7 Depth=2
	s_or_b64 exec, exec, s[18:19]
.LBB48_15:                              ;   in Loop: Header=BB48_7 Depth=2
	s_or_b64 exec, exec, s[14:15]
	v_add_co_u32_e64 v4, s[14:15], 16, v0
	v_addc_co_u32_e64 v5, s[14:15], 0, v1, s[14:15]
	v_cmp_eq_u64_e64 s[14:15], s[26:27], v[46:47]
	v_cmp_lt_i64_e64 s[18:19], v[4:5], v[20:21]
	s_and_b64 s[50:51], s[28:29], s[14:15]
	v_cmp_le_i64_e64 s[14:15], s[46:47], v[4:5]
	s_or_b64 s[18:19], s[8:9], s[18:19]
	s_or_b64 s[18:19], s[14:15], s[18:19]
	;; [unrolled: 1-line block ×3, first 2 shown]
	s_xor_b64 s[18:19], s[18:19], -1
	s_and_saveexec_b64 s[58:59], s[18:19]
	s_xor_b64 s[18:19], exec, s[58:59]
	s_cbranch_execz .LBB48_17
; %bb.16:                               ;   in Loop: Header=BB48_7 Depth=2
	global_load_dwordx2 v[2:3], v[2:3], off offset:128
	s_waitcnt vmcnt(0)
	ds_write_b64 v52, v[2:3] offset:128
.LBB48_17:                              ;   in Loop: Header=BB48_7 Depth=2
	s_andn2_saveexec_b64 s[18:19], s[18:19]
	s_cbranch_execz .LBB48_23
; %bb.18:                               ;   in Loop: Header=BB48_7 Depth=2
	s_xor_b64 s[50:51], s[50:51], -1
	s_and_saveexec_b64 s[58:59], s[50:51]
	s_xor_b64 s[50:51], exec, s[58:59]
	s_cbranch_execz .LBB48_20
; %bb.19:                               ;   in Loop: Header=BB48_7 Depth=2
	v_mov_b32_e32 v2, v18
	v_mov_b32_e32 v3, v18
	ds_write_b64 v52, v[2:3] offset:128
.LBB48_20:                              ;   in Loop: Header=BB48_7 Depth=2
	s_andn2_saveexec_b64 s[50:51], s[50:51]
	s_cbranch_execz .LBB48_22
; %bb.21:                               ;   in Loop: Header=BB48_7 Depth=2
	ds_write_b64 v52, v[18:19] offset:128
.LBB48_22:                              ;   in Loop: Header=BB48_7 Depth=2
	s_or_b64 exec, exec, s[50:51]
.LBB48_23:                              ;   in Loop: Header=BB48_7 Depth=2
	s_or_b64 exec, exec, s[18:19]
	v_cmp_eq_u64_e64 s[18:19], s[26:27], v[44:45]
	s_and_b64 s[50:51], s[28:29], s[18:19]
	v_cmp_lt_i64_e64 s[18:19], v[0:1], v[42:43]
	s_or_b64 s[18:19], s[10:11], s[18:19]
	s_or_b64 s[18:19], s[18:19], s[50:51]
	;; [unrolled: 1-line block ×3, first 2 shown]
	s_xor_b64 s[12:13], s[12:13], -1
	s_and_saveexec_b64 s[18:19], s[12:13]
	s_xor_b64 s[18:19], exec, s[18:19]
	s_cbranch_execz .LBB48_25
; %bb.24:                               ;   in Loop: Header=BB48_7 Depth=2
	v_add_co_u32_e64 v0, s[12:13], v38, v32
	v_addc_co_u32_e64 v1, s[12:13], v39, v33, s[12:13]
	global_load_dwordx2 v[0:1], v[0:1], off
	s_waitcnt vmcnt(0)
	ds_write_b64 v52, v[0:1] offset:4096
.LBB48_25:                              ;   in Loop: Header=BB48_7 Depth=2
	s_andn2_saveexec_b64 s[12:13], s[18:19]
	s_cbranch_execz .LBB48_31
; %bb.26:                               ;   in Loop: Header=BB48_7 Depth=2
	s_xor_b64 s[18:19], s[50:51], -1
	s_and_saveexec_b64 s[50:51], s[18:19]
	s_xor_b64 s[18:19], exec, s[50:51]
	s_cbranch_execz .LBB48_28
; %bb.27:                               ;   in Loop: Header=BB48_7 Depth=2
	v_mov_b32_e32 v0, v18
	v_mov_b32_e32 v1, v18
	ds_write_b64 v52, v[0:1] offset:4096
.LBB48_28:                              ;   in Loop: Header=BB48_7 Depth=2
	s_andn2_saveexec_b64 s[18:19], s[18:19]
	s_cbranch_execz .LBB48_30
; %bb.29:                               ;   in Loop: Header=BB48_7 Depth=2
	ds_write_b64 v52, v[18:19] offset:4096
.LBB48_30:                              ;   in Loop: Header=BB48_7 Depth=2
	s_or_b64 exec, exec, s[18:19]
.LBB48_31:                              ;   in Loop: Header=BB48_7 Depth=2
	s_or_b64 exec, exec, s[12:13]
	s_or_b64 s[12:13], s[10:11], vcc
	s_or_b64 s[12:13], s[14:15], s[12:13]
	s_or_b64 s[12:13], s[12:13], s[44:45]
	s_xor_b64 s[12:13], s[12:13], -1
	s_and_saveexec_b64 s[14:15], s[12:13]
	s_xor_b64 s[12:13], exec, s[14:15]
	s_cbranch_execz .LBB48_33
; %bb.32:                               ;   in Loop: Header=BB48_7 Depth=2
	v_add_co_u32_e32 v0, vcc, v38, v32
	v_addc_co_u32_e32 v1, vcc, v39, v33, vcc
	global_load_dwordx2 v[0:1], v[0:1], off offset:128
	s_waitcnt vmcnt(0)
	ds_write_b64 v52, v[0:1] offset:4224
.LBB48_33:                              ;   in Loop: Header=BB48_7 Depth=2
	s_andn2_saveexec_b64 s[12:13], s[12:13]
	s_cbranch_execz .LBB48_39
; %bb.34:                               ;   in Loop: Header=BB48_7 Depth=2
	s_and_saveexec_b64 s[14:15], s[42:43]
	s_xor_b64 s[14:15], exec, s[14:15]
	s_cbranch_execz .LBB48_36
; %bb.35:                               ;   in Loop: Header=BB48_7 Depth=2
	v_mov_b32_e32 v0, v18
	v_mov_b32_e32 v1, v18
	ds_write_b64 v52, v[0:1] offset:4224
.LBB48_36:                              ;   in Loop: Header=BB48_7 Depth=2
	s_andn2_saveexec_b64 s[14:15], s[14:15]
	s_cbranch_execz .LBB48_38
; %bb.37:                               ;   in Loop: Header=BB48_7 Depth=2
	ds_write_b64 v52, v[18:19] offset:4224
.LBB48_38:                              ;   in Loop: Header=BB48_7 Depth=2
	s_or_b64 exec, exec, s[14:15]
.LBB48_39:                              ;   in Loop: Header=BB48_7 Depth=2
	s_or_b64 exec, exec, s[12:13]
	v_mov_b32_e32 v1, s27
	v_add_co_u32_e32 v0, vcc, s26, v16
	v_addc_co_u32_e32 v1, vcc, v17, v1, vcc
	v_add_co_u32_e32 v2, vcc, v48, v30
	v_addc_co_u32_e32 v3, vcc, v49, v31, vcc
	v_cmp_le_i64_e32 vcc, s[46:47], v[0:1]
	s_or_b64 s[12:13], vcc, s[0:1]
	s_xor_b64 s[12:13], s[12:13], -1
	s_and_saveexec_b64 s[14:15], s[12:13]
	s_xor_b64 s[12:13], exec, s[14:15]
	s_cbranch_execz .LBB48_41
; %bb.40:                               ;   in Loop: Header=BB48_7 Depth=2
	global_load_dwordx2 v[4:5], v[2:3], off offset:-128
	s_waitcnt vmcnt(0)
	ds_write_b64 v54, v[4:5]
.LBB48_41:                              ;   in Loop: Header=BB48_7 Depth=2
	s_andn2_saveexec_b64 s[12:13], s[12:13]
	s_cbranch_execz .LBB48_43
; %bb.42:                               ;   in Loop: Header=BB48_7 Depth=2
	v_mov_b32_e32 v4, v18
	v_mov_b32_e32 v5, v18
	ds_write_b64 v54, v[4:5]
.LBB48_43:                              ;   in Loop: Header=BB48_7 Depth=2
	s_or_b64 exec, exec, s[12:13]
	s_or_b64 s[12:13], vcc, s[2:3]
	s_xor_b64 s[12:13], s[12:13], -1
	s_and_saveexec_b64 s[14:15], s[12:13]
	s_xor_b64 s[12:13], exec, s[14:15]
	s_cbranch_execz .LBB48_45
; %bb.44:                               ;   in Loop: Header=BB48_7 Depth=2
	global_load_dwordx2 v[2:3], v[2:3], off
	s_waitcnt vmcnt(0)
	ds_write_b64 v54, v[2:3] offset:128
.LBB48_45:                              ;   in Loop: Header=BB48_7 Depth=2
	s_andn2_saveexec_b64 s[12:13], s[12:13]
	s_cbranch_execz .LBB48_47
; %bb.46:                               ;   in Loop: Header=BB48_7 Depth=2
	v_mov_b32_e32 v2, v18
	v_mov_b32_e32 v3, v18
	ds_write_b64 v54, v[2:3] offset:128
.LBB48_47:                              ;   in Loop: Header=BB48_7 Depth=2
	s_or_b64 exec, exec, s[12:13]
	v_cmp_le_i64_e32 vcc, s[38:39], v[0:1]
	s_or_b64 s[12:13], vcc, s[0:1]
	s_xor_b64 s[12:13], s[12:13], -1
	s_and_saveexec_b64 s[14:15], s[12:13]
	s_xor_b64 s[14:15], exec, s[14:15]
	s_cbranch_execz .LBB48_49
; %bb.48:                               ;   in Loop: Header=BB48_7 Depth=2
	v_add_co_u32_e64 v0, s[12:13], v48, v40
	v_addc_co_u32_e64 v1, s[12:13], v49, v41, s[12:13]
	global_load_dwordx2 v[0:1], v[0:1], off offset:-128
	s_waitcnt vmcnt(0)
	ds_write_b64 v54, v[0:1] offset:4096
.LBB48_49:                              ;   in Loop: Header=BB48_7 Depth=2
	s_andn2_saveexec_b64 s[12:13], s[14:15]
	s_cbranch_execz .LBB48_51
; %bb.50:                               ;   in Loop: Header=BB48_7 Depth=2
	v_mov_b32_e32 v0, v18
	v_mov_b32_e32 v1, v18
	ds_write_b64 v54, v[0:1] offset:4096
.LBB48_51:                              ;   in Loop: Header=BB48_7 Depth=2
	s_or_b64 exec, exec, s[12:13]
	s_or_b64 s[12:13], vcc, s[2:3]
	s_xor_b64 s[12:13], s[12:13], -1
	s_and_saveexec_b64 s[14:15], s[12:13]
	s_xor_b64 s[12:13], exec, s[14:15]
	s_cbranch_execz .LBB48_53
; %bb.52:                               ;   in Loop: Header=BB48_7 Depth=2
	v_add_co_u32_e32 v0, vcc, v48, v40
	v_addc_co_u32_e32 v1, vcc, v49, v41, vcc
	global_load_dwordx2 v[0:1], v[0:1], off
	s_waitcnt vmcnt(0)
	ds_write_b64 v54, v[0:1] offset:4224
.LBB48_53:                              ;   in Loop: Header=BB48_7 Depth=2
	s_andn2_saveexec_b64 s[12:13], s[12:13]
	s_cbranch_execz .LBB48_6
; %bb.54:                               ;   in Loop: Header=BB48_7 Depth=2
	v_mov_b32_e32 v0, v18
	v_mov_b32_e32 v1, v18
	ds_write_b64 v54, v[0:1] offset:4224
	s_branch .LBB48_6
.LBB48_55:                              ;   in Loop: Header=BB48_4 Depth=1
	v_mul_lo_u32 v2, v21, s48
	v_mul_lo_u32 v3, v20, s49
	v_mad_u64_u32 v[0:1], s[8:9], v20, s48, 0
	v_add3_u32 v1, v1, v3, v2
	v_lshlrev_b64 v[0:1], 3, v[0:1]
	v_mov_b32_e32 v2, s54
	v_add_co_u32_e64 v0, s[8:9], s53, v0
	v_cmp_gt_i32_e32 vcc, s46, v20
	v_addc_co_u32_e64 v1, s[8:9], v2, v1, s[8:9]
	s_and_b64 s[8:9], s[4:5], vcc
	s_and_saveexec_b64 s[10:11], s[8:9]
	s_cbranch_execz .LBB48_57
; %bb.56:                               ;   in Loop: Header=BB48_4 Depth=1
	v_add_co_u32_e64 v2, s[8:9], v0, v8
	v_addc_co_u32_e64 v3, s[8:9], v1, v9, s[8:9]
	global_load_dwordx2 v[4:5], v[2:3], off
	s_waitcnt vmcnt(0)
	v_fmac_f64_e32 v[4:5], s[34:35], v[36:37]
	global_store_dwordx2 v[2:3], v[4:5], off
.LBB48_57:                              ;   in Loop: Header=BB48_4 Depth=1
	s_or_b64 exec, exec, s[10:11]
	s_and_b64 s[10:11], s[16:17], vcc
	s_and_saveexec_b64 s[8:9], s[10:11]
	s_cbranch_execz .LBB48_59
; %bb.58:                               ;   in Loop: Header=BB48_4 Depth=1
	v_lshlrev_b64 v[2:3], 3, v[12:13]
	v_add_co_u32_e32 v0, vcc, v0, v2
	v_addc_co_u32_e32 v1, vcc, v1, v3, vcc
	global_load_dwordx2 v[2:3], v[0:1], off
	s_waitcnt vmcnt(0)
	v_fmac_f64_e32 v[2:3], s[34:35], v[26:27]
	global_store_dwordx2 v[0:1], v[2:3], off
.LBB48_59:                              ;   in Loop: Header=BB48_4 Depth=1
	s_or_b64 exec, exec, s[8:9]
	v_add_u32_e32 v0, 16, v20
	v_ashrrev_i32_e32 v1, 31, v0
	v_cmp_gt_i32_e32 vcc, s46, v0
	v_mul_lo_u32 v2, v1, s48
	v_mul_lo_u32 v3, v0, s49
	v_mad_u64_u32 v[0:1], s[8:9], v0, s48, 0
	v_add3_u32 v1, v1, v3, v2
	v_lshlrev_b64 v[0:1], 3, v[0:1]
	v_mov_b32_e32 v2, s54
	v_add_co_u32_e64 v0, s[8:9], s53, v0
	v_addc_co_u32_e64 v1, s[8:9], v2, v1, s[8:9]
	s_and_b64 s[8:9], s[4:5], vcc
	s_and_saveexec_b64 s[10:11], s[8:9]
	s_cbranch_execz .LBB48_61
; %bb.60:                               ;   in Loop: Header=BB48_4 Depth=1
	v_add_co_u32_e64 v2, s[8:9], v0, v8
	v_addc_co_u32_e64 v3, s[8:9], v1, v9, s[8:9]
	global_load_dwordx2 v[4:5], v[2:3], off
	s_waitcnt vmcnt(0)
	v_fmac_f64_e32 v[4:5], s[34:35], v[24:25]
	global_store_dwordx2 v[2:3], v[4:5], off
.LBB48_61:                              ;   in Loop: Header=BB48_4 Depth=1
	s_or_b64 exec, exec, s[10:11]
	s_and_b64 s[10:11], s[16:17], vcc
	s_and_saveexec_b64 s[8:9], s[10:11]
	s_cbranch_execz .LBB48_3
; %bb.62:                               ;   in Loop: Header=BB48_4 Depth=1
	v_lshlrev_b64 v[2:3], 3, v[12:13]
	v_add_co_u32_e32 v0, vcc, v0, v2
	v_addc_co_u32_e32 v1, vcc, v1, v3, vcc
	global_load_dwordx2 v[2:3], v[0:1], off
	s_waitcnt vmcnt(0)
	v_fmac_f64_e32 v[2:3], s[34:35], v[22:23]
	global_store_dwordx2 v[0:1], v[2:3], off
	s_branch .LBB48_3
.LBB48_63:
	s_endpgm
	.section	.rodata,"a",@progbits
	.p2align	6, 0x0
	.amdhsa_kernel _ZL30rocblas_trmm_outofplace_kernelIdLi32ELi2ELb0ELb0ELb0ELb0EPKdS0_dEv17rocblas_diagonal_iiT6_lPT7_lllS5_lllPT8_llli
		.amdhsa_group_segment_fixed_size 16384
		.amdhsa_private_segment_fixed_size 0
		.amdhsa_kernarg_size 392
		.amdhsa_user_sgpr_count 6
		.amdhsa_user_sgpr_private_segment_buffer 1
		.amdhsa_user_sgpr_dispatch_ptr 0
		.amdhsa_user_sgpr_queue_ptr 0
		.amdhsa_user_sgpr_kernarg_segment_ptr 1
		.amdhsa_user_sgpr_dispatch_id 0
		.amdhsa_user_sgpr_flat_scratch_init 0
		.amdhsa_user_sgpr_kernarg_preload_length 0
		.amdhsa_user_sgpr_kernarg_preload_offset 0
		.amdhsa_user_sgpr_private_segment_size 0
		.amdhsa_uses_dynamic_stack 0
		.amdhsa_system_sgpr_private_segment_wavefront_offset 0
		.amdhsa_system_sgpr_workgroup_id_x 1
		.amdhsa_system_sgpr_workgroup_id_y 1
		.amdhsa_system_sgpr_workgroup_id_z 1
		.amdhsa_system_sgpr_workgroup_info 0
		.amdhsa_system_vgpr_workitem_id 1
		.amdhsa_next_free_vgpr 80
		.amdhsa_next_free_sgpr 60
		.amdhsa_accum_offset 80
		.amdhsa_reserve_vcc 1
		.amdhsa_reserve_flat_scratch 0
		.amdhsa_float_round_mode_32 0
		.amdhsa_float_round_mode_16_64 0
		.amdhsa_float_denorm_mode_32 3
		.amdhsa_float_denorm_mode_16_64 3
		.amdhsa_dx10_clamp 1
		.amdhsa_ieee_mode 1
		.amdhsa_fp16_overflow 0
		.amdhsa_tg_split 0
		.amdhsa_exception_fp_ieee_invalid_op 0
		.amdhsa_exception_fp_denorm_src 0
		.amdhsa_exception_fp_ieee_div_zero 0
		.amdhsa_exception_fp_ieee_overflow 0
		.amdhsa_exception_fp_ieee_underflow 0
		.amdhsa_exception_fp_ieee_inexact 0
		.amdhsa_exception_int_div_zero 0
	.end_amdhsa_kernel
	.section	.text._ZL30rocblas_trmm_outofplace_kernelIdLi32ELi2ELb0ELb0ELb0ELb0EPKdS0_dEv17rocblas_diagonal_iiT6_lPT7_lllS5_lllPT8_llli,"axG",@progbits,_ZL30rocblas_trmm_outofplace_kernelIdLi32ELi2ELb0ELb0ELb0ELb0EPKdS0_dEv17rocblas_diagonal_iiT6_lPT7_lllS5_lllPT8_llli,comdat
.Lfunc_end48:
	.size	_ZL30rocblas_trmm_outofplace_kernelIdLi32ELi2ELb0ELb0ELb0ELb0EPKdS0_dEv17rocblas_diagonal_iiT6_lPT7_lllS5_lllPT8_llli, .Lfunc_end48-_ZL30rocblas_trmm_outofplace_kernelIdLi32ELi2ELb0ELb0ELb0ELb0EPKdS0_dEv17rocblas_diagonal_iiT6_lPT7_lllS5_lllPT8_llli
                                        ; -- End function
	.section	.AMDGPU.csdata,"",@progbits
; Kernel info:
; codeLenInByte = 3348
; NumSgprs: 64
; NumVgprs: 80
; NumAgprs: 0
; TotalNumVgprs: 80
; ScratchSize: 0
; MemoryBound: 1
; FloatMode: 240
; IeeeMode: 1
; LDSByteSize: 16384 bytes/workgroup (compile time only)
; SGPRBlocks: 7
; VGPRBlocks: 9
; NumSGPRsForWavesPerEU: 64
; NumVGPRsForWavesPerEU: 80
; AccumOffset: 80
; Occupancy: 6
; WaveLimiterHint : 0
; COMPUTE_PGM_RSRC2:SCRATCH_EN: 0
; COMPUTE_PGM_RSRC2:USER_SGPR: 6
; COMPUTE_PGM_RSRC2:TRAP_HANDLER: 0
; COMPUTE_PGM_RSRC2:TGID_X_EN: 1
; COMPUTE_PGM_RSRC2:TGID_Y_EN: 1
; COMPUTE_PGM_RSRC2:TGID_Z_EN: 1
; COMPUTE_PGM_RSRC2:TIDIG_COMP_CNT: 1
; COMPUTE_PGM_RSRC3_GFX90A:ACCUM_OFFSET: 19
; COMPUTE_PGM_RSRC3_GFX90A:TG_SPLIT: 0
	.section	.text._ZL30rocblas_trmm_outofplace_kernelIdLi32ELi2ELb0ELb0ELb0ELb0EdKddEv17rocblas_diagonal_iiT6_lPT7_lllS4_lllPT8_llli,"axG",@progbits,_ZL30rocblas_trmm_outofplace_kernelIdLi32ELi2ELb0ELb0ELb0ELb0EdKddEv17rocblas_diagonal_iiT6_lPT7_lllS4_lllPT8_llli,comdat
	.globl	_ZL30rocblas_trmm_outofplace_kernelIdLi32ELi2ELb0ELb0ELb0ELb0EdKddEv17rocblas_diagonal_iiT6_lPT7_lllS4_lllPT8_llli ; -- Begin function _ZL30rocblas_trmm_outofplace_kernelIdLi32ELi2ELb0ELb0ELb0ELb0EdKddEv17rocblas_diagonal_iiT6_lPT7_lllS4_lllPT8_llli
	.p2align	8
	.type	_ZL30rocblas_trmm_outofplace_kernelIdLi32ELi2ELb0ELb0ELb0ELb0EdKddEv17rocblas_diagonal_iiT6_lPT7_lllS4_lllPT8_llli,@function
_ZL30rocblas_trmm_outofplace_kernelIdLi32ELi2ELb0ELb0ELb0ELb0EdKddEv17rocblas_diagonal_iiT6_lPT7_lllS4_lllPT8_llli: ; @_ZL30rocblas_trmm_outofplace_kernelIdLi32ELi2ELb0ELb0ELb0ELb0EdKddEv17rocblas_diagonal_iiT6_lPT7_lllS4_lllPT8_llli
; %bb.0:
	s_load_dwordx2 s[28:29], s[4:5], 0x10
	s_waitcnt lgkmcnt(0)
	v_cmp_eq_f64_e64 s[0:1], s[28:29], 0
	s_and_b64 vcc, exec, s[0:1]
	s_cbranch_vccnz .LBB49_63
; %bb.1:
	s_load_dwordx4 s[24:27], s[4:5], 0x0
	s_waitcnt lgkmcnt(0)
	s_add_i32 s0, s26, -1
	s_ashr_i32 s1, s0, 31
	s_lshr_b32 s1, s1, 27
	s_add_i32 s0, s0, s1
	s_ashr_i32 s33, s0, 5
	s_cmp_gt_i32 s7, s33
	s_cbranch_scc1 .LBB49_63
; %bb.2:
	s_load_dwordx16 s[36:51], s[4:5], 0x20
	s_load_dwordx8 s[16:23], s[4:5], 0x60
	v_and_b32_e32 v4, 0x3ff, v0
	v_bfe_u32 v50, v0, 10, 10
	v_lshl_add_u32 v0, s6, 5, v4
	s_waitcnt lgkmcnt(0)
	s_mul_i32 s1, s8, s51
	s_mul_hi_u32 s2, s8, s50
	s_mul_i32 s0, s8, s50
	s_add_i32 s1, s2, s1
	s_lshl_b64 s[0:1], s[0:1], 3
	s_add_u32 s2, s44, s0
	s_addc_u32 s3, s45, s1
	s_lshl_b64 s[0:1], s[46:47], 3
	s_add_u32 s2, s2, s0
	s_addc_u32 s3, s3, s1
	s_mul_i32 s0, s8, s23
	s_mul_hi_u32 s1, s8, s22
	s_add_i32 s1, s1, s0
	s_mul_i32 s0, s8, s22
	s_lshl_b64 s[0:1], s[0:1], 3
	s_add_u32 s9, s16, s0
	s_addc_u32 s10, s17, s1
	s_lshl_b64 s[0:1], s[18:19], 3
	s_add_u32 s52, s9, s0
	s_addc_u32 s53, s10, s1
	s_cmpk_eq_i32 s24, 0x84
	s_cselect_b64 s[22:23], -1, 0
	s_ashr_i32 s27, s26, 31
	s_ashr_i32 s0, s25, 31
	s_lshl_b64 s[30:31], s[48:49], 8
	s_load_dword s6, s[4:5], 0x8c
	v_ashrrev_i32_e32 v1, 31, v0
	s_add_u32 s34, s26, -16
	v_lshlrev_b64 v[8:9], 3, v[0:1]
	s_addc_u32 s35, s27, -1
	s_lshl_b32 s9, s7, 5
	v_mov_b32_e32 v2, s3
	v_add_co_u32_e32 v10, vcc, s2, v8
	v_add_u32_e32 v14, s9, v4
	v_add_u32_e32 v16, s9, v50
	s_mul_i32 s9, s43, s8
	s_mul_hi_u32 s10, s42, s8
	v_addc_co_u32_e32 v11, vcc, v2, v9, vcc
	v_add_u32_e32 v12, 16, v0
	s_add_i32 s9, s10, s9
	s_mul_i32 s8, s42, s8
	v_sub_co_u32_e32 v2, vcc, s25, v0
	v_cmp_gt_i32_e64 s[4:5], s25, v0
	v_cmp_gt_i32_e64 s[16:17], s25, v12
	s_waitcnt lgkmcnt(0)
	s_lshl_b32 s54, s6, 5
	s_lshl_b64 s[24:25], s[48:49], 3
	s_lshl_b64 s[8:9], s[8:9], 3
	;; [unrolled: 1-line block ×3, first 2 shown]
	v_mov_b32_e32 v3, s0
	s_add_u32 s8, s8, s10
	v_subb_co_u32_e32 v3, vcc, v3, v1, vcc
	v_lshlrev_b32_e32 v1, 3, v4
	s_addc_u32 s9, s9, s11
	v_lshlrev_b32_e32 v51, 8, v50
	v_or_b32_e32 v53, 0x2000, v1
	s_add_u32 s36, s36, s8
	v_add_u32_e32 v52, v51, v1
	v_cmp_gt_i64_e64 s[0:1], 1, v[2:3]
	v_add_u32_e32 v54, v53, v51
	v_cmp_gt_i64_e64 s[2:3], 17, v[2:3]
	v_ashrrev_i32_e32 v13, 31, v12
	s_addc_u32 s37, s37, s9
	s_lshl_b64 s[38:39], s[40:41], 3
	s_movk_i32 s55, 0x80
	v_mov_b32_e32 v18, 0
	v_mov_b32_e32 v19, 0x3ff00000
	s_branch .LBB49_4
.LBB49_3:                               ;   in Loop: Header=BB49_4 Depth=1
	s_or_b64 exec, exec, s[8:9]
	s_add_i32 s7, s6, s7
	v_add_u32_e32 v14, s54, v14
	s_cmp_le_i32 s7, s33
	v_add_u32_e32 v16, s54, v16
	s_cbranch_scc0 .LBB49_63
.LBB49_4:                               ; =>This Loop Header: Depth=1
                                        ;     Child Loop BB49_7 Depth 2
	s_lshl_b32 s8, s7, 5
	v_add_u32_e32 v20, s8, v50
	s_sub_i32 s56, s26, s8
	v_pk_mov_b32 v[36:37], 0, 0
	v_ashrrev_i32_e32 v15, 31, v14
	v_ashrrev_i32_e32 v17, 31, v16
	;; [unrolled: 1-line block ×3, first 2 shown]
	s_cmp_lt_i32 s56, 1
	v_pk_mov_b32 v[26:27], v[36:37], v[36:37] op_sel:[0,1]
	v_pk_mov_b32 v[24:25], v[36:37], v[36:37] op_sel:[0,1]
	;; [unrolled: 1-line block ×3, first 2 shown]
	s_cbranch_scc1 .LBB49_55
; %bb.5:                                ;   in Loop: Header=BB49_4 Depth=1
	v_mov_b32_e32 v0, 0x80
	v_mov_b32_e32 v1, 0
	v_mad_u64_u32 v[30:31], s[8:9], s24, v16, v[0:1]
	v_mul_lo_u32 v2, s24, v17
	v_mul_lo_u32 v3, s25, v16
	v_add3_u32 v31, v3, v31, v2
	v_pk_mov_b32 v[2:3], s[36:37], s[36:37] op_sel:[0,1]
	v_sub_co_u32_e32 v28, vcc, v16, v14
	v_mad_u64_u32 v[34:35], s[8:9], s38, v16, v[2:3]
	v_mul_lo_u32 v4, s38, v17
	v_mul_lo_u32 v5, s39, v16
	v_subb_co_u32_e32 v29, vcc, v17, v15, vcc
	v_add3_u32 v35, v5, v35, v4
	v_lshlrev_b64 v[4:5], 3, v[16:17]
	v_add_co_u32_e32 v4, vcc, s55, v4
	v_addc_co_u32_e32 v5, vcc, 0, v5, vcc
	v_add_co_u32_e32 v42, vcc, 16, v20
	v_addc_co_u32_e32 v43, vcc, 0, v21, vcc
	;; [unrolled: 2-line block ×3, first 2 shown]
	v_mul_lo_u32 v6, s40, v5
	v_mul_lo_u32 v7, s41, v4
	v_mad_u64_u32 v[38:39], s[8:9], s40, v4, v[2:3]
	v_mul_lo_u32 v2, s48, v5
	v_mul_lo_u32 v3, s49, v4
	v_mad_u64_u32 v[40:41], s[8:9], s48, v4, v[0:1]
	v_add_co_u32_e32 v46, vcc, -16, v28
	v_pk_mov_b32 v[22:23], 0, 0
	v_lshlrev_b64 v[32:33], 3, v[14:15]
	v_add3_u32 v39, v7, v39, v6
	v_add3_u32 v41, v3, v41, v2
	v_cmp_le_i32_e64 s[8:9], s26, v20
	v_cmp_le_i64_e64 s[10:11], s[26:27], v[42:43]
	v_addc_co_u32_e32 v47, vcc, -1, v29, vcc
	s_mov_b64 s[42:43], 0
	v_pk_mov_b32 v[48:49], v[10:11], v[10:11] op_sel:[0,1]
	v_pk_mov_b32 v[24:25], v[22:23], v[22:23] op_sel:[0,1]
	v_pk_mov_b32 v[26:27], v[22:23], v[22:23] op_sel:[0,1]
	v_pk_mov_b32 v[36:37], v[22:23], v[22:23] op_sel:[0,1]
	s_branch .LBB49_7
.LBB49_6:                               ;   in Loop: Header=BB49_7 Depth=2
	s_or_b64 exec, exec, s[12:13]
	s_waitcnt lgkmcnt(0)
	s_barrier
	ds_read2_b64 v[56:59], v53 offset1:16
	ds_read_b128 v[60:63], v51
	ds_read_b128 v[64:67], v51 offset:16
	ds_read_b128 v[4:7], v51 offset:32
	;; [unrolled: 1-line block ×4, first 2 shown]
	ds_read2_b64 v[72:75], v53 offset0:32 offset1:48
	s_waitcnt lgkmcnt(5)
	v_fmac_f64_e32 v[36:37], v[56:57], v[60:61]
	v_fmac_f64_e32 v[26:27], v[58:59], v[60:61]
	ds_read_b128 v[76:79], v51 offset:4112
	s_waitcnt lgkmcnt(2)
	v_fmac_f64_e32 v[24:25], v[56:57], v[68:69]
	v_fmac_f64_e32 v[22:23], v[58:59], v[68:69]
	ds_read2_b64 v[56:59], v53 offset0:64 offset1:80
	s_waitcnt lgkmcnt(2)
	v_fmac_f64_e32 v[36:37], v[72:73], v[62:63]
	v_fmac_f64_e32 v[26:27], v[74:75], v[62:63]
	ds_read2_b64 v[60:63], v53 offset0:96 offset1:112
	v_fmac_f64_e32 v[24:25], v[72:73], v[70:71]
	v_fmac_f64_e32 v[22:23], v[74:75], v[70:71]
	ds_read_b128 v[68:71], v51 offset:4144
	s_waitcnt lgkmcnt(2)
	v_fmac_f64_e32 v[36:37], v[56:57], v[64:65]
	v_fmac_f64_e32 v[26:27], v[58:59], v[64:65]
	;; [unrolled: 1-line block ×4, first 2 shown]
	s_waitcnt lgkmcnt(1)
	v_fmac_f64_e32 v[36:37], v[60:61], v[66:67]
	ds_read2_b64 v[56:59], v53 offset0:128 offset1:144
	v_fmac_f64_e32 v[26:27], v[62:63], v[66:67]
	v_fmac_f64_e32 v[24:25], v[60:61], v[78:79]
	;; [unrolled: 1-line block ×3, first 2 shown]
	ds_read_b128 v[60:63], v51 offset:4128
	ds_read2_b64 v[64:67], v53 offset0:160 offset1:176
	s_waitcnt lgkmcnt(2)
	v_fmac_f64_e32 v[36:37], v[56:57], v[4:5]
	v_fmac_f64_e32 v[26:27], v[58:59], v[4:5]
	v_add_u32_e32 v55, 0x800, v53
	s_waitcnt lgkmcnt(1)
	v_fmac_f64_e32 v[24:25], v[56:57], v[60:61]
	v_fmac_f64_e32 v[22:23], v[58:59], v[60:61]
	ds_read2_b64 v[56:59], v53 offset0:192 offset1:208
	s_waitcnt lgkmcnt(1)
	v_fmac_f64_e32 v[36:37], v[64:65], v[6:7]
	v_fmac_f64_e32 v[26:27], v[66:67], v[6:7]
	ds_read2_b64 v[4:7], v53 offset0:224 offset1:240
	v_fmac_f64_e32 v[24:25], v[64:65], v[62:63]
	v_fmac_f64_e32 v[22:23], v[66:67], v[62:63]
	s_waitcnt lgkmcnt(1)
	v_fmac_f64_e32 v[36:37], v[56:57], v[0:1]
	v_fmac_f64_e32 v[26:27], v[58:59], v[0:1]
	;; [unrolled: 1-line block ×4, first 2 shown]
	s_waitcnt lgkmcnt(0)
	v_fmac_f64_e32 v[36:37], v[4:5], v[2:3]
	v_fmac_f64_e32 v[26:27], v[6:7], v[2:3]
	ds_read2_b64 v[0:3], v55 offset1:16
	ds_read_b128 v[56:59], v51 offset:64
	v_fmac_f64_e32 v[24:25], v[4:5], v[70:71]
	v_fmac_f64_e32 v[22:23], v[6:7], v[70:71]
	ds_read_b128 v[4:7], v51 offset:80
	ds_read_b128 v[60:63], v51 offset:4160
	ds_read2_b64 v[64:67], v55 offset0:32 offset1:48
	s_waitcnt lgkmcnt(3)
	v_fmac_f64_e32 v[36:37], v[0:1], v[56:57]
	v_fmac_f64_e32 v[26:27], v[2:3], v[56:57]
	ds_read_b128 v[68:71], v51 offset:4176
	s_waitcnt lgkmcnt(2)
	v_fmac_f64_e32 v[24:25], v[0:1], v[60:61]
	v_fmac_f64_e32 v[22:23], v[2:3], v[60:61]
	ds_read2_b64 v[0:3], v55 offset0:64 offset1:80
	s_waitcnt lgkmcnt(2)
	v_fmac_f64_e32 v[36:37], v[64:65], v[58:59]
	v_fmac_f64_e32 v[26:27], v[66:67], v[58:59]
	ds_read2_b64 v[56:59], v55 offset0:96 offset1:112
	v_fmac_f64_e32 v[24:25], v[64:65], v[62:63]
	v_fmac_f64_e32 v[22:23], v[66:67], v[62:63]
	s_waitcnt lgkmcnt(1)
	v_fmac_f64_e32 v[36:37], v[0:1], v[4:5]
	v_fmac_f64_e32 v[26:27], v[2:3], v[4:5]
	;; [unrolled: 1-line block ×4, first 2 shown]
	s_waitcnt lgkmcnt(0)
	v_fmac_f64_e32 v[36:37], v[56:57], v[6:7]
	v_fmac_f64_e32 v[26:27], v[58:59], v[6:7]
	ds_read2_b64 v[0:3], v55 offset0:128 offset1:144
	ds_read_b128 v[4:7], v51 offset:96
	v_fmac_f64_e32 v[24:25], v[56:57], v[70:71]
	v_fmac_f64_e32 v[22:23], v[58:59], v[70:71]
	ds_read_b128 v[56:59], v51 offset:112
	ds_read_b128 v[60:63], v51 offset:4192
	ds_read2_b64 v[64:67], v55 offset0:160 offset1:176
	s_waitcnt lgkmcnt(3)
	v_fmac_f64_e32 v[36:37], v[0:1], v[4:5]
	v_fmac_f64_e32 v[26:27], v[2:3], v[4:5]
	ds_read_b128 v[68:71], v51 offset:4208
	s_waitcnt lgkmcnt(2)
	v_fmac_f64_e32 v[24:25], v[0:1], v[60:61]
	v_fmac_f64_e32 v[22:23], v[2:3], v[60:61]
	ds_read2_b64 v[0:3], v55 offset0:192 offset1:208
	s_waitcnt lgkmcnt(2)
	v_fmac_f64_e32 v[36:37], v[64:65], v[6:7]
	v_fmac_f64_e32 v[26:27], v[66:67], v[6:7]
	ds_read2_b64 v[4:7], v55 offset0:224 offset1:240
	v_fmac_f64_e32 v[24:25], v[64:65], v[62:63]
	v_fmac_f64_e32 v[22:23], v[66:67], v[62:63]
	s_waitcnt lgkmcnt(1)
	v_fmac_f64_e32 v[36:37], v[0:1], v[56:57]
	v_fmac_f64_e32 v[26:27], v[2:3], v[56:57]
	;; [unrolled: 1-line block ×4, first 2 shown]
	v_add_u32_e32 v55, 0x1000, v53
	s_waitcnt lgkmcnt(0)
	v_fmac_f64_e32 v[36:37], v[4:5], v[58:59]
	v_fmac_f64_e32 v[26:27], v[6:7], v[58:59]
	ds_read2_b64 v[0:3], v55 offset1:16
	ds_read_b128 v[56:59], v51 offset:128
	v_fmac_f64_e32 v[24:25], v[4:5], v[70:71]
	v_fmac_f64_e32 v[22:23], v[6:7], v[70:71]
	ds_read_b128 v[4:7], v51 offset:144
	ds_read_b128 v[60:63], v51 offset:4224
	ds_read2_b64 v[64:67], v55 offset0:32 offset1:48
	s_waitcnt lgkmcnt(3)
	v_fmac_f64_e32 v[36:37], v[0:1], v[56:57]
	v_fmac_f64_e32 v[26:27], v[2:3], v[56:57]
	ds_read_b128 v[68:71], v51 offset:4240
	s_waitcnt lgkmcnt(2)
	v_fmac_f64_e32 v[24:25], v[0:1], v[60:61]
	v_fmac_f64_e32 v[22:23], v[2:3], v[60:61]
	ds_read2_b64 v[0:3], v55 offset0:64 offset1:80
	s_waitcnt lgkmcnt(2)
	v_fmac_f64_e32 v[36:37], v[64:65], v[58:59]
	v_fmac_f64_e32 v[26:27], v[66:67], v[58:59]
	ds_read2_b64 v[56:59], v55 offset0:96 offset1:112
	v_fmac_f64_e32 v[24:25], v[64:65], v[62:63]
	v_fmac_f64_e32 v[22:23], v[66:67], v[62:63]
	s_waitcnt lgkmcnt(1)
	v_fmac_f64_e32 v[36:37], v[0:1], v[4:5]
	v_fmac_f64_e32 v[26:27], v[2:3], v[4:5]
	;; [unrolled: 1-line block ×4, first 2 shown]
	s_waitcnt lgkmcnt(0)
	v_fmac_f64_e32 v[36:37], v[56:57], v[6:7]
	v_fmac_f64_e32 v[26:27], v[58:59], v[6:7]
	ds_read2_b64 v[0:3], v55 offset0:128 offset1:144
	ds_read_b128 v[4:7], v51 offset:160
	v_fmac_f64_e32 v[24:25], v[56:57], v[70:71]
	v_fmac_f64_e32 v[22:23], v[58:59], v[70:71]
	ds_read_b128 v[56:59], v51 offset:176
	ds_read_b128 v[60:63], v51 offset:4256
	ds_read2_b64 v[64:67], v55 offset0:160 offset1:176
	s_waitcnt lgkmcnt(3)
	v_fmac_f64_e32 v[36:37], v[0:1], v[4:5]
	v_fmac_f64_e32 v[26:27], v[2:3], v[4:5]
	ds_read_b128 v[68:71], v51 offset:4272
	s_waitcnt lgkmcnt(2)
	v_fmac_f64_e32 v[24:25], v[0:1], v[60:61]
	v_fmac_f64_e32 v[22:23], v[2:3], v[60:61]
	ds_read2_b64 v[0:3], v55 offset0:192 offset1:208
	s_waitcnt lgkmcnt(2)
	v_fmac_f64_e32 v[36:37], v[64:65], v[6:7]
	v_fmac_f64_e32 v[26:27], v[66:67], v[6:7]
	ds_read2_b64 v[4:7], v55 offset0:224 offset1:240
	v_fmac_f64_e32 v[24:25], v[64:65], v[62:63]
	v_fmac_f64_e32 v[22:23], v[66:67], v[62:63]
	s_waitcnt lgkmcnt(1)
	v_fmac_f64_e32 v[36:37], v[0:1], v[56:57]
	v_fmac_f64_e32 v[26:27], v[2:3], v[56:57]
	;; [unrolled: 1-line block ×4, first 2 shown]
	v_add_u32_e32 v55, 0x1800, v53
	s_waitcnt lgkmcnt(0)
	v_fmac_f64_e32 v[36:37], v[4:5], v[58:59]
	v_fmac_f64_e32 v[26:27], v[6:7], v[58:59]
	ds_read2_b64 v[0:3], v55 offset1:16
	ds_read_b128 v[56:59], v51 offset:192
	v_fmac_f64_e32 v[24:25], v[4:5], v[70:71]
	v_fmac_f64_e32 v[22:23], v[6:7], v[70:71]
	ds_read_b128 v[4:7], v51 offset:208
	ds_read_b128 v[60:63], v51 offset:4288
	ds_read2_b64 v[64:67], v55 offset0:32 offset1:48
	s_waitcnt lgkmcnt(3)
	v_fmac_f64_e32 v[36:37], v[0:1], v[56:57]
	v_fmac_f64_e32 v[26:27], v[2:3], v[56:57]
	ds_read_b128 v[68:71], v51 offset:4304
	s_waitcnt lgkmcnt(2)
	v_fmac_f64_e32 v[24:25], v[0:1], v[60:61]
	v_fmac_f64_e32 v[22:23], v[2:3], v[60:61]
	ds_read2_b64 v[0:3], v55 offset0:64 offset1:80
	s_waitcnt lgkmcnt(2)
	v_fmac_f64_e32 v[36:37], v[64:65], v[58:59]
	v_fmac_f64_e32 v[26:27], v[66:67], v[58:59]
	ds_read2_b64 v[56:59], v55 offset0:96 offset1:112
	v_fmac_f64_e32 v[24:25], v[64:65], v[62:63]
	v_fmac_f64_e32 v[22:23], v[66:67], v[62:63]
	s_waitcnt lgkmcnt(1)
	v_fmac_f64_e32 v[36:37], v[0:1], v[4:5]
	v_fmac_f64_e32 v[26:27], v[2:3], v[4:5]
	v_fmac_f64_e32 v[24:25], v[0:1], v[68:69]
	v_fmac_f64_e32 v[22:23], v[2:3], v[68:69]
	s_waitcnt lgkmcnt(0)
	v_fmac_f64_e32 v[36:37], v[56:57], v[6:7]
	v_fmac_f64_e32 v[26:27], v[58:59], v[6:7]
	ds_read2_b64 v[0:3], v55 offset0:128 offset1:144
	ds_read_b128 v[4:7], v51 offset:224
	v_fmac_f64_e32 v[24:25], v[56:57], v[70:71]
	v_fmac_f64_e32 v[22:23], v[58:59], v[70:71]
	ds_read_b128 v[56:59], v51 offset:240
	ds_read_b128 v[60:63], v51 offset:4320
	ds_read2_b64 v[64:67], v55 offset0:160 offset1:176
	s_waitcnt lgkmcnt(3)
	v_fmac_f64_e32 v[36:37], v[0:1], v[4:5]
	v_fmac_f64_e32 v[26:27], v[2:3], v[4:5]
	ds_read_b128 v[68:71], v51 offset:4336
	s_waitcnt lgkmcnt(2)
	v_fmac_f64_e32 v[24:25], v[0:1], v[60:61]
	v_fmac_f64_e32 v[22:23], v[2:3], v[60:61]
	ds_read2_b64 v[0:3], v55 offset0:192 offset1:208
	s_waitcnt lgkmcnt(2)
	v_fmac_f64_e32 v[36:37], v[64:65], v[6:7]
	v_fmac_f64_e32 v[24:25], v[64:65], v[62:63]
	;; [unrolled: 1-line block ×3, first 2 shown]
	ds_read2_b64 v[4:7], v55 offset0:224 offset1:240
	s_waitcnt lgkmcnt(1)
	v_fmac_f64_e32 v[36:37], v[0:1], v[56:57]
	v_fmac_f64_e32 v[24:25], v[0:1], v[68:69]
	v_mov_b32_e32 v0, s31
	v_add_co_u32_e32 v48, vcc, s30, v48
	v_addc_co_u32_e32 v49, vcc, v49, v0, vcc
	v_add_co_u32_e32 v34, vcc, 0x100, v34
	v_fmac_f64_e32 v[22:23], v[66:67], v[62:63]
	s_add_u32 s42, s42, 32
	v_addc_co_u32_e32 v35, vcc, 0, v35, vcc
	v_fmac_f64_e32 v[26:27], v[2:3], v[56:57]
	v_fmac_f64_e32 v[22:23], v[2:3], v[68:69]
	s_addc_u32 s43, s43, 0
	v_add_co_u32_e32 v38, vcc, 0x100, v38
	s_waitcnt lgkmcnt(0)
	v_fmac_f64_e32 v[36:37], v[4:5], v[58:59]
	v_fmac_f64_e32 v[26:27], v[6:7], v[58:59]
	v_fmac_f64_e32 v[24:25], v[4:5], v[70:71]
	v_fmac_f64_e32 v[22:23], v[6:7], v[70:71]
	s_cmp_ge_i32 s42, s56
	v_addc_co_u32_e32 v39, vcc, 0, v39, vcc
	s_barrier
	s_cbranch_scc1 .LBB49_55
.LBB49_7:                               ;   Parent Loop BB49_4 Depth=1
                                        ; =>  This Inner Loop Header: Depth=2
	v_mov_b32_e32 v1, s43
	v_add_co_u32_e32 v0, vcc, s42, v14
	v_addc_co_u32_e32 v1, vcc, v15, v1, vcc
	v_add_co_u32_e32 v2, vcc, v34, v32
	v_addc_co_u32_e32 v3, vcc, v35, v33, vcc
	v_cmp_eq_u64_e32 vcc, s[42:43], v[28:29]
	s_and_b64 s[46:47], s[22:23], vcc
	v_cmp_lt_i64_e32 vcc, v[0:1], v[20:21]
	v_cmp_le_i64_e64 s[12:13], s[26:27], v[0:1]
	s_or_b64 s[14:15], s[8:9], vcc
	s_or_b64 s[14:15], s[12:13], s[14:15]
	s_or_b64 s[14:15], s[14:15], s[46:47]
	s_xor_b64 s[14:15], s[14:15], -1
	s_and_saveexec_b64 s[18:19], s[14:15]
	s_xor_b64 s[14:15], exec, s[18:19]
	s_cbranch_execz .LBB49_9
; %bb.8:                                ;   in Loop: Header=BB49_7 Depth=2
	global_load_dwordx2 v[4:5], v[2:3], off
	s_waitcnt vmcnt(0)
	ds_write_b64 v52, v[4:5]
.LBB49_9:                               ;   in Loop: Header=BB49_7 Depth=2
	s_or_saveexec_b64 s[14:15], s[14:15]
	s_xor_b64 s[44:45], s[46:47], -1
	s_xor_b64 exec, exec, s[14:15]
	s_cbranch_execz .LBB49_15
; %bb.10:                               ;   in Loop: Header=BB49_7 Depth=2
	s_and_saveexec_b64 s[18:19], s[44:45]
	s_xor_b64 s[18:19], exec, s[18:19]
	s_cbranch_execz .LBB49_12
; %bb.11:                               ;   in Loop: Header=BB49_7 Depth=2
	v_mov_b32_e32 v4, v18
	v_mov_b32_e32 v5, v18
	ds_write_b64 v52, v[4:5]
.LBB49_12:                              ;   in Loop: Header=BB49_7 Depth=2
	s_andn2_saveexec_b64 s[18:19], s[18:19]
	s_cbranch_execz .LBB49_14
; %bb.13:                               ;   in Loop: Header=BB49_7 Depth=2
	ds_write_b64 v52, v[18:19]
.LBB49_14:                              ;   in Loop: Header=BB49_7 Depth=2
	s_or_b64 exec, exec, s[18:19]
.LBB49_15:                              ;   in Loop: Header=BB49_7 Depth=2
	s_or_b64 exec, exec, s[14:15]
	v_add_co_u32_e64 v4, s[14:15], 16, v0
	v_addc_co_u32_e64 v5, s[14:15], 0, v1, s[14:15]
	v_cmp_eq_u64_e64 s[14:15], s[42:43], v[46:47]
	v_cmp_lt_i64_e64 s[18:19], v[4:5], v[20:21]
	s_and_b64 s[50:51], s[22:23], s[14:15]
	v_cmp_le_i64_e64 s[14:15], s[26:27], v[4:5]
	s_or_b64 s[18:19], s[8:9], s[18:19]
	s_or_b64 s[18:19], s[14:15], s[18:19]
	s_or_b64 s[18:19], s[18:19], s[50:51]
	s_xor_b64 s[18:19], s[18:19], -1
	s_and_saveexec_b64 s[58:59], s[18:19]
	s_xor_b64 s[18:19], exec, s[58:59]
	s_cbranch_execz .LBB49_17
; %bb.16:                               ;   in Loop: Header=BB49_7 Depth=2
	global_load_dwordx2 v[2:3], v[2:3], off offset:128
	s_waitcnt vmcnt(0)
	ds_write_b64 v52, v[2:3] offset:128
.LBB49_17:                              ;   in Loop: Header=BB49_7 Depth=2
	s_andn2_saveexec_b64 s[18:19], s[18:19]
	s_cbranch_execz .LBB49_23
; %bb.18:                               ;   in Loop: Header=BB49_7 Depth=2
	s_xor_b64 s[50:51], s[50:51], -1
	s_and_saveexec_b64 s[58:59], s[50:51]
	s_xor_b64 s[50:51], exec, s[58:59]
	s_cbranch_execz .LBB49_20
; %bb.19:                               ;   in Loop: Header=BB49_7 Depth=2
	v_mov_b32_e32 v2, v18
	v_mov_b32_e32 v3, v18
	ds_write_b64 v52, v[2:3] offset:128
.LBB49_20:                              ;   in Loop: Header=BB49_7 Depth=2
	s_andn2_saveexec_b64 s[50:51], s[50:51]
	s_cbranch_execz .LBB49_22
; %bb.21:                               ;   in Loop: Header=BB49_7 Depth=2
	ds_write_b64 v52, v[18:19] offset:128
.LBB49_22:                              ;   in Loop: Header=BB49_7 Depth=2
	s_or_b64 exec, exec, s[50:51]
.LBB49_23:                              ;   in Loop: Header=BB49_7 Depth=2
	s_or_b64 exec, exec, s[18:19]
	v_cmp_eq_u64_e64 s[18:19], s[42:43], v[44:45]
	s_and_b64 s[50:51], s[22:23], s[18:19]
	v_cmp_lt_i64_e64 s[18:19], v[0:1], v[42:43]
	s_or_b64 s[18:19], s[10:11], s[18:19]
	s_or_b64 s[18:19], s[18:19], s[50:51]
	;; [unrolled: 1-line block ×3, first 2 shown]
	s_xor_b64 s[12:13], s[12:13], -1
	s_and_saveexec_b64 s[18:19], s[12:13]
	s_xor_b64 s[18:19], exec, s[18:19]
	s_cbranch_execz .LBB49_25
; %bb.24:                               ;   in Loop: Header=BB49_7 Depth=2
	v_add_co_u32_e64 v0, s[12:13], v38, v32
	v_addc_co_u32_e64 v1, s[12:13], v39, v33, s[12:13]
	global_load_dwordx2 v[0:1], v[0:1], off
	s_waitcnt vmcnt(0)
	ds_write_b64 v52, v[0:1] offset:4096
.LBB49_25:                              ;   in Loop: Header=BB49_7 Depth=2
	s_andn2_saveexec_b64 s[12:13], s[18:19]
	s_cbranch_execz .LBB49_31
; %bb.26:                               ;   in Loop: Header=BB49_7 Depth=2
	s_xor_b64 s[18:19], s[50:51], -1
	s_and_saveexec_b64 s[50:51], s[18:19]
	s_xor_b64 s[18:19], exec, s[50:51]
	s_cbranch_execz .LBB49_28
; %bb.27:                               ;   in Loop: Header=BB49_7 Depth=2
	v_mov_b32_e32 v0, v18
	v_mov_b32_e32 v1, v18
	ds_write_b64 v52, v[0:1] offset:4096
.LBB49_28:                              ;   in Loop: Header=BB49_7 Depth=2
	s_andn2_saveexec_b64 s[18:19], s[18:19]
	s_cbranch_execz .LBB49_30
; %bb.29:                               ;   in Loop: Header=BB49_7 Depth=2
	ds_write_b64 v52, v[18:19] offset:4096
.LBB49_30:                              ;   in Loop: Header=BB49_7 Depth=2
	s_or_b64 exec, exec, s[18:19]
.LBB49_31:                              ;   in Loop: Header=BB49_7 Depth=2
	s_or_b64 exec, exec, s[12:13]
	s_or_b64 s[12:13], s[10:11], vcc
	s_or_b64 s[12:13], s[14:15], s[12:13]
	s_or_b64 s[12:13], s[12:13], s[46:47]
	s_xor_b64 s[12:13], s[12:13], -1
	s_and_saveexec_b64 s[14:15], s[12:13]
	s_xor_b64 s[12:13], exec, s[14:15]
	s_cbranch_execz .LBB49_33
; %bb.32:                               ;   in Loop: Header=BB49_7 Depth=2
	v_add_co_u32_e32 v0, vcc, v38, v32
	v_addc_co_u32_e32 v1, vcc, v39, v33, vcc
	global_load_dwordx2 v[0:1], v[0:1], off offset:128
	s_waitcnt vmcnt(0)
	ds_write_b64 v52, v[0:1] offset:4224
.LBB49_33:                              ;   in Loop: Header=BB49_7 Depth=2
	s_andn2_saveexec_b64 s[12:13], s[12:13]
	s_cbranch_execz .LBB49_39
; %bb.34:                               ;   in Loop: Header=BB49_7 Depth=2
	s_and_saveexec_b64 s[14:15], s[44:45]
	s_xor_b64 s[14:15], exec, s[14:15]
	s_cbranch_execz .LBB49_36
; %bb.35:                               ;   in Loop: Header=BB49_7 Depth=2
	v_mov_b32_e32 v0, v18
	v_mov_b32_e32 v1, v18
	ds_write_b64 v52, v[0:1] offset:4224
.LBB49_36:                              ;   in Loop: Header=BB49_7 Depth=2
	s_andn2_saveexec_b64 s[14:15], s[14:15]
	s_cbranch_execz .LBB49_38
; %bb.37:                               ;   in Loop: Header=BB49_7 Depth=2
	ds_write_b64 v52, v[18:19] offset:4224
.LBB49_38:                              ;   in Loop: Header=BB49_7 Depth=2
	s_or_b64 exec, exec, s[14:15]
.LBB49_39:                              ;   in Loop: Header=BB49_7 Depth=2
	s_or_b64 exec, exec, s[12:13]
	v_mov_b32_e32 v1, s43
	v_add_co_u32_e32 v0, vcc, s42, v16
	v_addc_co_u32_e32 v1, vcc, v17, v1, vcc
	v_add_co_u32_e32 v2, vcc, v48, v30
	v_addc_co_u32_e32 v3, vcc, v49, v31, vcc
	v_cmp_le_i64_e32 vcc, s[26:27], v[0:1]
	s_or_b64 s[12:13], vcc, s[0:1]
	s_xor_b64 s[12:13], s[12:13], -1
	s_and_saveexec_b64 s[14:15], s[12:13]
	s_xor_b64 s[12:13], exec, s[14:15]
	s_cbranch_execz .LBB49_41
; %bb.40:                               ;   in Loop: Header=BB49_7 Depth=2
	global_load_dwordx2 v[4:5], v[2:3], off offset:-128
	s_waitcnt vmcnt(0)
	ds_write_b64 v54, v[4:5]
.LBB49_41:                              ;   in Loop: Header=BB49_7 Depth=2
	s_andn2_saveexec_b64 s[12:13], s[12:13]
	s_cbranch_execz .LBB49_43
; %bb.42:                               ;   in Loop: Header=BB49_7 Depth=2
	v_mov_b32_e32 v4, v18
	v_mov_b32_e32 v5, v18
	ds_write_b64 v54, v[4:5]
.LBB49_43:                              ;   in Loop: Header=BB49_7 Depth=2
	s_or_b64 exec, exec, s[12:13]
	s_or_b64 s[12:13], vcc, s[2:3]
	s_xor_b64 s[12:13], s[12:13], -1
	s_and_saveexec_b64 s[14:15], s[12:13]
	s_xor_b64 s[12:13], exec, s[14:15]
	s_cbranch_execz .LBB49_45
; %bb.44:                               ;   in Loop: Header=BB49_7 Depth=2
	global_load_dwordx2 v[2:3], v[2:3], off
	s_waitcnt vmcnt(0)
	ds_write_b64 v54, v[2:3] offset:128
.LBB49_45:                              ;   in Loop: Header=BB49_7 Depth=2
	s_andn2_saveexec_b64 s[12:13], s[12:13]
	s_cbranch_execz .LBB49_47
; %bb.46:                               ;   in Loop: Header=BB49_7 Depth=2
	v_mov_b32_e32 v2, v18
	v_mov_b32_e32 v3, v18
	ds_write_b64 v54, v[2:3] offset:128
.LBB49_47:                              ;   in Loop: Header=BB49_7 Depth=2
	s_or_b64 exec, exec, s[12:13]
	v_cmp_le_i64_e32 vcc, s[34:35], v[0:1]
	s_or_b64 s[12:13], vcc, s[0:1]
	s_xor_b64 s[12:13], s[12:13], -1
	s_and_saveexec_b64 s[14:15], s[12:13]
	s_xor_b64 s[14:15], exec, s[14:15]
	s_cbranch_execz .LBB49_49
; %bb.48:                               ;   in Loop: Header=BB49_7 Depth=2
	v_add_co_u32_e64 v0, s[12:13], v48, v40
	v_addc_co_u32_e64 v1, s[12:13], v49, v41, s[12:13]
	global_load_dwordx2 v[0:1], v[0:1], off offset:-128
	s_waitcnt vmcnt(0)
	ds_write_b64 v54, v[0:1] offset:4096
.LBB49_49:                              ;   in Loop: Header=BB49_7 Depth=2
	s_andn2_saveexec_b64 s[12:13], s[14:15]
	s_cbranch_execz .LBB49_51
; %bb.50:                               ;   in Loop: Header=BB49_7 Depth=2
	v_mov_b32_e32 v0, v18
	v_mov_b32_e32 v1, v18
	ds_write_b64 v54, v[0:1] offset:4096
.LBB49_51:                              ;   in Loop: Header=BB49_7 Depth=2
	s_or_b64 exec, exec, s[12:13]
	s_or_b64 s[12:13], vcc, s[2:3]
	s_xor_b64 s[12:13], s[12:13], -1
	s_and_saveexec_b64 s[14:15], s[12:13]
	s_xor_b64 s[12:13], exec, s[14:15]
	s_cbranch_execz .LBB49_53
; %bb.52:                               ;   in Loop: Header=BB49_7 Depth=2
	v_add_co_u32_e32 v0, vcc, v48, v40
	v_addc_co_u32_e32 v1, vcc, v49, v41, vcc
	global_load_dwordx2 v[0:1], v[0:1], off
	s_waitcnt vmcnt(0)
	ds_write_b64 v54, v[0:1] offset:4224
.LBB49_53:                              ;   in Loop: Header=BB49_7 Depth=2
	s_andn2_saveexec_b64 s[12:13], s[12:13]
	s_cbranch_execz .LBB49_6
; %bb.54:                               ;   in Loop: Header=BB49_7 Depth=2
	v_mov_b32_e32 v0, v18
	v_mov_b32_e32 v1, v18
	ds_write_b64 v54, v[0:1] offset:4224
	s_branch .LBB49_6
.LBB49_55:                              ;   in Loop: Header=BB49_4 Depth=1
	v_mul_lo_u32 v2, v21, s20
	v_mul_lo_u32 v3, v20, s21
	v_mad_u64_u32 v[0:1], s[8:9], v20, s20, 0
	v_add3_u32 v1, v1, v3, v2
	v_lshlrev_b64 v[0:1], 3, v[0:1]
	v_mov_b32_e32 v2, s53
	v_add_co_u32_e64 v0, s[8:9], s52, v0
	v_cmp_gt_i32_e32 vcc, s26, v20
	v_addc_co_u32_e64 v1, s[8:9], v2, v1, s[8:9]
	s_and_b64 s[8:9], s[4:5], vcc
	s_and_saveexec_b64 s[10:11], s[8:9]
	s_cbranch_execz .LBB49_57
; %bb.56:                               ;   in Loop: Header=BB49_4 Depth=1
	v_add_co_u32_e64 v2, s[8:9], v0, v8
	v_addc_co_u32_e64 v3, s[8:9], v1, v9, s[8:9]
	global_load_dwordx2 v[4:5], v[2:3], off
	s_waitcnt vmcnt(0)
	v_fmac_f64_e32 v[4:5], s[28:29], v[36:37]
	global_store_dwordx2 v[2:3], v[4:5], off
.LBB49_57:                              ;   in Loop: Header=BB49_4 Depth=1
	s_or_b64 exec, exec, s[10:11]
	s_and_b64 s[10:11], s[16:17], vcc
	s_and_saveexec_b64 s[8:9], s[10:11]
	s_cbranch_execz .LBB49_59
; %bb.58:                               ;   in Loop: Header=BB49_4 Depth=1
	v_lshlrev_b64 v[2:3], 3, v[12:13]
	v_add_co_u32_e32 v0, vcc, v0, v2
	v_addc_co_u32_e32 v1, vcc, v1, v3, vcc
	global_load_dwordx2 v[2:3], v[0:1], off
	s_waitcnt vmcnt(0)
	v_fmac_f64_e32 v[2:3], s[28:29], v[26:27]
	global_store_dwordx2 v[0:1], v[2:3], off
.LBB49_59:                              ;   in Loop: Header=BB49_4 Depth=1
	s_or_b64 exec, exec, s[8:9]
	v_add_u32_e32 v0, 16, v20
	v_ashrrev_i32_e32 v1, 31, v0
	v_cmp_gt_i32_e32 vcc, s26, v0
	v_mul_lo_u32 v2, v1, s20
	v_mul_lo_u32 v3, v0, s21
	v_mad_u64_u32 v[0:1], s[8:9], v0, s20, 0
	v_add3_u32 v1, v1, v3, v2
	v_lshlrev_b64 v[0:1], 3, v[0:1]
	v_mov_b32_e32 v2, s53
	v_add_co_u32_e64 v0, s[8:9], s52, v0
	v_addc_co_u32_e64 v1, s[8:9], v2, v1, s[8:9]
	s_and_b64 s[8:9], s[4:5], vcc
	s_and_saveexec_b64 s[10:11], s[8:9]
	s_cbranch_execz .LBB49_61
; %bb.60:                               ;   in Loop: Header=BB49_4 Depth=1
	v_add_co_u32_e64 v2, s[8:9], v0, v8
	v_addc_co_u32_e64 v3, s[8:9], v1, v9, s[8:9]
	global_load_dwordx2 v[4:5], v[2:3], off
	s_waitcnt vmcnt(0)
	v_fmac_f64_e32 v[4:5], s[28:29], v[24:25]
	global_store_dwordx2 v[2:3], v[4:5], off
.LBB49_61:                              ;   in Loop: Header=BB49_4 Depth=1
	s_or_b64 exec, exec, s[10:11]
	s_and_b64 s[10:11], s[16:17], vcc
	s_and_saveexec_b64 s[8:9], s[10:11]
	s_cbranch_execz .LBB49_3
; %bb.62:                               ;   in Loop: Header=BB49_4 Depth=1
	v_lshlrev_b64 v[2:3], 3, v[12:13]
	v_add_co_u32_e32 v0, vcc, v0, v2
	v_addc_co_u32_e32 v1, vcc, v1, v3, vcc
	global_load_dwordx2 v[2:3], v[0:1], off
	s_waitcnt vmcnt(0)
	v_fmac_f64_e32 v[2:3], s[28:29], v[22:23]
	global_store_dwordx2 v[0:1], v[2:3], off
	s_branch .LBB49_3
.LBB49_63:
	s_endpgm
	.section	.rodata,"a",@progbits
	.p2align	6, 0x0
	.amdhsa_kernel _ZL30rocblas_trmm_outofplace_kernelIdLi32ELi2ELb0ELb0ELb0ELb0EdKddEv17rocblas_diagonal_iiT6_lPT7_lllS4_lllPT8_llli
		.amdhsa_group_segment_fixed_size 16384
		.amdhsa_private_segment_fixed_size 0
		.amdhsa_kernarg_size 392
		.amdhsa_user_sgpr_count 6
		.amdhsa_user_sgpr_private_segment_buffer 1
		.amdhsa_user_sgpr_dispatch_ptr 0
		.amdhsa_user_sgpr_queue_ptr 0
		.amdhsa_user_sgpr_kernarg_segment_ptr 1
		.amdhsa_user_sgpr_dispatch_id 0
		.amdhsa_user_sgpr_flat_scratch_init 0
		.amdhsa_user_sgpr_kernarg_preload_length 0
		.amdhsa_user_sgpr_kernarg_preload_offset 0
		.amdhsa_user_sgpr_private_segment_size 0
		.amdhsa_uses_dynamic_stack 0
		.amdhsa_system_sgpr_private_segment_wavefront_offset 0
		.amdhsa_system_sgpr_workgroup_id_x 1
		.amdhsa_system_sgpr_workgroup_id_y 1
		.amdhsa_system_sgpr_workgroup_id_z 1
		.amdhsa_system_sgpr_workgroup_info 0
		.amdhsa_system_vgpr_workitem_id 1
		.amdhsa_next_free_vgpr 80
		.amdhsa_next_free_sgpr 60
		.amdhsa_accum_offset 80
		.amdhsa_reserve_vcc 1
		.amdhsa_reserve_flat_scratch 0
		.amdhsa_float_round_mode_32 0
		.amdhsa_float_round_mode_16_64 0
		.amdhsa_float_denorm_mode_32 3
		.amdhsa_float_denorm_mode_16_64 3
		.amdhsa_dx10_clamp 1
		.amdhsa_ieee_mode 1
		.amdhsa_fp16_overflow 0
		.amdhsa_tg_split 0
		.amdhsa_exception_fp_ieee_invalid_op 0
		.amdhsa_exception_fp_denorm_src 0
		.amdhsa_exception_fp_ieee_div_zero 0
		.amdhsa_exception_fp_ieee_overflow 0
		.amdhsa_exception_fp_ieee_underflow 0
		.amdhsa_exception_fp_ieee_inexact 0
		.amdhsa_exception_int_div_zero 0
	.end_amdhsa_kernel
	.section	.text._ZL30rocblas_trmm_outofplace_kernelIdLi32ELi2ELb0ELb0ELb0ELb0EdKddEv17rocblas_diagonal_iiT6_lPT7_lllS4_lllPT8_llli,"axG",@progbits,_ZL30rocblas_trmm_outofplace_kernelIdLi32ELi2ELb0ELb0ELb0ELb0EdKddEv17rocblas_diagonal_iiT6_lPT7_lllS4_lllPT8_llli,comdat
.Lfunc_end49:
	.size	_ZL30rocblas_trmm_outofplace_kernelIdLi32ELi2ELb0ELb0ELb0ELb0EdKddEv17rocblas_diagonal_iiT6_lPT7_lllS4_lllPT8_llli, .Lfunc_end49-_ZL30rocblas_trmm_outofplace_kernelIdLi32ELi2ELb0ELb0ELb0ELb0EdKddEv17rocblas_diagonal_iiT6_lPT7_lllS4_lllPT8_llli
                                        ; -- End function
	.section	.AMDGPU.csdata,"",@progbits
; Kernel info:
; codeLenInByte = 3312
; NumSgprs: 64
; NumVgprs: 80
; NumAgprs: 0
; TotalNumVgprs: 80
; ScratchSize: 0
; MemoryBound: 1
; FloatMode: 240
; IeeeMode: 1
; LDSByteSize: 16384 bytes/workgroup (compile time only)
; SGPRBlocks: 7
; VGPRBlocks: 9
; NumSGPRsForWavesPerEU: 64
; NumVGPRsForWavesPerEU: 80
; AccumOffset: 80
; Occupancy: 6
; WaveLimiterHint : 0
; COMPUTE_PGM_RSRC2:SCRATCH_EN: 0
; COMPUTE_PGM_RSRC2:USER_SGPR: 6
; COMPUTE_PGM_RSRC2:TRAP_HANDLER: 0
; COMPUTE_PGM_RSRC2:TGID_X_EN: 1
; COMPUTE_PGM_RSRC2:TGID_Y_EN: 1
; COMPUTE_PGM_RSRC2:TGID_Z_EN: 1
; COMPUTE_PGM_RSRC2:TIDIG_COMP_CNT: 1
; COMPUTE_PGM_RSRC3_GFX90A:ACCUM_OFFSET: 19
; COMPUTE_PGM_RSRC3_GFX90A:TG_SPLIT: 0
	.section	.text._ZL30rocblas_trmm_outofplace_kernelIdLi32ELi2ELb0ELb1ELb0ELb0EPKdS0_dEv17rocblas_diagonal_iiT6_lPT7_lllS5_lllPT8_llli,"axG",@progbits,_ZL30rocblas_trmm_outofplace_kernelIdLi32ELi2ELb0ELb1ELb0ELb0EPKdS0_dEv17rocblas_diagonal_iiT6_lPT7_lllS5_lllPT8_llli,comdat
	.globl	_ZL30rocblas_trmm_outofplace_kernelIdLi32ELi2ELb0ELb1ELb0ELb0EPKdS0_dEv17rocblas_diagonal_iiT6_lPT7_lllS5_lllPT8_llli ; -- Begin function _ZL30rocblas_trmm_outofplace_kernelIdLi32ELi2ELb0ELb1ELb0ELb0EPKdS0_dEv17rocblas_diagonal_iiT6_lPT7_lllS5_lllPT8_llli
	.p2align	8
	.type	_ZL30rocblas_trmm_outofplace_kernelIdLi32ELi2ELb0ELb1ELb0ELb0EPKdS0_dEv17rocblas_diagonal_iiT6_lPT7_lllS5_lllPT8_llli,@function
_ZL30rocblas_trmm_outofplace_kernelIdLi32ELi2ELb0ELb1ELb0ELb0EPKdS0_dEv17rocblas_diagonal_iiT6_lPT7_lllS5_lllPT8_llli: ; @_ZL30rocblas_trmm_outofplace_kernelIdLi32ELi2ELb0ELb1ELb0ELb0EPKdS0_dEv17rocblas_diagonal_iiT6_lPT7_lllS5_lllPT8_llli
; %bb.0:
	s_load_dwordx16 s[16:31], s[4:5], 0x10
	s_waitcnt lgkmcnt(0)
	s_mul_i32 s0, s8, s19
	s_mul_hi_u32 s1, s8, s18
	s_add_i32 s1, s1, s0
	s_mul_i32 s0, s8, s18
	s_lshl_b64 s[0:1], s[0:1], 3
	s_add_u32 s0, s16, s0
	s_addc_u32 s1, s17, s1
	s_load_dwordx2 s[34:35], s[0:1], 0x0
	s_waitcnt lgkmcnt(0)
	v_cmp_eq_f64_e64 s[0:1], s[34:35], 0
	s_and_b64 vcc, exec, s[0:1]
	s_cbranch_vccnz .LBB50_63
; %bb.1:
	s_load_dwordx4 s[36:39], s[4:5], 0x0
	s_waitcnt lgkmcnt(0)
	s_add_i32 s0, s38, -1
	s_ashr_i32 s1, s0, 31
	s_lshr_b32 s1, s1, 27
	s_add_i32 s0, s0, s1
	s_ashr_i32 s33, s0, 5
	s_cmp_gt_i32 s7, s33
	s_cbranch_scc1 .LBB50_63
; %bb.2:
	s_load_dwordx4 s[40:43], s[4:5], 0x70
	s_load_dwordx8 s[12:19], s[4:5], 0x50
	s_load_dword s48, s[4:5], 0x8c
	v_and_b32_e32 v10, 0x3ff, v0
	v_bfe_u32 v8, v0, 10, 10
	v_lshl_add_u32 v0, s6, 5, v10
	s_waitcnt lgkmcnt(0)
	s_mul_i32 s0, s8, s43
	s_mul_hi_u32 s1, s8, s42
	s_add_i32 s1, s1, s0
	s_mul_i32 s0, s8, s42
	s_lshl_b64 s[0:1], s[0:1], 3
	s_add_u32 s2, s16, s0
	s_addc_u32 s3, s17, s1
	s_lshl_b64 s[0:1], s[18:19], 3
	s_add_u32 s49, s2, s0
	s_addc_u32 s50, s3, s1
	s_cmpk_eq_i32 s36, 0x84
	s_cselect_b64 s[42:43], -1, 0
	s_ashr_i32 s0, s37, 31
	v_ashrrev_i32_e32 v1, 31, v0
	v_mov_b32_e32 v3, s0
	v_sub_co_u32_e32 v2, vcc, s37, v0
	v_subb_co_u32_e32 v3, vcc, v3, v1, vcc
	v_cmp_gt_i64_e64 s[0:1], 1, v[2:3]
	v_cmp_gt_i64_e64 s[2:3], 17, v[2:3]
	v_mad_u64_u32 v[2:3], s[10:11], s12, v8, 0
	v_sub_co_u32_e32 v54, vcc, 0, v10
	v_mov_b32_e32 v4, v3
	s_ashr_i32 s39, s38, 31
	s_lshl_b64 s[44:45], s[12:13], 8
	v_subb_co_u32_e64 v55, s[10:11], 0, 0, vcc
	v_mad_u64_u32 v[4:5], s[10:11], s13, v8, v[4:5]
	s_add_u32 s46, s38, -16
	s_mul_i32 s9, s15, s8
	s_mul_hi_u32 s10, s14, s8
	s_addc_u32 s47, s39, -1
	s_add_i32 s11, s10, s9
	s_mul_i32 s10, s14, s8
	s_lshl_b32 s6, s48, 5
	s_lshl_b64 s[10:11], s[10:11], 3
	s_lshl_b64 s[14:15], s[30:31], 3
	s_add_u32 s9, s10, s14
	s_addc_u32 s10, s11, s15
	s_add_u32 s9, s28, s9
	v_lshlrev_b64 v[22:23], 3, v[0:1]
	s_addc_u32 s10, s29, s10
	v_cmp_gt_i32_e64 s[4:5], s37, v0
	v_add_u32_e32 v16, 16, v0
	v_mov_b32_e32 v0, s10
	v_add_co_u32_e32 v1, vcc, s9, v22
	v_addc_co_u32_e32 v0, vcc, v0, v23, vcc
	s_movk_i32 s9, 0x80
	v_add_co_u32_e32 v24, vcc, s9, v1
	s_mul_i32 s9, s27, s8
	s_mul_hi_u32 s10, s26, s8
	s_add_i32 s9, s10, s9
	s_mul_i32 s8, s26, s8
	s_lshl_b64 s[8:9], s[8:9], 3
	s_lshl_b64 s[10:11], s[22:23], 3
	s_add_u32 s8, s8, s10
	v_addc_co_u32_e32 v25, vcc, 0, v0, vcc
	s_addc_u32 s9, s9, s11
	v_mov_b32_e32 v0, 0x80
	s_add_u32 s20, s20, s8
	v_lshl_add_u32 v1, v8, 3, v0
	s_addc_u32 s21, s21, s9
	v_mad_u64_u32 v[26:27], s[8:9], s12, v1, 0
	v_lshlrev_b32_e32 v14, 3, v10
	v_mov_b32_e32 v0, v27
	v_lshlrev_b32_e32 v11, 8, v8
	v_or_b32_e32 v52, 0x2000, v14
	v_mov_b32_e32 v3, v4
	v_mad_u64_u32 v[0:1], s[8:9], s13, v1, v[0:1]
	v_mov_b32_e32 v12, 0
	v_add_u32_e32 v15, v11, v14
	v_add_u32_e32 v53, v52, v11
	v_cmp_gt_i32_e64 s[16:17], s37, v16
	v_ashrrev_i32_e32 v17, 31, v16
	v_lshl_add_u32 v18, s7, 5, v8
	v_lshlrev_b64 v[20:21], 3, v[2:3]
	s_lshl_b64 s[22:23], s[24:25], 3
	v_mov_b32_e32 v9, v0
	v_mov_b32_e32 v13, 0x3ff00000
	s_branch .LBB50_4
.LBB50_3:                               ;   in Loop: Header=BB50_4 Depth=1
	s_or_b64 exec, exec, s[8:9]
	s_add_i32 s7, s48, s7
	s_cmp_le_i32 s7, s33
	v_add_u32_e32 v18, s6, v18
	s_cbranch_scc0 .LBB50_63
.LBB50_4:                               ; =>This Loop Header: Depth=1
                                        ;     Child Loop BB50_7 Depth 2
	s_lshl_b32 s51, s7, 5
	v_add_u32_e32 v28, s51, v8
	v_pk_mov_b32 v[38:39], 0, 0
	v_ashrrev_i32_e32 v29, 31, v28
	s_cmp_lt_i32 s7, 0
	v_pk_mov_b32 v[34:35], v[38:39], v[38:39] op_sel:[0,1]
	v_pk_mov_b32 v[32:33], v[38:39], v[38:39] op_sel:[0,1]
	;; [unrolled: 1-line block ×3, first 2 shown]
	s_cbranch_scc1 .LBB50_55
; %bb.5:                                ;   in Loop: Header=BB50_4 Depth=1
	v_ashrrev_i32_e32 v19, 31, v18
	v_pk_mov_b32 v[0:1], s[20:21], s[20:21] op_sel:[0,1]
	v_add_co_u32_e32 v36, vcc, v54, v18
	v_mad_u64_u32 v[40:41], s[8:9], s22, v18, v[0:1]
	v_mul_lo_u32 v2, s23, v18
	v_mul_lo_u32 v3, s22, v19
	v_addc_co_u32_e32 v37, vcc, v55, v19, vcc
	v_add3_u32 v41, v2, v41, v3
	v_lshlrev_b64 v[2:3], 3, v[18:19]
	v_add_co_u32_e32 v2, vcc, 0x80, v2
	v_addc_co_u32_e32 v3, vcc, 0, v3, vcc
	v_add_co_u32_e32 v44, vcc, 16, v28
	v_addc_co_u32_e32 v45, vcc, 0, v29, vcc
	;; [unrolled: 2-line block ×3, first 2 shown]
	v_mul_lo_u32 v3, s24, v3
	v_mul_lo_u32 v4, s25, v2
	v_mad_u64_u32 v[42:43], s[8:9], s24, v2, v[0:1]
	v_add_co_u32_e32 v48, vcc, -16, v36
	v_pk_mov_b32 v[30:31], 0, 0
	v_add3_u32 v43, v4, v43, v3
	v_cmp_le_i32_e64 s[8:9], s38, v28
	v_cmp_le_i64_e64 s[10:11], s[38:39], v[44:45]
	v_addc_co_u32_e32 v49, vcc, -1, v37, vcc
	s_mov_b64 s[26:27], 0
	v_pk_mov_b32 v[50:51], v[24:25], v[24:25] op_sel:[0,1]
	v_pk_mov_b32 v[32:33], v[30:31], v[30:31] op_sel:[0,1]
	;; [unrolled: 1-line block ×4, first 2 shown]
	s_branch .LBB50_7
.LBB50_6:                               ;   in Loop: Header=BB50_7 Depth=2
	s_or_b64 exec, exec, s[12:13]
	s_waitcnt lgkmcnt(0)
	s_barrier
	ds_read2_b64 v[56:59], v52 offset1:16
	ds_read_b128 v[60:63], v11
	ds_read_b128 v[64:67], v11 offset:16
	ds_read_b128 v[4:7], v11 offset:32
	;; [unrolled: 1-line block ×4, first 2 shown]
	ds_read2_b64 v[72:75], v52 offset0:32 offset1:48
	s_waitcnt lgkmcnt(5)
	v_fmac_f64_e32 v[38:39], v[56:57], v[60:61]
	v_fmac_f64_e32 v[34:35], v[58:59], v[60:61]
	ds_read_b128 v[76:79], v11 offset:4112
	s_waitcnt lgkmcnt(2)
	v_fmac_f64_e32 v[32:33], v[56:57], v[68:69]
	v_fmac_f64_e32 v[30:31], v[58:59], v[68:69]
	ds_read2_b64 v[56:59], v52 offset0:64 offset1:80
	s_waitcnt lgkmcnt(2)
	v_fmac_f64_e32 v[38:39], v[72:73], v[62:63]
	v_fmac_f64_e32 v[34:35], v[74:75], v[62:63]
	ds_read2_b64 v[60:63], v52 offset0:96 offset1:112
	v_fmac_f64_e32 v[32:33], v[72:73], v[70:71]
	v_fmac_f64_e32 v[30:31], v[74:75], v[70:71]
	ds_read_b128 v[68:71], v11 offset:4144
	s_waitcnt lgkmcnt(2)
	v_fmac_f64_e32 v[38:39], v[56:57], v[64:65]
	v_fmac_f64_e32 v[34:35], v[58:59], v[64:65]
	;; [unrolled: 1-line block ×4, first 2 shown]
	s_waitcnt lgkmcnt(1)
	v_fmac_f64_e32 v[38:39], v[60:61], v[66:67]
	ds_read2_b64 v[56:59], v52 offset0:128 offset1:144
	v_fmac_f64_e32 v[34:35], v[62:63], v[66:67]
	v_fmac_f64_e32 v[32:33], v[60:61], v[78:79]
	;; [unrolled: 1-line block ×3, first 2 shown]
	ds_read_b128 v[60:63], v11 offset:4128
	ds_read2_b64 v[64:67], v52 offset0:160 offset1:176
	s_waitcnt lgkmcnt(2)
	v_fmac_f64_e32 v[38:39], v[56:57], v[4:5]
	v_fmac_f64_e32 v[34:35], v[58:59], v[4:5]
	v_add_u32_e32 v19, 0x800, v52
	s_waitcnt lgkmcnt(1)
	v_fmac_f64_e32 v[32:33], v[56:57], v[60:61]
	v_fmac_f64_e32 v[30:31], v[58:59], v[60:61]
	ds_read2_b64 v[56:59], v52 offset0:192 offset1:208
	s_waitcnt lgkmcnt(1)
	v_fmac_f64_e32 v[38:39], v[64:65], v[6:7]
	v_fmac_f64_e32 v[34:35], v[66:67], v[6:7]
	ds_read2_b64 v[4:7], v52 offset0:224 offset1:240
	v_fmac_f64_e32 v[32:33], v[64:65], v[62:63]
	v_fmac_f64_e32 v[30:31], v[66:67], v[62:63]
	s_waitcnt lgkmcnt(1)
	v_fmac_f64_e32 v[38:39], v[56:57], v[0:1]
	v_fmac_f64_e32 v[34:35], v[58:59], v[0:1]
	;; [unrolled: 1-line block ×4, first 2 shown]
	s_waitcnt lgkmcnt(0)
	v_fmac_f64_e32 v[38:39], v[4:5], v[2:3]
	v_fmac_f64_e32 v[34:35], v[6:7], v[2:3]
	ds_read2_b64 v[0:3], v19 offset1:16
	ds_read_b128 v[56:59], v11 offset:64
	v_fmac_f64_e32 v[32:33], v[4:5], v[70:71]
	v_fmac_f64_e32 v[30:31], v[6:7], v[70:71]
	ds_read_b128 v[4:7], v11 offset:80
	ds_read_b128 v[60:63], v11 offset:4160
	ds_read2_b64 v[64:67], v19 offset0:32 offset1:48
	s_waitcnt lgkmcnt(3)
	v_fmac_f64_e32 v[38:39], v[0:1], v[56:57]
	v_fmac_f64_e32 v[34:35], v[2:3], v[56:57]
	ds_read_b128 v[68:71], v11 offset:4176
	s_waitcnt lgkmcnt(2)
	v_fmac_f64_e32 v[32:33], v[0:1], v[60:61]
	v_fmac_f64_e32 v[30:31], v[2:3], v[60:61]
	ds_read2_b64 v[0:3], v19 offset0:64 offset1:80
	s_waitcnt lgkmcnt(2)
	v_fmac_f64_e32 v[38:39], v[64:65], v[58:59]
	v_fmac_f64_e32 v[34:35], v[66:67], v[58:59]
	ds_read2_b64 v[56:59], v19 offset0:96 offset1:112
	v_fmac_f64_e32 v[32:33], v[64:65], v[62:63]
	v_fmac_f64_e32 v[30:31], v[66:67], v[62:63]
	s_waitcnt lgkmcnt(1)
	v_fmac_f64_e32 v[38:39], v[0:1], v[4:5]
	v_fmac_f64_e32 v[34:35], v[2:3], v[4:5]
	v_fmac_f64_e32 v[32:33], v[0:1], v[68:69]
	v_fmac_f64_e32 v[30:31], v[2:3], v[68:69]
	s_waitcnt lgkmcnt(0)
	v_fmac_f64_e32 v[38:39], v[56:57], v[6:7]
	v_fmac_f64_e32 v[34:35], v[58:59], v[6:7]
	ds_read2_b64 v[0:3], v19 offset0:128 offset1:144
	ds_read_b128 v[4:7], v11 offset:96
	v_fmac_f64_e32 v[32:33], v[56:57], v[70:71]
	v_fmac_f64_e32 v[30:31], v[58:59], v[70:71]
	ds_read_b128 v[56:59], v11 offset:112
	ds_read_b128 v[60:63], v11 offset:4192
	ds_read2_b64 v[64:67], v19 offset0:160 offset1:176
	s_waitcnt lgkmcnt(3)
	v_fmac_f64_e32 v[38:39], v[0:1], v[4:5]
	v_fmac_f64_e32 v[34:35], v[2:3], v[4:5]
	ds_read_b128 v[68:71], v11 offset:4208
	s_waitcnt lgkmcnt(2)
	v_fmac_f64_e32 v[32:33], v[0:1], v[60:61]
	v_fmac_f64_e32 v[30:31], v[2:3], v[60:61]
	ds_read2_b64 v[0:3], v19 offset0:192 offset1:208
	s_waitcnt lgkmcnt(2)
	v_fmac_f64_e32 v[38:39], v[64:65], v[6:7]
	v_fmac_f64_e32 v[34:35], v[66:67], v[6:7]
	ds_read2_b64 v[4:7], v19 offset0:224 offset1:240
	v_fmac_f64_e32 v[32:33], v[64:65], v[62:63]
	v_fmac_f64_e32 v[30:31], v[66:67], v[62:63]
	s_waitcnt lgkmcnt(1)
	v_fmac_f64_e32 v[38:39], v[0:1], v[56:57]
	v_fmac_f64_e32 v[34:35], v[2:3], v[56:57]
	;; [unrolled: 1-line block ×4, first 2 shown]
	v_add_u32_e32 v19, 0x1000, v52
	s_waitcnt lgkmcnt(0)
	v_fmac_f64_e32 v[38:39], v[4:5], v[58:59]
	v_fmac_f64_e32 v[34:35], v[6:7], v[58:59]
	ds_read2_b64 v[0:3], v19 offset1:16
	ds_read_b128 v[56:59], v11 offset:128
	v_fmac_f64_e32 v[32:33], v[4:5], v[70:71]
	v_fmac_f64_e32 v[30:31], v[6:7], v[70:71]
	ds_read_b128 v[4:7], v11 offset:144
	ds_read_b128 v[60:63], v11 offset:4224
	ds_read2_b64 v[64:67], v19 offset0:32 offset1:48
	s_waitcnt lgkmcnt(3)
	v_fmac_f64_e32 v[38:39], v[0:1], v[56:57]
	v_fmac_f64_e32 v[34:35], v[2:3], v[56:57]
	ds_read_b128 v[68:71], v11 offset:4240
	s_waitcnt lgkmcnt(2)
	v_fmac_f64_e32 v[32:33], v[0:1], v[60:61]
	v_fmac_f64_e32 v[30:31], v[2:3], v[60:61]
	ds_read2_b64 v[0:3], v19 offset0:64 offset1:80
	s_waitcnt lgkmcnt(2)
	v_fmac_f64_e32 v[38:39], v[64:65], v[58:59]
	v_fmac_f64_e32 v[34:35], v[66:67], v[58:59]
	ds_read2_b64 v[56:59], v19 offset0:96 offset1:112
	v_fmac_f64_e32 v[32:33], v[64:65], v[62:63]
	v_fmac_f64_e32 v[30:31], v[66:67], v[62:63]
	s_waitcnt lgkmcnt(1)
	v_fmac_f64_e32 v[38:39], v[0:1], v[4:5]
	v_fmac_f64_e32 v[34:35], v[2:3], v[4:5]
	;; [unrolled: 1-line block ×4, first 2 shown]
	s_waitcnt lgkmcnt(0)
	v_fmac_f64_e32 v[38:39], v[56:57], v[6:7]
	v_fmac_f64_e32 v[34:35], v[58:59], v[6:7]
	ds_read2_b64 v[0:3], v19 offset0:128 offset1:144
	ds_read_b128 v[4:7], v11 offset:160
	v_fmac_f64_e32 v[32:33], v[56:57], v[70:71]
	v_fmac_f64_e32 v[30:31], v[58:59], v[70:71]
	ds_read_b128 v[56:59], v11 offset:176
	ds_read_b128 v[60:63], v11 offset:4256
	ds_read2_b64 v[64:67], v19 offset0:160 offset1:176
	s_waitcnt lgkmcnt(3)
	v_fmac_f64_e32 v[38:39], v[0:1], v[4:5]
	v_fmac_f64_e32 v[34:35], v[2:3], v[4:5]
	ds_read_b128 v[68:71], v11 offset:4272
	s_waitcnt lgkmcnt(2)
	v_fmac_f64_e32 v[32:33], v[0:1], v[60:61]
	v_fmac_f64_e32 v[30:31], v[2:3], v[60:61]
	ds_read2_b64 v[0:3], v19 offset0:192 offset1:208
	s_waitcnt lgkmcnt(2)
	v_fmac_f64_e32 v[38:39], v[64:65], v[6:7]
	v_fmac_f64_e32 v[34:35], v[66:67], v[6:7]
	ds_read2_b64 v[4:7], v19 offset0:224 offset1:240
	v_fmac_f64_e32 v[32:33], v[64:65], v[62:63]
	v_fmac_f64_e32 v[30:31], v[66:67], v[62:63]
	s_waitcnt lgkmcnt(1)
	v_fmac_f64_e32 v[38:39], v[0:1], v[56:57]
	v_fmac_f64_e32 v[34:35], v[2:3], v[56:57]
	;; [unrolled: 1-line block ×4, first 2 shown]
	v_add_u32_e32 v19, 0x1800, v52
	s_waitcnt lgkmcnt(0)
	v_fmac_f64_e32 v[38:39], v[4:5], v[58:59]
	v_fmac_f64_e32 v[34:35], v[6:7], v[58:59]
	ds_read2_b64 v[0:3], v19 offset1:16
	ds_read_b128 v[56:59], v11 offset:192
	v_fmac_f64_e32 v[32:33], v[4:5], v[70:71]
	v_fmac_f64_e32 v[30:31], v[6:7], v[70:71]
	ds_read_b128 v[4:7], v11 offset:208
	ds_read_b128 v[60:63], v11 offset:4288
	ds_read2_b64 v[64:67], v19 offset0:32 offset1:48
	s_waitcnt lgkmcnt(3)
	v_fmac_f64_e32 v[38:39], v[0:1], v[56:57]
	v_fmac_f64_e32 v[34:35], v[2:3], v[56:57]
	ds_read_b128 v[68:71], v11 offset:4304
	s_waitcnt lgkmcnt(2)
	v_fmac_f64_e32 v[32:33], v[0:1], v[60:61]
	v_fmac_f64_e32 v[30:31], v[2:3], v[60:61]
	ds_read2_b64 v[0:3], v19 offset0:64 offset1:80
	s_waitcnt lgkmcnt(2)
	v_fmac_f64_e32 v[38:39], v[64:65], v[58:59]
	v_fmac_f64_e32 v[34:35], v[66:67], v[58:59]
	ds_read2_b64 v[56:59], v19 offset0:96 offset1:112
	v_fmac_f64_e32 v[32:33], v[64:65], v[62:63]
	v_fmac_f64_e32 v[30:31], v[66:67], v[62:63]
	s_waitcnt lgkmcnt(1)
	v_fmac_f64_e32 v[38:39], v[0:1], v[4:5]
	v_fmac_f64_e32 v[34:35], v[2:3], v[4:5]
	v_fmac_f64_e32 v[32:33], v[0:1], v[68:69]
	v_fmac_f64_e32 v[30:31], v[2:3], v[68:69]
	s_waitcnt lgkmcnt(0)
	v_fmac_f64_e32 v[38:39], v[56:57], v[6:7]
	v_fmac_f64_e32 v[34:35], v[58:59], v[6:7]
	ds_read2_b64 v[0:3], v19 offset0:128 offset1:144
	ds_read_b128 v[4:7], v11 offset:224
	v_fmac_f64_e32 v[32:33], v[56:57], v[70:71]
	v_fmac_f64_e32 v[30:31], v[58:59], v[70:71]
	ds_read_b128 v[56:59], v11 offset:240
	ds_read_b128 v[60:63], v11 offset:4320
	ds_read2_b64 v[64:67], v19 offset0:160 offset1:176
	s_waitcnt lgkmcnt(3)
	v_fmac_f64_e32 v[38:39], v[0:1], v[4:5]
	v_fmac_f64_e32 v[34:35], v[2:3], v[4:5]
	ds_read_b128 v[68:71], v11 offset:4336
	s_waitcnt lgkmcnt(2)
	v_fmac_f64_e32 v[32:33], v[0:1], v[60:61]
	v_fmac_f64_e32 v[30:31], v[2:3], v[60:61]
	ds_read2_b64 v[0:3], v19 offset0:192 offset1:208
	s_waitcnt lgkmcnt(2)
	v_fmac_f64_e32 v[38:39], v[64:65], v[6:7]
	v_fmac_f64_e32 v[32:33], v[64:65], v[62:63]
	;; [unrolled: 1-line block ×3, first 2 shown]
	ds_read2_b64 v[4:7], v19 offset0:224 offset1:240
	s_waitcnt lgkmcnt(1)
	v_fmac_f64_e32 v[38:39], v[0:1], v[56:57]
	v_fmac_f64_e32 v[32:33], v[0:1], v[68:69]
	v_mov_b32_e32 v0, s45
	v_add_co_u32_e32 v50, vcc, s44, v50
	v_addc_co_u32_e32 v51, vcc, v51, v0, vcc
	v_add_co_u32_e32 v40, vcc, 0x100, v40
	v_fmac_f64_e32 v[30:31], v[66:67], v[62:63]
	s_add_u32 s26, s26, 32
	v_addc_co_u32_e32 v41, vcc, 0, v41, vcc
	v_fmac_f64_e32 v[34:35], v[2:3], v[56:57]
	v_fmac_f64_e32 v[30:31], v[2:3], v[68:69]
	s_addc_u32 s27, s27, 0
	s_sub_i32 s12, s26, 32
	v_add_co_u32_e32 v42, vcc, 0x100, v42
	s_waitcnt lgkmcnt(0)
	v_fmac_f64_e32 v[38:39], v[4:5], v[58:59]
	v_fmac_f64_e32 v[34:35], v[6:7], v[58:59]
	;; [unrolled: 1-line block ×4, first 2 shown]
	s_cmp_ge_i32 s12, s51
	v_addc_co_u32_e32 v43, vcc, 0, v43, vcc
	s_barrier
	s_cbranch_scc1 .LBB50_55
.LBB50_7:                               ;   Parent Loop BB50_4 Depth=1
                                        ; =>  This Inner Loop Header: Depth=2
	v_mov_b32_e32 v1, s27
	v_add_co_u32_e32 v0, vcc, s26, v10
	v_addc_co_u32_e32 v1, vcc, 0, v1, vcc
	v_add_co_u32_e32 v2, vcc, v40, v14
	v_addc_co_u32_e32 v3, vcc, 0, v41, vcc
	v_cmp_eq_u64_e32 vcc, s[26:27], v[36:37]
	s_and_b64 s[30:31], s[42:43], vcc
	v_cmp_gt_i64_e32 vcc, v[0:1], v[28:29]
	s_or_b64 s[14:15], s[8:9], vcc
	v_cmp_le_i64_e64 s[12:13], s[38:39], v[0:1]
	s_or_b64 s[14:15], s[14:15], s[30:31]
	s_or_b64 s[14:15], s[12:13], s[14:15]
	s_xor_b64 s[14:15], s[14:15], -1
	s_and_saveexec_b64 s[18:19], s[14:15]
	s_xor_b64 s[14:15], exec, s[18:19]
	s_cbranch_execz .LBB50_9
; %bb.8:                                ;   in Loop: Header=BB50_7 Depth=2
	global_load_dwordx2 v[4:5], v[2:3], off
	s_waitcnt vmcnt(0)
	ds_write_b64 v15, v[4:5]
.LBB50_9:                               ;   in Loop: Header=BB50_7 Depth=2
	s_or_saveexec_b64 s[14:15], s[14:15]
	s_xor_b64 s[28:29], s[30:31], -1
	s_xor_b64 exec, exec, s[14:15]
	s_cbranch_execz .LBB50_15
; %bb.10:                               ;   in Loop: Header=BB50_7 Depth=2
	s_and_saveexec_b64 s[18:19], s[28:29]
	s_xor_b64 s[18:19], exec, s[18:19]
	s_cbranch_execz .LBB50_12
; %bb.11:                               ;   in Loop: Header=BB50_7 Depth=2
	v_mov_b32_e32 v4, v12
	v_mov_b32_e32 v5, v12
	ds_write_b64 v15, v[4:5]
.LBB50_12:                              ;   in Loop: Header=BB50_7 Depth=2
	s_andn2_saveexec_b64 s[18:19], s[18:19]
	s_cbranch_execz .LBB50_14
; %bb.13:                               ;   in Loop: Header=BB50_7 Depth=2
	ds_write_b64 v15, v[12:13]
.LBB50_14:                              ;   in Loop: Header=BB50_7 Depth=2
	s_or_b64 exec, exec, s[18:19]
.LBB50_15:                              ;   in Loop: Header=BB50_7 Depth=2
	s_or_b64 exec, exec, s[14:15]
	v_add_co_u32_e64 v4, s[14:15], 16, v0
	v_addc_co_u32_e64 v5, s[14:15], 0, v1, s[14:15]
	v_cmp_eq_u64_e64 s[14:15], s[26:27], v[48:49]
	v_cmp_gt_i64_e64 s[18:19], v[4:5], v[28:29]
	s_and_b64 s[36:37], s[42:43], s[14:15]
	s_or_b64 s[18:19], s[8:9], s[18:19]
	v_cmp_le_i64_e64 s[14:15], s[38:39], v[4:5]
	s_or_b64 s[18:19], s[18:19], s[36:37]
	s_or_b64 s[18:19], s[14:15], s[18:19]
	s_xor_b64 s[18:19], s[18:19], -1
	s_and_saveexec_b64 s[52:53], s[18:19]
	s_xor_b64 s[18:19], exec, s[52:53]
	s_cbranch_execz .LBB50_17
; %bb.16:                               ;   in Loop: Header=BB50_7 Depth=2
	global_load_dwordx2 v[2:3], v[2:3], off offset:128
	s_waitcnt vmcnt(0)
	ds_write_b64 v15, v[2:3] offset:128
.LBB50_17:                              ;   in Loop: Header=BB50_7 Depth=2
	s_andn2_saveexec_b64 s[18:19], s[18:19]
	s_cbranch_execz .LBB50_23
; %bb.18:                               ;   in Loop: Header=BB50_7 Depth=2
	s_xor_b64 s[36:37], s[36:37], -1
	s_and_saveexec_b64 s[52:53], s[36:37]
	s_xor_b64 s[36:37], exec, s[52:53]
	s_cbranch_execz .LBB50_20
; %bb.19:                               ;   in Loop: Header=BB50_7 Depth=2
	v_mov_b32_e32 v2, v12
	v_mov_b32_e32 v3, v12
	ds_write_b64 v15, v[2:3] offset:128
.LBB50_20:                              ;   in Loop: Header=BB50_7 Depth=2
	s_andn2_saveexec_b64 s[36:37], s[36:37]
	s_cbranch_execz .LBB50_22
; %bb.21:                               ;   in Loop: Header=BB50_7 Depth=2
	ds_write_b64 v15, v[12:13] offset:128
.LBB50_22:                              ;   in Loop: Header=BB50_7 Depth=2
	s_or_b64 exec, exec, s[36:37]
.LBB50_23:                              ;   in Loop: Header=BB50_7 Depth=2
	s_or_b64 exec, exec, s[18:19]
	v_cmp_eq_u64_e64 s[18:19], s[26:27], v[46:47]
	s_and_b64 s[36:37], s[42:43], s[18:19]
	v_cmp_gt_i64_e64 s[18:19], v[0:1], v[44:45]
	s_or_b64 s[18:19], s[10:11], s[18:19]
	s_or_b64 s[18:19], s[18:19], s[36:37]
	;; [unrolled: 1-line block ×3, first 2 shown]
	s_xor_b64 s[12:13], s[12:13], -1
	s_and_saveexec_b64 s[18:19], s[12:13]
	s_xor_b64 s[18:19], exec, s[18:19]
	s_cbranch_execz .LBB50_25
; %bb.24:                               ;   in Loop: Header=BB50_7 Depth=2
	v_add_co_u32_e64 v0, s[12:13], v42, v14
	v_addc_co_u32_e64 v1, s[12:13], 0, v43, s[12:13]
	global_load_dwordx2 v[0:1], v[0:1], off
	s_waitcnt vmcnt(0)
	ds_write_b64 v15, v[0:1] offset:4096
.LBB50_25:                              ;   in Loop: Header=BB50_7 Depth=2
	s_andn2_saveexec_b64 s[12:13], s[18:19]
	s_cbranch_execz .LBB50_31
; %bb.26:                               ;   in Loop: Header=BB50_7 Depth=2
	s_xor_b64 s[18:19], s[36:37], -1
	s_and_saveexec_b64 s[36:37], s[18:19]
	s_xor_b64 s[18:19], exec, s[36:37]
	s_cbranch_execz .LBB50_28
; %bb.27:                               ;   in Loop: Header=BB50_7 Depth=2
	v_mov_b32_e32 v0, v12
	v_mov_b32_e32 v1, v12
	ds_write_b64 v15, v[0:1] offset:4096
.LBB50_28:                              ;   in Loop: Header=BB50_7 Depth=2
	s_andn2_saveexec_b64 s[18:19], s[18:19]
	s_cbranch_execz .LBB50_30
; %bb.29:                               ;   in Loop: Header=BB50_7 Depth=2
	ds_write_b64 v15, v[12:13] offset:4096
.LBB50_30:                              ;   in Loop: Header=BB50_7 Depth=2
	s_or_b64 exec, exec, s[18:19]
.LBB50_31:                              ;   in Loop: Header=BB50_7 Depth=2
	s_or_b64 exec, exec, s[12:13]
	s_or_b64 s[12:13], s[10:11], vcc
	s_or_b64 s[12:13], s[12:13], s[30:31]
	s_or_b64 s[12:13], s[14:15], s[12:13]
	s_xor_b64 s[12:13], s[12:13], -1
	s_and_saveexec_b64 s[14:15], s[12:13]
	s_xor_b64 s[12:13], exec, s[14:15]
	s_cbranch_execz .LBB50_33
; %bb.32:                               ;   in Loop: Header=BB50_7 Depth=2
	v_add_co_u32_e32 v0, vcc, v42, v14
	v_addc_co_u32_e32 v1, vcc, 0, v43, vcc
	global_load_dwordx2 v[0:1], v[0:1], off offset:128
	s_waitcnt vmcnt(0)
	ds_write_b64 v15, v[0:1] offset:4224
.LBB50_33:                              ;   in Loop: Header=BB50_7 Depth=2
	s_andn2_saveexec_b64 s[12:13], s[12:13]
	s_cbranch_execz .LBB50_39
; %bb.34:                               ;   in Loop: Header=BB50_7 Depth=2
	s_and_saveexec_b64 s[14:15], s[28:29]
	s_xor_b64 s[14:15], exec, s[14:15]
	s_cbranch_execz .LBB50_36
; %bb.35:                               ;   in Loop: Header=BB50_7 Depth=2
	v_mov_b32_e32 v0, v12
	v_mov_b32_e32 v1, v12
	ds_write_b64 v15, v[0:1] offset:4224
.LBB50_36:                              ;   in Loop: Header=BB50_7 Depth=2
	s_andn2_saveexec_b64 s[14:15], s[14:15]
	s_cbranch_execz .LBB50_38
; %bb.37:                               ;   in Loop: Header=BB50_7 Depth=2
	ds_write_b64 v15, v[12:13] offset:4224
.LBB50_38:                              ;   in Loop: Header=BB50_7 Depth=2
	s_or_b64 exec, exec, s[14:15]
.LBB50_39:                              ;   in Loop: Header=BB50_7 Depth=2
	s_or_b64 exec, exec, s[12:13]
	v_mov_b32_e32 v1, s27
	v_add_co_u32_e32 v0, vcc, s26, v8
	v_addc_co_u32_e32 v1, vcc, 0, v1, vcc
	v_add_co_u32_e32 v2, vcc, v50, v20
	v_addc_co_u32_e32 v3, vcc, v51, v21, vcc
	v_cmp_le_i64_e32 vcc, s[38:39], v[0:1]
	s_or_b64 s[12:13], vcc, s[0:1]
	s_xor_b64 s[12:13], s[12:13], -1
	s_and_saveexec_b64 s[14:15], s[12:13]
	s_xor_b64 s[12:13], exec, s[14:15]
	s_cbranch_execz .LBB50_41
; %bb.40:                               ;   in Loop: Header=BB50_7 Depth=2
	global_load_dwordx2 v[4:5], v[2:3], off offset:-128
	s_waitcnt vmcnt(0)
	ds_write_b64 v53, v[4:5]
.LBB50_41:                              ;   in Loop: Header=BB50_7 Depth=2
	s_andn2_saveexec_b64 s[12:13], s[12:13]
	s_cbranch_execz .LBB50_43
; %bb.42:                               ;   in Loop: Header=BB50_7 Depth=2
	v_mov_b32_e32 v4, v12
	v_mov_b32_e32 v5, v12
	ds_write_b64 v53, v[4:5]
.LBB50_43:                              ;   in Loop: Header=BB50_7 Depth=2
	s_or_b64 exec, exec, s[12:13]
	s_or_b64 s[12:13], vcc, s[2:3]
	s_xor_b64 s[12:13], s[12:13], -1
	s_and_saveexec_b64 s[14:15], s[12:13]
	s_xor_b64 s[12:13], exec, s[14:15]
	s_cbranch_execz .LBB50_45
; %bb.44:                               ;   in Loop: Header=BB50_7 Depth=2
	global_load_dwordx2 v[2:3], v[2:3], off
	s_waitcnt vmcnt(0)
	ds_write_b64 v53, v[2:3] offset:128
.LBB50_45:                              ;   in Loop: Header=BB50_7 Depth=2
	s_andn2_saveexec_b64 s[12:13], s[12:13]
	s_cbranch_execz .LBB50_47
; %bb.46:                               ;   in Loop: Header=BB50_7 Depth=2
	v_mov_b32_e32 v2, v12
	v_mov_b32_e32 v3, v12
	ds_write_b64 v53, v[2:3] offset:128
.LBB50_47:                              ;   in Loop: Header=BB50_7 Depth=2
	s_or_b64 exec, exec, s[12:13]
	v_cmp_le_i64_e32 vcc, s[46:47], v[0:1]
	s_or_b64 s[12:13], vcc, s[0:1]
	s_xor_b64 s[12:13], s[12:13], -1
	s_and_saveexec_b64 s[14:15], s[12:13]
	s_xor_b64 s[14:15], exec, s[14:15]
	s_cbranch_execz .LBB50_49
; %bb.48:                               ;   in Loop: Header=BB50_7 Depth=2
	v_add_co_u32_e64 v0, s[12:13], v50, v26
	v_addc_co_u32_e64 v1, s[12:13], v51, v9, s[12:13]
	global_load_dwordx2 v[0:1], v[0:1], off offset:-128
	s_waitcnt vmcnt(0)
	ds_write_b64 v53, v[0:1] offset:4096
.LBB50_49:                              ;   in Loop: Header=BB50_7 Depth=2
	s_andn2_saveexec_b64 s[12:13], s[14:15]
	s_cbranch_execz .LBB50_51
; %bb.50:                               ;   in Loop: Header=BB50_7 Depth=2
	v_mov_b32_e32 v0, v12
	v_mov_b32_e32 v1, v12
	ds_write_b64 v53, v[0:1] offset:4096
.LBB50_51:                              ;   in Loop: Header=BB50_7 Depth=2
	s_or_b64 exec, exec, s[12:13]
	s_or_b64 s[12:13], vcc, s[2:3]
	s_xor_b64 s[12:13], s[12:13], -1
	s_and_saveexec_b64 s[14:15], s[12:13]
	s_xor_b64 s[12:13], exec, s[14:15]
	s_cbranch_execz .LBB50_53
; %bb.52:                               ;   in Loop: Header=BB50_7 Depth=2
	v_add_co_u32_e32 v0, vcc, v50, v26
	v_addc_co_u32_e32 v1, vcc, v51, v9, vcc
	global_load_dwordx2 v[0:1], v[0:1], off
	s_waitcnt vmcnt(0)
	ds_write_b64 v53, v[0:1] offset:4224
.LBB50_53:                              ;   in Loop: Header=BB50_7 Depth=2
	s_andn2_saveexec_b64 s[12:13], s[12:13]
	s_cbranch_execz .LBB50_6
; %bb.54:                               ;   in Loop: Header=BB50_7 Depth=2
	v_mov_b32_e32 v0, v12
	v_mov_b32_e32 v1, v12
	ds_write_b64 v53, v[0:1] offset:4224
	s_branch .LBB50_6
.LBB50_55:                              ;   in Loop: Header=BB50_4 Depth=1
	v_mul_lo_u32 v2, v29, s40
	v_mul_lo_u32 v3, v28, s41
	v_mad_u64_u32 v[0:1], s[8:9], v28, s40, 0
	v_add3_u32 v1, v1, v3, v2
	v_lshlrev_b64 v[0:1], 3, v[0:1]
	v_mov_b32_e32 v2, s50
	v_add_co_u32_e64 v0, s[8:9], s49, v0
	v_cmp_gt_i32_e32 vcc, s38, v28
	v_addc_co_u32_e64 v1, s[8:9], v2, v1, s[8:9]
	s_and_b64 s[8:9], s[4:5], vcc
	s_and_saveexec_b64 s[10:11], s[8:9]
	s_cbranch_execz .LBB50_57
; %bb.56:                               ;   in Loop: Header=BB50_4 Depth=1
	v_add_co_u32_e64 v2, s[8:9], v0, v22
	v_addc_co_u32_e64 v3, s[8:9], v1, v23, s[8:9]
	global_load_dwordx2 v[4:5], v[2:3], off
	s_waitcnt vmcnt(0)
	v_fmac_f64_e32 v[4:5], s[34:35], v[38:39]
	global_store_dwordx2 v[2:3], v[4:5], off
.LBB50_57:                              ;   in Loop: Header=BB50_4 Depth=1
	s_or_b64 exec, exec, s[10:11]
	s_and_b64 s[10:11], s[16:17], vcc
	s_and_saveexec_b64 s[8:9], s[10:11]
	s_cbranch_execz .LBB50_59
; %bb.58:                               ;   in Loop: Header=BB50_4 Depth=1
	v_lshlrev_b64 v[2:3], 3, v[16:17]
	v_add_co_u32_e32 v0, vcc, v0, v2
	v_addc_co_u32_e32 v1, vcc, v1, v3, vcc
	global_load_dwordx2 v[2:3], v[0:1], off
	s_waitcnt vmcnt(0)
	v_fmac_f64_e32 v[2:3], s[34:35], v[34:35]
	global_store_dwordx2 v[0:1], v[2:3], off
.LBB50_59:                              ;   in Loop: Header=BB50_4 Depth=1
	s_or_b64 exec, exec, s[8:9]
	v_add_u32_e32 v0, 16, v28
	v_ashrrev_i32_e32 v1, 31, v0
	v_cmp_gt_i32_e32 vcc, s38, v0
	v_mul_lo_u32 v2, v1, s40
	v_mul_lo_u32 v3, v0, s41
	v_mad_u64_u32 v[0:1], s[8:9], v0, s40, 0
	v_add3_u32 v1, v1, v3, v2
	v_lshlrev_b64 v[0:1], 3, v[0:1]
	v_mov_b32_e32 v2, s50
	v_add_co_u32_e64 v0, s[8:9], s49, v0
	v_addc_co_u32_e64 v1, s[8:9], v2, v1, s[8:9]
	s_and_b64 s[8:9], s[4:5], vcc
	s_and_saveexec_b64 s[10:11], s[8:9]
	s_cbranch_execz .LBB50_61
; %bb.60:                               ;   in Loop: Header=BB50_4 Depth=1
	v_add_co_u32_e64 v2, s[8:9], v0, v22
	v_addc_co_u32_e64 v3, s[8:9], v1, v23, s[8:9]
	global_load_dwordx2 v[4:5], v[2:3], off
	s_waitcnt vmcnt(0)
	v_fmac_f64_e32 v[4:5], s[34:35], v[32:33]
	global_store_dwordx2 v[2:3], v[4:5], off
.LBB50_61:                              ;   in Loop: Header=BB50_4 Depth=1
	s_or_b64 exec, exec, s[10:11]
	s_and_b64 s[10:11], s[16:17], vcc
	s_and_saveexec_b64 s[8:9], s[10:11]
	s_cbranch_execz .LBB50_3
; %bb.62:                               ;   in Loop: Header=BB50_4 Depth=1
	v_lshlrev_b64 v[2:3], 3, v[16:17]
	v_add_co_u32_e32 v0, vcc, v0, v2
	v_addc_co_u32_e32 v1, vcc, v1, v3, vcc
	global_load_dwordx2 v[2:3], v[0:1], off
	s_waitcnt vmcnt(0)
	v_fmac_f64_e32 v[2:3], s[34:35], v[30:31]
	global_store_dwordx2 v[0:1], v[2:3], off
	s_branch .LBB50_3
.LBB50_63:
	s_endpgm
	.section	.rodata,"a",@progbits
	.p2align	6, 0x0
	.amdhsa_kernel _ZL30rocblas_trmm_outofplace_kernelIdLi32ELi2ELb0ELb1ELb0ELb0EPKdS0_dEv17rocblas_diagonal_iiT6_lPT7_lllS5_lllPT8_llli
		.amdhsa_group_segment_fixed_size 16384
		.amdhsa_private_segment_fixed_size 0
		.amdhsa_kernarg_size 392
		.amdhsa_user_sgpr_count 6
		.amdhsa_user_sgpr_private_segment_buffer 1
		.amdhsa_user_sgpr_dispatch_ptr 0
		.amdhsa_user_sgpr_queue_ptr 0
		.amdhsa_user_sgpr_kernarg_segment_ptr 1
		.amdhsa_user_sgpr_dispatch_id 0
		.amdhsa_user_sgpr_flat_scratch_init 0
		.amdhsa_user_sgpr_kernarg_preload_length 0
		.amdhsa_user_sgpr_kernarg_preload_offset 0
		.amdhsa_user_sgpr_private_segment_size 0
		.amdhsa_uses_dynamic_stack 0
		.amdhsa_system_sgpr_private_segment_wavefront_offset 0
		.amdhsa_system_sgpr_workgroup_id_x 1
		.amdhsa_system_sgpr_workgroup_id_y 1
		.amdhsa_system_sgpr_workgroup_id_z 1
		.amdhsa_system_sgpr_workgroup_info 0
		.amdhsa_system_vgpr_workitem_id 1
		.amdhsa_next_free_vgpr 80
		.amdhsa_next_free_sgpr 54
		.amdhsa_accum_offset 80
		.amdhsa_reserve_vcc 1
		.amdhsa_reserve_flat_scratch 0
		.amdhsa_float_round_mode_32 0
		.amdhsa_float_round_mode_16_64 0
		.amdhsa_float_denorm_mode_32 3
		.amdhsa_float_denorm_mode_16_64 3
		.amdhsa_dx10_clamp 1
		.amdhsa_ieee_mode 1
		.amdhsa_fp16_overflow 0
		.amdhsa_tg_split 0
		.amdhsa_exception_fp_ieee_invalid_op 0
		.amdhsa_exception_fp_denorm_src 0
		.amdhsa_exception_fp_ieee_div_zero 0
		.amdhsa_exception_fp_ieee_overflow 0
		.amdhsa_exception_fp_ieee_underflow 0
		.amdhsa_exception_fp_ieee_inexact 0
		.amdhsa_exception_int_div_zero 0
	.end_amdhsa_kernel
	.section	.text._ZL30rocblas_trmm_outofplace_kernelIdLi32ELi2ELb0ELb1ELb0ELb0EPKdS0_dEv17rocblas_diagonal_iiT6_lPT7_lllS5_lllPT8_llli,"axG",@progbits,_ZL30rocblas_trmm_outofplace_kernelIdLi32ELi2ELb0ELb1ELb0ELb0EPKdS0_dEv17rocblas_diagonal_iiT6_lPT7_lllS5_lllPT8_llli,comdat
.Lfunc_end50:
	.size	_ZL30rocblas_trmm_outofplace_kernelIdLi32ELi2ELb0ELb1ELb0ELb0EPKdS0_dEv17rocblas_diagonal_iiT6_lPT7_lllS5_lllPT8_llli, .Lfunc_end50-_ZL30rocblas_trmm_outofplace_kernelIdLi32ELi2ELb0ELb1ELb0ELb0EPKdS0_dEv17rocblas_diagonal_iiT6_lPT7_lllS5_lllPT8_llli
                                        ; -- End function
	.section	.AMDGPU.csdata,"",@progbits
; Kernel info:
; codeLenInByte = 3344
; NumSgprs: 58
; NumVgprs: 80
; NumAgprs: 0
; TotalNumVgprs: 80
; ScratchSize: 0
; MemoryBound: 1
; FloatMode: 240
; IeeeMode: 1
; LDSByteSize: 16384 bytes/workgroup (compile time only)
; SGPRBlocks: 7
; VGPRBlocks: 9
; NumSGPRsForWavesPerEU: 58
; NumVGPRsForWavesPerEU: 80
; AccumOffset: 80
; Occupancy: 6
; WaveLimiterHint : 0
; COMPUTE_PGM_RSRC2:SCRATCH_EN: 0
; COMPUTE_PGM_RSRC2:USER_SGPR: 6
; COMPUTE_PGM_RSRC2:TRAP_HANDLER: 0
; COMPUTE_PGM_RSRC2:TGID_X_EN: 1
; COMPUTE_PGM_RSRC2:TGID_Y_EN: 1
; COMPUTE_PGM_RSRC2:TGID_Z_EN: 1
; COMPUTE_PGM_RSRC2:TIDIG_COMP_CNT: 1
; COMPUTE_PGM_RSRC3_GFX90A:ACCUM_OFFSET: 19
; COMPUTE_PGM_RSRC3_GFX90A:TG_SPLIT: 0
	.section	.text._ZL30rocblas_trmm_outofplace_kernelIdLi32ELi2ELb0ELb1ELb0ELb0EdKddEv17rocblas_diagonal_iiT6_lPT7_lllS4_lllPT8_llli,"axG",@progbits,_ZL30rocblas_trmm_outofplace_kernelIdLi32ELi2ELb0ELb1ELb0ELb0EdKddEv17rocblas_diagonal_iiT6_lPT7_lllS4_lllPT8_llli,comdat
	.globl	_ZL30rocblas_trmm_outofplace_kernelIdLi32ELi2ELb0ELb1ELb0ELb0EdKddEv17rocblas_diagonal_iiT6_lPT7_lllS4_lllPT8_llli ; -- Begin function _ZL30rocblas_trmm_outofplace_kernelIdLi32ELi2ELb0ELb1ELb0ELb0EdKddEv17rocblas_diagonal_iiT6_lPT7_lllS4_lllPT8_llli
	.p2align	8
	.type	_ZL30rocblas_trmm_outofplace_kernelIdLi32ELi2ELb0ELb1ELb0ELb0EdKddEv17rocblas_diagonal_iiT6_lPT7_lllS4_lllPT8_llli,@function
_ZL30rocblas_trmm_outofplace_kernelIdLi32ELi2ELb0ELb1ELb0ELb0EdKddEv17rocblas_diagonal_iiT6_lPT7_lllS4_lllPT8_llli: ; @_ZL30rocblas_trmm_outofplace_kernelIdLi32ELi2ELb0ELb1ELb0ELb0EdKddEv17rocblas_diagonal_iiT6_lPT7_lllS4_lllPT8_llli
; %bb.0:
	s_load_dwordx2 s[28:29], s[4:5], 0x10
	s_waitcnt lgkmcnt(0)
	v_cmp_eq_f64_e64 s[0:1], s[28:29], 0
	s_and_b64 vcc, exec, s[0:1]
	s_cbranch_vccnz .LBB51_63
; %bb.1:
	s_load_dwordx4 s[24:27], s[4:5], 0x0
	s_waitcnt lgkmcnt(0)
	s_add_i32 s0, s26, -1
	s_ashr_i32 s1, s0, 31
	s_lshr_b32 s1, s1, 27
	s_add_i32 s0, s0, s1
	s_ashr_i32 s33, s0, 5
	s_cmp_gt_i32 s7, s33
	s_cbranch_scc1 .LBB51_63
; %bb.2:
	s_load_dwordx8 s[16:23], s[4:5], 0x60
	s_load_dwordx16 s[36:51], s[4:5], 0x20
	v_and_b32_e32 v10, 0x3ff, v0
	v_bfe_u32 v8, v0, 10, 10
	v_lshl_add_u32 v0, s6, 5, v10
	s_waitcnt lgkmcnt(0)
	s_mul_i32 s1, s8, s23
	s_mul_hi_u32 s2, s8, s22
	s_mul_i32 s0, s8, s22
	s_add_i32 s1, s2, s1
	s_lshl_b64 s[0:1], s[0:1], 3
	s_add_u32 s2, s16, s0
	s_addc_u32 s3, s17, s1
	s_lshl_b64 s[0:1], s[18:19], 3
	s_add_u32 s52, s2, s0
	s_addc_u32 s53, s3, s1
	s_cmpk_eq_i32 s24, 0x84
	s_cselect_b64 s[22:23], -1, 0
	s_ashr_i32 s0, s25, 31
	v_ashrrev_i32_e32 v1, 31, v0
	v_mov_b32_e32 v3, s0
	v_sub_co_u32_e32 v2, vcc, s25, v0
	v_subb_co_u32_e32 v3, vcc, v3, v1, vcc
	s_load_dword s6, s[4:5], 0x8c
	v_cmp_gt_i64_e64 s[0:1], 1, v[2:3]
	v_cmp_gt_i64_e64 s[2:3], 17, v[2:3]
	v_mad_u64_u32 v[2:3], s[10:11], s48, v8, 0
	v_sub_co_u32_e32 v54, vcc, 0, v10
	v_mov_b32_e32 v4, v3
	s_ashr_i32 s27, s26, 31
	s_lshl_b64 s[30:31], s[48:49], 8
	v_subb_co_u32_e64 v55, s[10:11], 0, 0, vcc
	v_mad_u64_u32 v[4:5], s[10:11], s49, v8, v[4:5]
	s_add_u32 s34, s26, -16
	s_mul_i32 s9, s51, s8
	s_mul_hi_u32 s10, s50, s8
	s_addc_u32 s35, s27, -1
	s_add_i32 s11, s10, s9
	s_mul_i32 s10, s50, s8
	s_waitcnt lgkmcnt(0)
	s_lshl_b32 s54, s6, 5
	s_lshl_b64 s[10:11], s[10:11], 3
	s_lshl_b64 s[12:13], s[46:47], 3
	s_add_u32 s9, s10, s12
	s_addc_u32 s10, s11, s13
	s_add_u32 s9, s44, s9
	v_lshlrev_b64 v[22:23], 3, v[0:1]
	s_addc_u32 s10, s45, s10
	v_cmp_gt_i32_e64 s[4:5], s25, v0
	v_add_u32_e32 v16, 16, v0
	v_mov_b32_e32 v0, s10
	v_add_co_u32_e32 v1, vcc, s9, v22
	v_addc_co_u32_e32 v0, vcc, v0, v23, vcc
	s_movk_i32 s9, 0x80
	v_add_co_u32_e32 v24, vcc, s9, v1
	s_mul_i32 s9, s43, s8
	s_mul_hi_u32 s10, s42, s8
	s_add_i32 s9, s10, s9
	s_mul_i32 s8, s42, s8
	s_lshl_b64 s[8:9], s[8:9], 3
	s_lshl_b64 s[10:11], s[38:39], 3
	s_add_u32 s8, s8, s10
	v_addc_co_u32_e32 v25, vcc, 0, v0, vcc
	s_addc_u32 s9, s9, s11
	v_mov_b32_e32 v0, 0x80
	s_add_u32 s24, s36, s8
	v_lshl_add_u32 v1, v8, 3, v0
	v_cmp_gt_i32_e64 s[16:17], s25, v16
	s_addc_u32 s25, s37, s9
	v_mad_u64_u32 v[26:27], s[8:9], s48, v1, 0
	v_lshlrev_b32_e32 v14, 3, v10
	v_mov_b32_e32 v0, v27
	v_lshlrev_b32_e32 v11, 8, v8
	v_or_b32_e32 v52, 0x2000, v14
	v_mov_b32_e32 v3, v4
	v_mad_u64_u32 v[0:1], s[8:9], s49, v1, v[0:1]
	v_mov_b32_e32 v12, 0
	v_add_u32_e32 v15, v11, v14
	v_add_u32_e32 v53, v52, v11
	v_ashrrev_i32_e32 v17, 31, v16
	v_lshl_add_u32 v18, s7, 5, v8
	v_lshlrev_b64 v[20:21], 3, v[2:3]
	s_lshl_b64 s[36:37], s[40:41], 3
	v_mov_b32_e32 v9, v0
	v_mov_b32_e32 v13, 0x3ff00000
	s_branch .LBB51_4
.LBB51_3:                               ;   in Loop: Header=BB51_4 Depth=1
	s_or_b64 exec, exec, s[8:9]
	s_add_i32 s7, s6, s7
	s_cmp_le_i32 s7, s33
	v_add_u32_e32 v18, s54, v18
	s_cbranch_scc0 .LBB51_63
.LBB51_4:                               ; =>This Loop Header: Depth=1
                                        ;     Child Loop BB51_7 Depth 2
	s_lshl_b32 s48, s7, 5
	v_add_u32_e32 v28, s48, v8
	v_pk_mov_b32 v[38:39], 0, 0
	v_ashrrev_i32_e32 v29, 31, v28
	s_cmp_lt_i32 s7, 0
	v_pk_mov_b32 v[34:35], v[38:39], v[38:39] op_sel:[0,1]
	v_pk_mov_b32 v[32:33], v[38:39], v[38:39] op_sel:[0,1]
	;; [unrolled: 1-line block ×3, first 2 shown]
	s_cbranch_scc1 .LBB51_55
; %bb.5:                                ;   in Loop: Header=BB51_4 Depth=1
	v_ashrrev_i32_e32 v19, 31, v18
	v_pk_mov_b32 v[0:1], s[24:25], s[24:25] op_sel:[0,1]
	v_add_co_u32_e32 v36, vcc, v54, v18
	v_mad_u64_u32 v[40:41], s[8:9], s36, v18, v[0:1]
	v_mul_lo_u32 v2, s37, v18
	v_mul_lo_u32 v3, s36, v19
	v_addc_co_u32_e32 v37, vcc, v55, v19, vcc
	v_add3_u32 v41, v2, v41, v3
	v_lshlrev_b64 v[2:3], 3, v[18:19]
	v_add_co_u32_e32 v2, vcc, 0x80, v2
	v_addc_co_u32_e32 v3, vcc, 0, v3, vcc
	v_add_co_u32_e32 v44, vcc, 16, v28
	v_addc_co_u32_e32 v45, vcc, 0, v29, vcc
	;; [unrolled: 2-line block ×3, first 2 shown]
	v_mul_lo_u32 v3, s40, v3
	v_mul_lo_u32 v4, s41, v2
	v_mad_u64_u32 v[42:43], s[8:9], s40, v2, v[0:1]
	v_add_co_u32_e32 v48, vcc, -16, v36
	v_pk_mov_b32 v[30:31], 0, 0
	v_add3_u32 v43, v4, v43, v3
	v_cmp_le_i32_e64 s[8:9], s26, v28
	v_cmp_le_i64_e64 s[10:11], s[26:27], v[44:45]
	v_addc_co_u32_e32 v49, vcc, -1, v37, vcc
	s_mov_b64 s[38:39], 0
	v_pk_mov_b32 v[50:51], v[24:25], v[24:25] op_sel:[0,1]
	v_pk_mov_b32 v[32:33], v[30:31], v[30:31] op_sel:[0,1]
	;; [unrolled: 1-line block ×4, first 2 shown]
	s_branch .LBB51_7
.LBB51_6:                               ;   in Loop: Header=BB51_7 Depth=2
	s_or_b64 exec, exec, s[12:13]
	s_waitcnt lgkmcnt(0)
	s_barrier
	ds_read2_b64 v[56:59], v52 offset1:16
	ds_read_b128 v[60:63], v11
	ds_read_b128 v[64:67], v11 offset:16
	ds_read_b128 v[4:7], v11 offset:32
	ds_read_b128 v[0:3], v11 offset:48
	ds_read_b128 v[68:71], v11 offset:4096
	ds_read2_b64 v[72:75], v52 offset0:32 offset1:48
	s_waitcnt lgkmcnt(5)
	v_fmac_f64_e32 v[38:39], v[56:57], v[60:61]
	v_fmac_f64_e32 v[34:35], v[58:59], v[60:61]
	ds_read_b128 v[76:79], v11 offset:4112
	s_waitcnt lgkmcnt(2)
	v_fmac_f64_e32 v[32:33], v[56:57], v[68:69]
	v_fmac_f64_e32 v[30:31], v[58:59], v[68:69]
	ds_read2_b64 v[56:59], v52 offset0:64 offset1:80
	s_waitcnt lgkmcnt(2)
	v_fmac_f64_e32 v[38:39], v[72:73], v[62:63]
	v_fmac_f64_e32 v[34:35], v[74:75], v[62:63]
	ds_read2_b64 v[60:63], v52 offset0:96 offset1:112
	v_fmac_f64_e32 v[32:33], v[72:73], v[70:71]
	v_fmac_f64_e32 v[30:31], v[74:75], v[70:71]
	ds_read_b128 v[68:71], v11 offset:4144
	s_waitcnt lgkmcnt(2)
	v_fmac_f64_e32 v[38:39], v[56:57], v[64:65]
	v_fmac_f64_e32 v[34:35], v[58:59], v[64:65]
	;; [unrolled: 1-line block ×4, first 2 shown]
	s_waitcnt lgkmcnt(1)
	v_fmac_f64_e32 v[38:39], v[60:61], v[66:67]
	ds_read2_b64 v[56:59], v52 offset0:128 offset1:144
	v_fmac_f64_e32 v[34:35], v[62:63], v[66:67]
	v_fmac_f64_e32 v[32:33], v[60:61], v[78:79]
	;; [unrolled: 1-line block ×3, first 2 shown]
	ds_read_b128 v[60:63], v11 offset:4128
	ds_read2_b64 v[64:67], v52 offset0:160 offset1:176
	s_waitcnt lgkmcnt(2)
	v_fmac_f64_e32 v[38:39], v[56:57], v[4:5]
	v_fmac_f64_e32 v[34:35], v[58:59], v[4:5]
	v_add_u32_e32 v19, 0x800, v52
	s_waitcnt lgkmcnt(1)
	v_fmac_f64_e32 v[32:33], v[56:57], v[60:61]
	v_fmac_f64_e32 v[30:31], v[58:59], v[60:61]
	ds_read2_b64 v[56:59], v52 offset0:192 offset1:208
	s_waitcnt lgkmcnt(1)
	v_fmac_f64_e32 v[38:39], v[64:65], v[6:7]
	v_fmac_f64_e32 v[34:35], v[66:67], v[6:7]
	ds_read2_b64 v[4:7], v52 offset0:224 offset1:240
	v_fmac_f64_e32 v[32:33], v[64:65], v[62:63]
	v_fmac_f64_e32 v[30:31], v[66:67], v[62:63]
	s_waitcnt lgkmcnt(1)
	v_fmac_f64_e32 v[38:39], v[56:57], v[0:1]
	v_fmac_f64_e32 v[34:35], v[58:59], v[0:1]
	;; [unrolled: 1-line block ×4, first 2 shown]
	s_waitcnt lgkmcnt(0)
	v_fmac_f64_e32 v[38:39], v[4:5], v[2:3]
	v_fmac_f64_e32 v[34:35], v[6:7], v[2:3]
	ds_read2_b64 v[0:3], v19 offset1:16
	ds_read_b128 v[56:59], v11 offset:64
	v_fmac_f64_e32 v[32:33], v[4:5], v[70:71]
	v_fmac_f64_e32 v[30:31], v[6:7], v[70:71]
	ds_read_b128 v[4:7], v11 offset:80
	ds_read_b128 v[60:63], v11 offset:4160
	ds_read2_b64 v[64:67], v19 offset0:32 offset1:48
	s_waitcnt lgkmcnt(3)
	v_fmac_f64_e32 v[38:39], v[0:1], v[56:57]
	v_fmac_f64_e32 v[34:35], v[2:3], v[56:57]
	ds_read_b128 v[68:71], v11 offset:4176
	s_waitcnt lgkmcnt(2)
	v_fmac_f64_e32 v[32:33], v[0:1], v[60:61]
	v_fmac_f64_e32 v[30:31], v[2:3], v[60:61]
	ds_read2_b64 v[0:3], v19 offset0:64 offset1:80
	s_waitcnt lgkmcnt(2)
	v_fmac_f64_e32 v[38:39], v[64:65], v[58:59]
	v_fmac_f64_e32 v[34:35], v[66:67], v[58:59]
	ds_read2_b64 v[56:59], v19 offset0:96 offset1:112
	v_fmac_f64_e32 v[32:33], v[64:65], v[62:63]
	v_fmac_f64_e32 v[30:31], v[66:67], v[62:63]
	s_waitcnt lgkmcnt(1)
	v_fmac_f64_e32 v[38:39], v[0:1], v[4:5]
	v_fmac_f64_e32 v[34:35], v[2:3], v[4:5]
	;; [unrolled: 1-line block ×4, first 2 shown]
	s_waitcnt lgkmcnt(0)
	v_fmac_f64_e32 v[38:39], v[56:57], v[6:7]
	v_fmac_f64_e32 v[34:35], v[58:59], v[6:7]
	ds_read2_b64 v[0:3], v19 offset0:128 offset1:144
	ds_read_b128 v[4:7], v11 offset:96
	v_fmac_f64_e32 v[32:33], v[56:57], v[70:71]
	v_fmac_f64_e32 v[30:31], v[58:59], v[70:71]
	ds_read_b128 v[56:59], v11 offset:112
	ds_read_b128 v[60:63], v11 offset:4192
	ds_read2_b64 v[64:67], v19 offset0:160 offset1:176
	s_waitcnt lgkmcnt(3)
	v_fmac_f64_e32 v[38:39], v[0:1], v[4:5]
	v_fmac_f64_e32 v[34:35], v[2:3], v[4:5]
	ds_read_b128 v[68:71], v11 offset:4208
	s_waitcnt lgkmcnt(2)
	v_fmac_f64_e32 v[32:33], v[0:1], v[60:61]
	v_fmac_f64_e32 v[30:31], v[2:3], v[60:61]
	ds_read2_b64 v[0:3], v19 offset0:192 offset1:208
	s_waitcnt lgkmcnt(2)
	v_fmac_f64_e32 v[38:39], v[64:65], v[6:7]
	v_fmac_f64_e32 v[34:35], v[66:67], v[6:7]
	ds_read2_b64 v[4:7], v19 offset0:224 offset1:240
	v_fmac_f64_e32 v[32:33], v[64:65], v[62:63]
	v_fmac_f64_e32 v[30:31], v[66:67], v[62:63]
	s_waitcnt lgkmcnt(1)
	v_fmac_f64_e32 v[38:39], v[0:1], v[56:57]
	v_fmac_f64_e32 v[34:35], v[2:3], v[56:57]
	;; [unrolled: 1-line block ×4, first 2 shown]
	v_add_u32_e32 v19, 0x1000, v52
	s_waitcnt lgkmcnt(0)
	v_fmac_f64_e32 v[38:39], v[4:5], v[58:59]
	v_fmac_f64_e32 v[34:35], v[6:7], v[58:59]
	ds_read2_b64 v[0:3], v19 offset1:16
	ds_read_b128 v[56:59], v11 offset:128
	v_fmac_f64_e32 v[32:33], v[4:5], v[70:71]
	v_fmac_f64_e32 v[30:31], v[6:7], v[70:71]
	ds_read_b128 v[4:7], v11 offset:144
	ds_read_b128 v[60:63], v11 offset:4224
	ds_read2_b64 v[64:67], v19 offset0:32 offset1:48
	s_waitcnt lgkmcnt(3)
	v_fmac_f64_e32 v[38:39], v[0:1], v[56:57]
	v_fmac_f64_e32 v[34:35], v[2:3], v[56:57]
	ds_read_b128 v[68:71], v11 offset:4240
	s_waitcnt lgkmcnt(2)
	v_fmac_f64_e32 v[32:33], v[0:1], v[60:61]
	v_fmac_f64_e32 v[30:31], v[2:3], v[60:61]
	ds_read2_b64 v[0:3], v19 offset0:64 offset1:80
	s_waitcnt lgkmcnt(2)
	v_fmac_f64_e32 v[38:39], v[64:65], v[58:59]
	v_fmac_f64_e32 v[34:35], v[66:67], v[58:59]
	ds_read2_b64 v[56:59], v19 offset0:96 offset1:112
	v_fmac_f64_e32 v[32:33], v[64:65], v[62:63]
	v_fmac_f64_e32 v[30:31], v[66:67], v[62:63]
	s_waitcnt lgkmcnt(1)
	v_fmac_f64_e32 v[38:39], v[0:1], v[4:5]
	v_fmac_f64_e32 v[34:35], v[2:3], v[4:5]
	;; [unrolled: 1-line block ×4, first 2 shown]
	s_waitcnt lgkmcnt(0)
	v_fmac_f64_e32 v[38:39], v[56:57], v[6:7]
	v_fmac_f64_e32 v[34:35], v[58:59], v[6:7]
	ds_read2_b64 v[0:3], v19 offset0:128 offset1:144
	ds_read_b128 v[4:7], v11 offset:160
	v_fmac_f64_e32 v[32:33], v[56:57], v[70:71]
	v_fmac_f64_e32 v[30:31], v[58:59], v[70:71]
	ds_read_b128 v[56:59], v11 offset:176
	ds_read_b128 v[60:63], v11 offset:4256
	ds_read2_b64 v[64:67], v19 offset0:160 offset1:176
	s_waitcnt lgkmcnt(3)
	v_fmac_f64_e32 v[38:39], v[0:1], v[4:5]
	v_fmac_f64_e32 v[34:35], v[2:3], v[4:5]
	ds_read_b128 v[68:71], v11 offset:4272
	s_waitcnt lgkmcnt(2)
	v_fmac_f64_e32 v[32:33], v[0:1], v[60:61]
	v_fmac_f64_e32 v[30:31], v[2:3], v[60:61]
	ds_read2_b64 v[0:3], v19 offset0:192 offset1:208
	s_waitcnt lgkmcnt(2)
	v_fmac_f64_e32 v[38:39], v[64:65], v[6:7]
	v_fmac_f64_e32 v[34:35], v[66:67], v[6:7]
	ds_read2_b64 v[4:7], v19 offset0:224 offset1:240
	v_fmac_f64_e32 v[32:33], v[64:65], v[62:63]
	v_fmac_f64_e32 v[30:31], v[66:67], v[62:63]
	s_waitcnt lgkmcnt(1)
	v_fmac_f64_e32 v[38:39], v[0:1], v[56:57]
	v_fmac_f64_e32 v[34:35], v[2:3], v[56:57]
	;; [unrolled: 1-line block ×4, first 2 shown]
	v_add_u32_e32 v19, 0x1800, v52
	s_waitcnt lgkmcnt(0)
	v_fmac_f64_e32 v[38:39], v[4:5], v[58:59]
	v_fmac_f64_e32 v[34:35], v[6:7], v[58:59]
	ds_read2_b64 v[0:3], v19 offset1:16
	ds_read_b128 v[56:59], v11 offset:192
	v_fmac_f64_e32 v[32:33], v[4:5], v[70:71]
	v_fmac_f64_e32 v[30:31], v[6:7], v[70:71]
	ds_read_b128 v[4:7], v11 offset:208
	ds_read_b128 v[60:63], v11 offset:4288
	ds_read2_b64 v[64:67], v19 offset0:32 offset1:48
	s_waitcnt lgkmcnt(3)
	v_fmac_f64_e32 v[38:39], v[0:1], v[56:57]
	v_fmac_f64_e32 v[34:35], v[2:3], v[56:57]
	ds_read_b128 v[68:71], v11 offset:4304
	s_waitcnt lgkmcnt(2)
	v_fmac_f64_e32 v[32:33], v[0:1], v[60:61]
	v_fmac_f64_e32 v[30:31], v[2:3], v[60:61]
	ds_read2_b64 v[0:3], v19 offset0:64 offset1:80
	s_waitcnt lgkmcnt(2)
	v_fmac_f64_e32 v[38:39], v[64:65], v[58:59]
	v_fmac_f64_e32 v[34:35], v[66:67], v[58:59]
	ds_read2_b64 v[56:59], v19 offset0:96 offset1:112
	v_fmac_f64_e32 v[32:33], v[64:65], v[62:63]
	v_fmac_f64_e32 v[30:31], v[66:67], v[62:63]
	s_waitcnt lgkmcnt(1)
	v_fmac_f64_e32 v[38:39], v[0:1], v[4:5]
	v_fmac_f64_e32 v[34:35], v[2:3], v[4:5]
	;; [unrolled: 1-line block ×4, first 2 shown]
	s_waitcnt lgkmcnt(0)
	v_fmac_f64_e32 v[38:39], v[56:57], v[6:7]
	v_fmac_f64_e32 v[34:35], v[58:59], v[6:7]
	ds_read2_b64 v[0:3], v19 offset0:128 offset1:144
	ds_read_b128 v[4:7], v11 offset:224
	v_fmac_f64_e32 v[32:33], v[56:57], v[70:71]
	v_fmac_f64_e32 v[30:31], v[58:59], v[70:71]
	ds_read_b128 v[56:59], v11 offset:240
	ds_read_b128 v[60:63], v11 offset:4320
	ds_read2_b64 v[64:67], v19 offset0:160 offset1:176
	s_waitcnt lgkmcnt(3)
	v_fmac_f64_e32 v[38:39], v[0:1], v[4:5]
	v_fmac_f64_e32 v[34:35], v[2:3], v[4:5]
	ds_read_b128 v[68:71], v11 offset:4336
	s_waitcnt lgkmcnt(2)
	v_fmac_f64_e32 v[32:33], v[0:1], v[60:61]
	v_fmac_f64_e32 v[30:31], v[2:3], v[60:61]
	ds_read2_b64 v[0:3], v19 offset0:192 offset1:208
	s_waitcnt lgkmcnt(2)
	v_fmac_f64_e32 v[38:39], v[64:65], v[6:7]
	v_fmac_f64_e32 v[32:33], v[64:65], v[62:63]
	;; [unrolled: 1-line block ×3, first 2 shown]
	ds_read2_b64 v[4:7], v19 offset0:224 offset1:240
	s_waitcnt lgkmcnt(1)
	v_fmac_f64_e32 v[38:39], v[0:1], v[56:57]
	v_fmac_f64_e32 v[32:33], v[0:1], v[68:69]
	v_mov_b32_e32 v0, s31
	v_add_co_u32_e32 v50, vcc, s30, v50
	v_addc_co_u32_e32 v51, vcc, v51, v0, vcc
	v_add_co_u32_e32 v40, vcc, 0x100, v40
	v_fmac_f64_e32 v[30:31], v[66:67], v[62:63]
	s_add_u32 s38, s38, 32
	v_addc_co_u32_e32 v41, vcc, 0, v41, vcc
	v_fmac_f64_e32 v[34:35], v[2:3], v[56:57]
	v_fmac_f64_e32 v[30:31], v[2:3], v[68:69]
	s_addc_u32 s39, s39, 0
	s_sub_i32 s12, s38, 32
	v_add_co_u32_e32 v42, vcc, 0x100, v42
	s_waitcnt lgkmcnt(0)
	v_fmac_f64_e32 v[38:39], v[4:5], v[58:59]
	v_fmac_f64_e32 v[34:35], v[6:7], v[58:59]
	;; [unrolled: 1-line block ×4, first 2 shown]
	s_cmp_ge_i32 s12, s48
	v_addc_co_u32_e32 v43, vcc, 0, v43, vcc
	s_barrier
	s_cbranch_scc1 .LBB51_55
.LBB51_7:                               ;   Parent Loop BB51_4 Depth=1
                                        ; =>  This Inner Loop Header: Depth=2
	v_mov_b32_e32 v1, s39
	v_add_co_u32_e32 v0, vcc, s38, v10
	v_addc_co_u32_e32 v1, vcc, 0, v1, vcc
	v_add_co_u32_e32 v2, vcc, v40, v14
	v_addc_co_u32_e32 v3, vcc, 0, v41, vcc
	v_cmp_eq_u64_e32 vcc, s[38:39], v[36:37]
	s_and_b64 s[44:45], s[22:23], vcc
	v_cmp_gt_i64_e32 vcc, v[0:1], v[28:29]
	s_or_b64 s[14:15], s[8:9], vcc
	v_cmp_le_i64_e64 s[12:13], s[26:27], v[0:1]
	s_or_b64 s[14:15], s[14:15], s[44:45]
	s_or_b64 s[14:15], s[12:13], s[14:15]
	s_xor_b64 s[14:15], s[14:15], -1
	s_and_saveexec_b64 s[18:19], s[14:15]
	s_xor_b64 s[14:15], exec, s[18:19]
	s_cbranch_execz .LBB51_9
; %bb.8:                                ;   in Loop: Header=BB51_7 Depth=2
	global_load_dwordx2 v[4:5], v[2:3], off
	s_waitcnt vmcnt(0)
	ds_write_b64 v15, v[4:5]
.LBB51_9:                               ;   in Loop: Header=BB51_7 Depth=2
	s_or_saveexec_b64 s[14:15], s[14:15]
	s_xor_b64 s[42:43], s[44:45], -1
	s_xor_b64 exec, exec, s[14:15]
	s_cbranch_execz .LBB51_15
; %bb.10:                               ;   in Loop: Header=BB51_7 Depth=2
	s_and_saveexec_b64 s[18:19], s[42:43]
	s_xor_b64 s[18:19], exec, s[18:19]
	s_cbranch_execz .LBB51_12
; %bb.11:                               ;   in Loop: Header=BB51_7 Depth=2
	v_mov_b32_e32 v4, v12
	v_mov_b32_e32 v5, v12
	ds_write_b64 v15, v[4:5]
.LBB51_12:                              ;   in Loop: Header=BB51_7 Depth=2
	s_andn2_saveexec_b64 s[18:19], s[18:19]
	s_cbranch_execz .LBB51_14
; %bb.13:                               ;   in Loop: Header=BB51_7 Depth=2
	ds_write_b64 v15, v[12:13]
.LBB51_14:                              ;   in Loop: Header=BB51_7 Depth=2
	s_or_b64 exec, exec, s[18:19]
.LBB51_15:                              ;   in Loop: Header=BB51_7 Depth=2
	s_or_b64 exec, exec, s[14:15]
	v_add_co_u32_e64 v4, s[14:15], 16, v0
	v_addc_co_u32_e64 v5, s[14:15], 0, v1, s[14:15]
	v_cmp_eq_u64_e64 s[14:15], s[38:39], v[48:49]
	v_cmp_gt_i64_e64 s[18:19], v[4:5], v[28:29]
	s_and_b64 s[46:47], s[22:23], s[14:15]
	s_or_b64 s[18:19], s[8:9], s[18:19]
	v_cmp_le_i64_e64 s[14:15], s[26:27], v[4:5]
	s_or_b64 s[18:19], s[18:19], s[46:47]
	s_or_b64 s[18:19], s[14:15], s[18:19]
	s_xor_b64 s[18:19], s[18:19], -1
	s_and_saveexec_b64 s[50:51], s[18:19]
	s_xor_b64 s[18:19], exec, s[50:51]
	s_cbranch_execz .LBB51_17
; %bb.16:                               ;   in Loop: Header=BB51_7 Depth=2
	global_load_dwordx2 v[2:3], v[2:3], off offset:128
	s_waitcnt vmcnt(0)
	ds_write_b64 v15, v[2:3] offset:128
.LBB51_17:                              ;   in Loop: Header=BB51_7 Depth=2
	s_andn2_saveexec_b64 s[18:19], s[18:19]
	s_cbranch_execz .LBB51_23
; %bb.18:                               ;   in Loop: Header=BB51_7 Depth=2
	s_xor_b64 s[46:47], s[46:47], -1
	s_and_saveexec_b64 s[50:51], s[46:47]
	s_xor_b64 s[46:47], exec, s[50:51]
	s_cbranch_execz .LBB51_20
; %bb.19:                               ;   in Loop: Header=BB51_7 Depth=2
	v_mov_b32_e32 v2, v12
	v_mov_b32_e32 v3, v12
	ds_write_b64 v15, v[2:3] offset:128
.LBB51_20:                              ;   in Loop: Header=BB51_7 Depth=2
	s_andn2_saveexec_b64 s[46:47], s[46:47]
	s_cbranch_execz .LBB51_22
; %bb.21:                               ;   in Loop: Header=BB51_7 Depth=2
	ds_write_b64 v15, v[12:13] offset:128
.LBB51_22:                              ;   in Loop: Header=BB51_7 Depth=2
	s_or_b64 exec, exec, s[46:47]
.LBB51_23:                              ;   in Loop: Header=BB51_7 Depth=2
	s_or_b64 exec, exec, s[18:19]
	v_cmp_eq_u64_e64 s[18:19], s[38:39], v[46:47]
	s_and_b64 s[46:47], s[22:23], s[18:19]
	v_cmp_gt_i64_e64 s[18:19], v[0:1], v[44:45]
	s_or_b64 s[18:19], s[10:11], s[18:19]
	s_or_b64 s[18:19], s[18:19], s[46:47]
	;; [unrolled: 1-line block ×3, first 2 shown]
	s_xor_b64 s[12:13], s[12:13], -1
	s_and_saveexec_b64 s[18:19], s[12:13]
	s_xor_b64 s[18:19], exec, s[18:19]
	s_cbranch_execz .LBB51_25
; %bb.24:                               ;   in Loop: Header=BB51_7 Depth=2
	v_add_co_u32_e64 v0, s[12:13], v42, v14
	v_addc_co_u32_e64 v1, s[12:13], 0, v43, s[12:13]
	global_load_dwordx2 v[0:1], v[0:1], off
	s_waitcnt vmcnt(0)
	ds_write_b64 v15, v[0:1] offset:4096
.LBB51_25:                              ;   in Loop: Header=BB51_7 Depth=2
	s_andn2_saveexec_b64 s[12:13], s[18:19]
	s_cbranch_execz .LBB51_31
; %bb.26:                               ;   in Loop: Header=BB51_7 Depth=2
	s_xor_b64 s[18:19], s[46:47], -1
	s_and_saveexec_b64 s[46:47], s[18:19]
	s_xor_b64 s[18:19], exec, s[46:47]
	s_cbranch_execz .LBB51_28
; %bb.27:                               ;   in Loop: Header=BB51_7 Depth=2
	v_mov_b32_e32 v0, v12
	v_mov_b32_e32 v1, v12
	ds_write_b64 v15, v[0:1] offset:4096
.LBB51_28:                              ;   in Loop: Header=BB51_7 Depth=2
	s_andn2_saveexec_b64 s[18:19], s[18:19]
	s_cbranch_execz .LBB51_30
; %bb.29:                               ;   in Loop: Header=BB51_7 Depth=2
	ds_write_b64 v15, v[12:13] offset:4096
.LBB51_30:                              ;   in Loop: Header=BB51_7 Depth=2
	s_or_b64 exec, exec, s[18:19]
.LBB51_31:                              ;   in Loop: Header=BB51_7 Depth=2
	s_or_b64 exec, exec, s[12:13]
	s_or_b64 s[12:13], s[10:11], vcc
	s_or_b64 s[12:13], s[12:13], s[44:45]
	s_or_b64 s[12:13], s[14:15], s[12:13]
	s_xor_b64 s[12:13], s[12:13], -1
	s_and_saveexec_b64 s[14:15], s[12:13]
	s_xor_b64 s[12:13], exec, s[14:15]
	s_cbranch_execz .LBB51_33
; %bb.32:                               ;   in Loop: Header=BB51_7 Depth=2
	v_add_co_u32_e32 v0, vcc, v42, v14
	v_addc_co_u32_e32 v1, vcc, 0, v43, vcc
	global_load_dwordx2 v[0:1], v[0:1], off offset:128
	s_waitcnt vmcnt(0)
	ds_write_b64 v15, v[0:1] offset:4224
.LBB51_33:                              ;   in Loop: Header=BB51_7 Depth=2
	s_andn2_saveexec_b64 s[12:13], s[12:13]
	s_cbranch_execz .LBB51_39
; %bb.34:                               ;   in Loop: Header=BB51_7 Depth=2
	s_and_saveexec_b64 s[14:15], s[42:43]
	s_xor_b64 s[14:15], exec, s[14:15]
	s_cbranch_execz .LBB51_36
; %bb.35:                               ;   in Loop: Header=BB51_7 Depth=2
	v_mov_b32_e32 v0, v12
	v_mov_b32_e32 v1, v12
	ds_write_b64 v15, v[0:1] offset:4224
.LBB51_36:                              ;   in Loop: Header=BB51_7 Depth=2
	s_andn2_saveexec_b64 s[14:15], s[14:15]
	s_cbranch_execz .LBB51_38
; %bb.37:                               ;   in Loop: Header=BB51_7 Depth=2
	ds_write_b64 v15, v[12:13] offset:4224
.LBB51_38:                              ;   in Loop: Header=BB51_7 Depth=2
	s_or_b64 exec, exec, s[14:15]
.LBB51_39:                              ;   in Loop: Header=BB51_7 Depth=2
	s_or_b64 exec, exec, s[12:13]
	v_mov_b32_e32 v1, s39
	v_add_co_u32_e32 v0, vcc, s38, v8
	v_addc_co_u32_e32 v1, vcc, 0, v1, vcc
	v_add_co_u32_e32 v2, vcc, v50, v20
	v_addc_co_u32_e32 v3, vcc, v51, v21, vcc
	v_cmp_le_i64_e32 vcc, s[26:27], v[0:1]
	s_or_b64 s[12:13], vcc, s[0:1]
	s_xor_b64 s[12:13], s[12:13], -1
	s_and_saveexec_b64 s[14:15], s[12:13]
	s_xor_b64 s[12:13], exec, s[14:15]
	s_cbranch_execz .LBB51_41
; %bb.40:                               ;   in Loop: Header=BB51_7 Depth=2
	global_load_dwordx2 v[4:5], v[2:3], off offset:-128
	s_waitcnt vmcnt(0)
	ds_write_b64 v53, v[4:5]
.LBB51_41:                              ;   in Loop: Header=BB51_7 Depth=2
	s_andn2_saveexec_b64 s[12:13], s[12:13]
	s_cbranch_execz .LBB51_43
; %bb.42:                               ;   in Loop: Header=BB51_7 Depth=2
	v_mov_b32_e32 v4, v12
	v_mov_b32_e32 v5, v12
	ds_write_b64 v53, v[4:5]
.LBB51_43:                              ;   in Loop: Header=BB51_7 Depth=2
	s_or_b64 exec, exec, s[12:13]
	s_or_b64 s[12:13], vcc, s[2:3]
	s_xor_b64 s[12:13], s[12:13], -1
	s_and_saveexec_b64 s[14:15], s[12:13]
	s_xor_b64 s[12:13], exec, s[14:15]
	s_cbranch_execz .LBB51_45
; %bb.44:                               ;   in Loop: Header=BB51_7 Depth=2
	global_load_dwordx2 v[2:3], v[2:3], off
	s_waitcnt vmcnt(0)
	ds_write_b64 v53, v[2:3] offset:128
.LBB51_45:                              ;   in Loop: Header=BB51_7 Depth=2
	s_andn2_saveexec_b64 s[12:13], s[12:13]
	s_cbranch_execz .LBB51_47
; %bb.46:                               ;   in Loop: Header=BB51_7 Depth=2
	v_mov_b32_e32 v2, v12
	v_mov_b32_e32 v3, v12
	ds_write_b64 v53, v[2:3] offset:128
.LBB51_47:                              ;   in Loop: Header=BB51_7 Depth=2
	s_or_b64 exec, exec, s[12:13]
	v_cmp_le_i64_e32 vcc, s[34:35], v[0:1]
	s_or_b64 s[12:13], vcc, s[0:1]
	s_xor_b64 s[12:13], s[12:13], -1
	s_and_saveexec_b64 s[14:15], s[12:13]
	s_xor_b64 s[14:15], exec, s[14:15]
	s_cbranch_execz .LBB51_49
; %bb.48:                               ;   in Loop: Header=BB51_7 Depth=2
	v_add_co_u32_e64 v0, s[12:13], v50, v26
	v_addc_co_u32_e64 v1, s[12:13], v51, v9, s[12:13]
	global_load_dwordx2 v[0:1], v[0:1], off offset:-128
	s_waitcnt vmcnt(0)
	ds_write_b64 v53, v[0:1] offset:4096
.LBB51_49:                              ;   in Loop: Header=BB51_7 Depth=2
	s_andn2_saveexec_b64 s[12:13], s[14:15]
	s_cbranch_execz .LBB51_51
; %bb.50:                               ;   in Loop: Header=BB51_7 Depth=2
	v_mov_b32_e32 v0, v12
	v_mov_b32_e32 v1, v12
	ds_write_b64 v53, v[0:1] offset:4096
.LBB51_51:                              ;   in Loop: Header=BB51_7 Depth=2
	s_or_b64 exec, exec, s[12:13]
	s_or_b64 s[12:13], vcc, s[2:3]
	s_xor_b64 s[12:13], s[12:13], -1
	s_and_saveexec_b64 s[14:15], s[12:13]
	s_xor_b64 s[12:13], exec, s[14:15]
	s_cbranch_execz .LBB51_53
; %bb.52:                               ;   in Loop: Header=BB51_7 Depth=2
	v_add_co_u32_e32 v0, vcc, v50, v26
	v_addc_co_u32_e32 v1, vcc, v51, v9, vcc
	global_load_dwordx2 v[0:1], v[0:1], off
	s_waitcnt vmcnt(0)
	ds_write_b64 v53, v[0:1] offset:4224
.LBB51_53:                              ;   in Loop: Header=BB51_7 Depth=2
	s_andn2_saveexec_b64 s[12:13], s[12:13]
	s_cbranch_execz .LBB51_6
; %bb.54:                               ;   in Loop: Header=BB51_7 Depth=2
	v_mov_b32_e32 v0, v12
	v_mov_b32_e32 v1, v12
	ds_write_b64 v53, v[0:1] offset:4224
	s_branch .LBB51_6
.LBB51_55:                              ;   in Loop: Header=BB51_4 Depth=1
	v_mul_lo_u32 v2, v29, s20
	v_mul_lo_u32 v3, v28, s21
	v_mad_u64_u32 v[0:1], s[8:9], v28, s20, 0
	v_add3_u32 v1, v1, v3, v2
	v_lshlrev_b64 v[0:1], 3, v[0:1]
	v_mov_b32_e32 v2, s53
	v_add_co_u32_e64 v0, s[8:9], s52, v0
	v_cmp_gt_i32_e32 vcc, s26, v28
	v_addc_co_u32_e64 v1, s[8:9], v2, v1, s[8:9]
	s_and_b64 s[8:9], s[4:5], vcc
	s_and_saveexec_b64 s[10:11], s[8:9]
	s_cbranch_execz .LBB51_57
; %bb.56:                               ;   in Loop: Header=BB51_4 Depth=1
	v_add_co_u32_e64 v2, s[8:9], v0, v22
	v_addc_co_u32_e64 v3, s[8:9], v1, v23, s[8:9]
	global_load_dwordx2 v[4:5], v[2:3], off
	s_waitcnt vmcnt(0)
	v_fmac_f64_e32 v[4:5], s[28:29], v[38:39]
	global_store_dwordx2 v[2:3], v[4:5], off
.LBB51_57:                              ;   in Loop: Header=BB51_4 Depth=1
	s_or_b64 exec, exec, s[10:11]
	s_and_b64 s[10:11], s[16:17], vcc
	s_and_saveexec_b64 s[8:9], s[10:11]
	s_cbranch_execz .LBB51_59
; %bb.58:                               ;   in Loop: Header=BB51_4 Depth=1
	v_lshlrev_b64 v[2:3], 3, v[16:17]
	v_add_co_u32_e32 v0, vcc, v0, v2
	v_addc_co_u32_e32 v1, vcc, v1, v3, vcc
	global_load_dwordx2 v[2:3], v[0:1], off
	s_waitcnt vmcnt(0)
	v_fmac_f64_e32 v[2:3], s[28:29], v[34:35]
	global_store_dwordx2 v[0:1], v[2:3], off
.LBB51_59:                              ;   in Loop: Header=BB51_4 Depth=1
	s_or_b64 exec, exec, s[8:9]
	v_add_u32_e32 v0, 16, v28
	v_ashrrev_i32_e32 v1, 31, v0
	v_cmp_gt_i32_e32 vcc, s26, v0
	v_mul_lo_u32 v2, v1, s20
	v_mul_lo_u32 v3, v0, s21
	v_mad_u64_u32 v[0:1], s[8:9], v0, s20, 0
	v_add3_u32 v1, v1, v3, v2
	v_lshlrev_b64 v[0:1], 3, v[0:1]
	v_mov_b32_e32 v2, s53
	v_add_co_u32_e64 v0, s[8:9], s52, v0
	v_addc_co_u32_e64 v1, s[8:9], v2, v1, s[8:9]
	s_and_b64 s[8:9], s[4:5], vcc
	s_and_saveexec_b64 s[10:11], s[8:9]
	s_cbranch_execz .LBB51_61
; %bb.60:                               ;   in Loop: Header=BB51_4 Depth=1
	v_add_co_u32_e64 v2, s[8:9], v0, v22
	v_addc_co_u32_e64 v3, s[8:9], v1, v23, s[8:9]
	global_load_dwordx2 v[4:5], v[2:3], off
	s_waitcnt vmcnt(0)
	v_fmac_f64_e32 v[4:5], s[28:29], v[32:33]
	global_store_dwordx2 v[2:3], v[4:5], off
.LBB51_61:                              ;   in Loop: Header=BB51_4 Depth=1
	s_or_b64 exec, exec, s[10:11]
	s_and_b64 s[10:11], s[16:17], vcc
	s_and_saveexec_b64 s[8:9], s[10:11]
	s_cbranch_execz .LBB51_3
; %bb.62:                               ;   in Loop: Header=BB51_4 Depth=1
	v_lshlrev_b64 v[2:3], 3, v[16:17]
	v_add_co_u32_e32 v0, vcc, v0, v2
	v_addc_co_u32_e32 v1, vcc, v1, v3, vcc
	global_load_dwordx2 v[2:3], v[0:1], off
	s_waitcnt vmcnt(0)
	v_fmac_f64_e32 v[2:3], s[28:29], v[30:31]
	global_store_dwordx2 v[0:1], v[2:3], off
	s_branch .LBB51_3
.LBB51_63:
	s_endpgm
	.section	.rodata,"a",@progbits
	.p2align	6, 0x0
	.amdhsa_kernel _ZL30rocblas_trmm_outofplace_kernelIdLi32ELi2ELb0ELb1ELb0ELb0EdKddEv17rocblas_diagonal_iiT6_lPT7_lllS4_lllPT8_llli
		.amdhsa_group_segment_fixed_size 16384
		.amdhsa_private_segment_fixed_size 0
		.amdhsa_kernarg_size 392
		.amdhsa_user_sgpr_count 6
		.amdhsa_user_sgpr_private_segment_buffer 1
		.amdhsa_user_sgpr_dispatch_ptr 0
		.amdhsa_user_sgpr_queue_ptr 0
		.amdhsa_user_sgpr_kernarg_segment_ptr 1
		.amdhsa_user_sgpr_dispatch_id 0
		.amdhsa_user_sgpr_flat_scratch_init 0
		.amdhsa_user_sgpr_kernarg_preload_length 0
		.amdhsa_user_sgpr_kernarg_preload_offset 0
		.amdhsa_user_sgpr_private_segment_size 0
		.amdhsa_uses_dynamic_stack 0
		.amdhsa_system_sgpr_private_segment_wavefront_offset 0
		.amdhsa_system_sgpr_workgroup_id_x 1
		.amdhsa_system_sgpr_workgroup_id_y 1
		.amdhsa_system_sgpr_workgroup_id_z 1
		.amdhsa_system_sgpr_workgroup_info 0
		.amdhsa_system_vgpr_workitem_id 1
		.amdhsa_next_free_vgpr 80
		.amdhsa_next_free_sgpr 55
		.amdhsa_accum_offset 80
		.amdhsa_reserve_vcc 1
		.amdhsa_reserve_flat_scratch 0
		.amdhsa_float_round_mode_32 0
		.amdhsa_float_round_mode_16_64 0
		.amdhsa_float_denorm_mode_32 3
		.amdhsa_float_denorm_mode_16_64 3
		.amdhsa_dx10_clamp 1
		.amdhsa_ieee_mode 1
		.amdhsa_fp16_overflow 0
		.amdhsa_tg_split 0
		.amdhsa_exception_fp_ieee_invalid_op 0
		.amdhsa_exception_fp_denorm_src 0
		.amdhsa_exception_fp_ieee_div_zero 0
		.amdhsa_exception_fp_ieee_overflow 0
		.amdhsa_exception_fp_ieee_underflow 0
		.amdhsa_exception_fp_ieee_inexact 0
		.amdhsa_exception_int_div_zero 0
	.end_amdhsa_kernel
	.section	.text._ZL30rocblas_trmm_outofplace_kernelIdLi32ELi2ELb0ELb1ELb0ELb0EdKddEv17rocblas_diagonal_iiT6_lPT7_lllS4_lllPT8_llli,"axG",@progbits,_ZL30rocblas_trmm_outofplace_kernelIdLi32ELi2ELb0ELb1ELb0ELb0EdKddEv17rocblas_diagonal_iiT6_lPT7_lllS4_lllPT8_llli,comdat
.Lfunc_end51:
	.size	_ZL30rocblas_trmm_outofplace_kernelIdLi32ELi2ELb0ELb1ELb0ELb0EdKddEv17rocblas_diagonal_iiT6_lPT7_lllS4_lllPT8_llli, .Lfunc_end51-_ZL30rocblas_trmm_outofplace_kernelIdLi32ELi2ELb0ELb1ELb0ELb0EdKddEv17rocblas_diagonal_iiT6_lPT7_lllS4_lllPT8_llli
                                        ; -- End function
	.section	.AMDGPU.csdata,"",@progbits
; Kernel info:
; codeLenInByte = 3308
; NumSgprs: 59
; NumVgprs: 80
; NumAgprs: 0
; TotalNumVgprs: 80
; ScratchSize: 0
; MemoryBound: 1
; FloatMode: 240
; IeeeMode: 1
; LDSByteSize: 16384 bytes/workgroup (compile time only)
; SGPRBlocks: 7
; VGPRBlocks: 9
; NumSGPRsForWavesPerEU: 59
; NumVGPRsForWavesPerEU: 80
; AccumOffset: 80
; Occupancy: 6
; WaveLimiterHint : 0
; COMPUTE_PGM_RSRC2:SCRATCH_EN: 0
; COMPUTE_PGM_RSRC2:USER_SGPR: 6
; COMPUTE_PGM_RSRC2:TRAP_HANDLER: 0
; COMPUTE_PGM_RSRC2:TGID_X_EN: 1
; COMPUTE_PGM_RSRC2:TGID_Y_EN: 1
; COMPUTE_PGM_RSRC2:TGID_Z_EN: 1
; COMPUTE_PGM_RSRC2:TIDIG_COMP_CNT: 1
; COMPUTE_PGM_RSRC3_GFX90A:ACCUM_OFFSET: 19
; COMPUTE_PGM_RSRC3_GFX90A:TG_SPLIT: 0
	.section	.text._ZL30rocblas_trmm_outofplace_kernelIdLi32ELi2ELb0ELb0ELb1ELb0EPKdS0_dEv17rocblas_diagonal_iiT6_lPT7_lllS5_lllPT8_llli,"axG",@progbits,_ZL30rocblas_trmm_outofplace_kernelIdLi32ELi2ELb0ELb0ELb1ELb0EPKdS0_dEv17rocblas_diagonal_iiT6_lPT7_lllS5_lllPT8_llli,comdat
	.globl	_ZL30rocblas_trmm_outofplace_kernelIdLi32ELi2ELb0ELb0ELb1ELb0EPKdS0_dEv17rocblas_diagonal_iiT6_lPT7_lllS5_lllPT8_llli ; -- Begin function _ZL30rocblas_trmm_outofplace_kernelIdLi32ELi2ELb0ELb0ELb1ELb0EPKdS0_dEv17rocblas_diagonal_iiT6_lPT7_lllS5_lllPT8_llli
	.p2align	8
	.type	_ZL30rocblas_trmm_outofplace_kernelIdLi32ELi2ELb0ELb0ELb1ELb0EPKdS0_dEv17rocblas_diagonal_iiT6_lPT7_lllS5_lllPT8_llli,@function
_ZL30rocblas_trmm_outofplace_kernelIdLi32ELi2ELb0ELb0ELb1ELb0EPKdS0_dEv17rocblas_diagonal_iiT6_lPT7_lllS5_lllPT8_llli: ; @_ZL30rocblas_trmm_outofplace_kernelIdLi32ELi2ELb0ELb0ELb1ELb0EPKdS0_dEv17rocblas_diagonal_iiT6_lPT7_lllS5_lllPT8_llli
; %bb.0:
	s_load_dwordx16 s[12:27], s[4:5], 0x10
	s_waitcnt lgkmcnt(0)
	s_mul_i32 s0, s8, s15
	s_mul_hi_u32 s1, s8, s14
	s_add_i32 s1, s1, s0
	s_mul_i32 s0, s8, s14
	s_lshl_b64 s[0:1], s[0:1], 3
	s_add_u32 s0, s12, s0
	s_addc_u32 s1, s13, s1
	s_load_dwordx2 s[34:35], s[0:1], 0x0
	s_waitcnt lgkmcnt(0)
	v_cmp_eq_f64_e64 s[0:1], s[34:35], 0
	s_and_b64 vcc, exec, s[0:1]
	s_cbranch_vccnz .LBB52_63
; %bb.1:
	s_load_dwordx4 s[28:31], s[4:5], 0x0
	s_waitcnt lgkmcnt(0)
	s_add_i32 s0, s30, -1
	s_ashr_i32 s1, s0, 31
	s_lshr_b32 s1, s1, 27
	s_add_i32 s0, s0, s1
	s_ashr_i32 s33, s0, 5
	s_cmp_gt_i32 s7, s33
	s_cbranch_scc1 .LBB52_63
; %bb.2:
	s_mul_i32 s0, s8, s23
	s_mul_hi_u32 s1, s8, s22
	s_add_i32 s1, s1, s0
	s_mul_i32 s0, s8, s22
	s_load_dwordx4 s[44:47], s[4:5], 0x70
	s_load_dword s48, s[4:5], 0x8c
	s_lshl_b64 s[12:13], s[0:1], 3
	s_add_u32 s0, s16, s12
	s_load_dwordx8 s[36:43], s[4:5], 0x50
	s_addc_u32 s1, s17, s13
	s_lshl_b64 s[14:15], s[18:19], 3
	s_add_u32 s2, s0, s14
	s_addc_u32 s3, s1, s15
	s_waitcnt lgkmcnt(0)
	s_mul_i32 s0, s8, s47
	s_mul_hi_u32 s1, s8, s46
	s_add_i32 s1, s1, s0
	s_mul_i32 s0, s8, s46
	s_lshl_b64 s[0:1], s[0:1], 3
	s_add_u32 s4, s40, s0
	s_addc_u32 s5, s41, s1
	s_lshl_b64 s[0:1], s[42:43], 3
	s_add_u32 s49, s4, s0
	v_and_b32_e32 v10, 0x3ff, v0
	s_addc_u32 s50, s5, s1
	v_mad_u64_u32 v[2:3], s[0:1], v10, s20, 0
	v_mov_b32_e32 v4, v3
	v_mad_u64_u32 v[4:5], s[0:1], v10, s21, v[4:5]
	v_mov_b32_e32 v3, v4
	v_lshlrev_b64 v[2:3], 3, v[2:3]
	v_mov_b32_e32 v4, s3
	v_add_co_u32_e32 v14, vcc, s2, v2
	s_cmpk_eq_i32 s28, 0x84
	v_bfe_u32 v8, v0, 10, 10
	v_lshl_add_u32 v0, s6, 5, v10
	v_addc_co_u32_e32 v15, vcc, v4, v3, vcc
	s_cselect_b64 s[22:23], -1, 0
	s_ashr_i32 s0, s29, 31
	v_ashrrev_i32_e32 v1, 31, v0
	v_mov_b32_e32 v3, s0
	v_sub_co_u32_e32 v2, vcc, s29, v0
	v_subb_co_u32_e32 v3, vcc, v3, v1, vcc
	v_sub_co_u32_e64 v59, s[10:11], 0, v10
	v_cmp_gt_i64_e32 vcc, 1, v[2:3]
	v_cmp_gt_i64_e64 s[0:1], 17, v[2:3]
	v_subb_co_u32_e64 v60, s[10:11], 0, 0, s[10:11]
	v_mad_u64_u32 v[2:3], s[10:11], s36, v8, 0
	v_mov_b32_e32 v4, v3
	s_ashr_i32 s31, s30, 31
	s_lshl_b64 s[40:41], s[20:21], 8
	s_lshl_b64 s[42:43], s[36:37], 8
	v_mad_u64_u32 v[4:5], s[10:11], s37, v8, v[4:5]
	s_add_u32 s46, s30, -16
	s_mul_i32 s9, s39, s8
	s_mul_hi_u32 s10, s38, s8
	s_addc_u32 s47, s31, -1
	s_add_i32 s9, s10, s9
	s_mul_i32 s8, s38, s8
	s_lshl_b32 s6, s48, 5
	s_lshl_b64 s[8:9], s[8:9], 3
	s_lshl_b64 s[10:11], s[26:27], 3
	s_add_u32 s8, s8, s10
	s_addc_u32 s9, s9, s11
	s_add_u32 s8, s24, s8
	v_lshlrev_b64 v[22:23], 3, v[0:1]
	s_addc_u32 s9, s25, s9
	v_cmp_gt_i32_e64 s[2:3], s29, v0
	v_add_u32_e32 v16, 16, v0
	v_mov_b32_e32 v0, s9
	v_add_co_u32_e64 v1, s[8:9], s8, v22
	v_addc_co_u32_e64 v0, s[8:9], v0, v23, s[8:9]
	s_movk_i32 s8, 0x80
	v_add_co_u32_e64 v24, s[8:9], s8, v1
	v_addc_co_u32_e64 v25, s[8:9], 0, v0, s[8:9]
	s_add_u32 s8, s16, s14
	s_addc_u32 s9, s17, s15
	s_add_u32 s8, s8, s12
	v_lshlrev_b32_e32 v6, 3, v10
	v_mov_b32_e32 v3, v4
	s_addc_u32 s9, s9, s13
	v_lshlrev_b64 v[20:21], 3, v[2:3]
	v_add_u32_e32 v2, 0x80, v6
	v_pk_mov_b32 v[0:1], s[8:9], s[8:9] op_sel:[0,1]
	v_mad_u64_u32 v[26:27], s[8:9], s20, v2, v[0:1]
	v_mov_b32_e32 v0, v27
	v_mad_u64_u32 v[0:1], s[8:9], s21, v2, v[0:1]
	v_mov_b32_e32 v27, v0
	v_mov_b32_e32 v0, 0x80
	v_lshl_add_u32 v1, v8, 3, v0
	v_mad_u64_u32 v[28:29], s[8:9], s36, v1, 0
	v_mov_b32_e32 v0, v29
	v_lshlrev_b32_e32 v11, 8, v8
	v_or_b32_e32 v57, 0x2000, v6
	v_mad_u64_u32 v[0:1], s[8:9], s37, v1, v[0:1]
	v_mov_b32_e32 v12, 0
	v_add_u32_e32 v56, v11, v6
	v_add_u32_e32 v58, v57, v11
	v_cmp_gt_i32_e64 s[4:5], s29, v16
	v_ashrrev_i32_e32 v17, 31, v16
	v_lshl_add_u32 v18, s7, 5, v8
	v_mov_b32_e32 v9, v0
	v_mov_b32_e32 v13, 0x3ff00000
	s_branch .LBB52_4
.LBB52_3:                               ;   in Loop: Header=BB52_4 Depth=1
	s_or_b64 exec, exec, s[10:11]
	s_add_i32 s7, s48, s7
	s_cmp_le_i32 s7, s33
	v_add_u32_e32 v18, s6, v18
	s_cbranch_scc0 .LBB52_63
.LBB52_4:                               ; =>This Loop Header: Depth=1
                                        ;     Child Loop BB52_7 Depth 2
	s_lshl_b32 s38, s7, 5
	v_add_u32_e32 v32, s38, v8
	v_pk_mov_b32 v[38:39], 0, 0
	v_ashrrev_i32_e32 v33, 31, v32
	s_cmp_lt_i32 s7, 0
	v_pk_mov_b32 v[36:37], v[38:39], v[38:39] op_sel:[0,1]
	v_pk_mov_b32 v[34:35], v[38:39], v[38:39] op_sel:[0,1]
	;; [unrolled: 1-line block ×3, first 2 shown]
	s_cbranch_scc1 .LBB52_55
; %bb.5:                                ;   in Loop: Header=BB52_4 Depth=1
	v_ashrrev_i32_e32 v19, 31, v18
	v_add_co_u32_e64 v40, s[8:9], v59, v18
	v_addc_co_u32_e64 v41, s[8:9], v60, v19, s[8:9]
	v_add_co_u32_e64 v46, s[10:11], 16, v40
	v_add_co_u32_e64 v44, s[8:9], 16, v32
	v_addc_co_u32_e64 v47, s[10:11], 0, v41, s[10:11]
	v_addc_co_u32_e64 v45, s[8:9], 0, v33, s[8:9]
	v_add_co_u32_e64 v48, s[10:11], -16, v40
	v_pk_mov_b32 v[30:31], 0, 0
	v_lshlrev_b64 v[42:43], 3, v[18:19]
	v_cmp_le_i32_e64 s[16:17], s30, v32
	v_cmp_le_i64_e64 s[8:9], s[30:31], v[44:45]
	v_addc_co_u32_e64 v49, s[10:11], -1, v41, s[10:11]
	s_mov_b64 s[20:21], 0
	v_pk_mov_b32 v[50:51], v[14:15], v[14:15] op_sel:[0,1]
	v_pk_mov_b32 v[52:53], v[26:27], v[26:27] op_sel:[0,1]
	;; [unrolled: 1-line block ×6, first 2 shown]
	s_branch .LBB52_7
.LBB52_6:                               ;   in Loop: Header=BB52_7 Depth=2
	s_or_b64 exec, exec, s[10:11]
	s_waitcnt lgkmcnt(0)
	s_barrier
	ds_read2_b64 v[62:65], v57 offset1:16
	ds_read_b128 v[66:69], v11
	ds_read_b128 v[70:73], v11 offset:16
	ds_read_b128 v[4:7], v11 offset:32
	;; [unrolled: 1-line block ×4, first 2 shown]
	ds_read2_b64 v[78:81], v57 offset0:32 offset1:48
	s_waitcnt lgkmcnt(5)
	v_fmac_f64_e32 v[38:39], v[62:63], v[66:67]
	v_fmac_f64_e32 v[36:37], v[64:65], v[66:67]
	ds_read_b128 v[82:85], v11 offset:4112
	s_waitcnt lgkmcnt(2)
	v_fmac_f64_e32 v[34:35], v[62:63], v[74:75]
	v_fmac_f64_e32 v[30:31], v[64:65], v[74:75]
	ds_read2_b64 v[62:65], v57 offset0:64 offset1:80
	s_waitcnt lgkmcnt(2)
	v_fmac_f64_e32 v[38:39], v[78:79], v[68:69]
	v_fmac_f64_e32 v[36:37], v[80:81], v[68:69]
	ds_read2_b64 v[66:69], v57 offset0:96 offset1:112
	v_fmac_f64_e32 v[34:35], v[78:79], v[76:77]
	v_fmac_f64_e32 v[30:31], v[80:81], v[76:77]
	ds_read_b128 v[74:77], v11 offset:4144
	s_waitcnt lgkmcnt(2)
	v_fmac_f64_e32 v[38:39], v[62:63], v[70:71]
	v_fmac_f64_e32 v[36:37], v[64:65], v[70:71]
	v_fmac_f64_e32 v[34:35], v[62:63], v[82:83]
	v_fmac_f64_e32 v[30:31], v[64:65], v[82:83]
	s_waitcnt lgkmcnt(1)
	v_fmac_f64_e32 v[38:39], v[66:67], v[72:73]
	ds_read2_b64 v[62:65], v57 offset0:128 offset1:144
	v_fmac_f64_e32 v[36:37], v[68:69], v[72:73]
	v_fmac_f64_e32 v[34:35], v[66:67], v[84:85]
	;; [unrolled: 1-line block ×3, first 2 shown]
	ds_read_b128 v[66:69], v11 offset:4128
	ds_read2_b64 v[70:73], v57 offset0:160 offset1:176
	s_waitcnt lgkmcnt(2)
	v_fmac_f64_e32 v[38:39], v[62:63], v[4:5]
	v_fmac_f64_e32 v[36:37], v[64:65], v[4:5]
	v_add_u32_e32 v19, 0x800, v57
	s_waitcnt lgkmcnt(1)
	v_fmac_f64_e32 v[34:35], v[62:63], v[66:67]
	v_fmac_f64_e32 v[30:31], v[64:65], v[66:67]
	ds_read2_b64 v[62:65], v57 offset0:192 offset1:208
	s_waitcnt lgkmcnt(1)
	v_fmac_f64_e32 v[38:39], v[70:71], v[6:7]
	v_fmac_f64_e32 v[36:37], v[72:73], v[6:7]
	ds_read2_b64 v[4:7], v57 offset0:224 offset1:240
	v_fmac_f64_e32 v[34:35], v[70:71], v[68:69]
	v_fmac_f64_e32 v[30:31], v[72:73], v[68:69]
	s_waitcnt lgkmcnt(1)
	v_fmac_f64_e32 v[38:39], v[62:63], v[0:1]
	v_fmac_f64_e32 v[36:37], v[64:65], v[0:1]
	;; [unrolled: 1-line block ×4, first 2 shown]
	s_waitcnt lgkmcnt(0)
	v_fmac_f64_e32 v[38:39], v[4:5], v[2:3]
	v_fmac_f64_e32 v[36:37], v[6:7], v[2:3]
	ds_read2_b64 v[0:3], v19 offset1:16
	ds_read_b128 v[62:65], v11 offset:64
	v_fmac_f64_e32 v[34:35], v[4:5], v[76:77]
	v_fmac_f64_e32 v[30:31], v[6:7], v[76:77]
	ds_read_b128 v[4:7], v11 offset:80
	ds_read_b128 v[66:69], v11 offset:4160
	ds_read2_b64 v[70:73], v19 offset0:32 offset1:48
	s_waitcnt lgkmcnt(3)
	v_fmac_f64_e32 v[38:39], v[0:1], v[62:63]
	v_fmac_f64_e32 v[36:37], v[2:3], v[62:63]
	ds_read_b128 v[74:77], v11 offset:4176
	s_waitcnt lgkmcnt(2)
	v_fmac_f64_e32 v[34:35], v[0:1], v[66:67]
	v_fmac_f64_e32 v[30:31], v[2:3], v[66:67]
	ds_read2_b64 v[0:3], v19 offset0:64 offset1:80
	s_waitcnt lgkmcnt(2)
	v_fmac_f64_e32 v[38:39], v[70:71], v[64:65]
	v_fmac_f64_e32 v[36:37], v[72:73], v[64:65]
	ds_read2_b64 v[62:65], v19 offset0:96 offset1:112
	v_fmac_f64_e32 v[34:35], v[70:71], v[68:69]
	v_fmac_f64_e32 v[30:31], v[72:73], v[68:69]
	s_waitcnt lgkmcnt(1)
	v_fmac_f64_e32 v[38:39], v[0:1], v[4:5]
	v_fmac_f64_e32 v[36:37], v[2:3], v[4:5]
	v_fmac_f64_e32 v[34:35], v[0:1], v[74:75]
	v_fmac_f64_e32 v[30:31], v[2:3], v[74:75]
	s_waitcnt lgkmcnt(0)
	v_fmac_f64_e32 v[38:39], v[62:63], v[6:7]
	v_fmac_f64_e32 v[36:37], v[64:65], v[6:7]
	ds_read2_b64 v[0:3], v19 offset0:128 offset1:144
	ds_read_b128 v[4:7], v11 offset:96
	v_fmac_f64_e32 v[34:35], v[62:63], v[76:77]
	v_fmac_f64_e32 v[30:31], v[64:65], v[76:77]
	ds_read_b128 v[62:65], v11 offset:112
	ds_read_b128 v[66:69], v11 offset:4192
	ds_read2_b64 v[70:73], v19 offset0:160 offset1:176
	s_waitcnt lgkmcnt(3)
	v_fmac_f64_e32 v[38:39], v[0:1], v[4:5]
	v_fmac_f64_e32 v[36:37], v[2:3], v[4:5]
	ds_read_b128 v[74:77], v11 offset:4208
	s_waitcnt lgkmcnt(2)
	v_fmac_f64_e32 v[34:35], v[0:1], v[66:67]
	v_fmac_f64_e32 v[30:31], v[2:3], v[66:67]
	ds_read2_b64 v[0:3], v19 offset0:192 offset1:208
	s_waitcnt lgkmcnt(2)
	v_fmac_f64_e32 v[38:39], v[70:71], v[6:7]
	v_fmac_f64_e32 v[36:37], v[72:73], v[6:7]
	ds_read2_b64 v[4:7], v19 offset0:224 offset1:240
	v_fmac_f64_e32 v[34:35], v[70:71], v[68:69]
	v_fmac_f64_e32 v[30:31], v[72:73], v[68:69]
	s_waitcnt lgkmcnt(1)
	v_fmac_f64_e32 v[38:39], v[0:1], v[62:63]
	v_fmac_f64_e32 v[36:37], v[2:3], v[62:63]
	;; [unrolled: 1-line block ×4, first 2 shown]
	v_add_u32_e32 v19, 0x1000, v57
	s_waitcnt lgkmcnt(0)
	v_fmac_f64_e32 v[38:39], v[4:5], v[64:65]
	v_fmac_f64_e32 v[36:37], v[6:7], v[64:65]
	ds_read2_b64 v[0:3], v19 offset1:16
	ds_read_b128 v[62:65], v11 offset:128
	v_fmac_f64_e32 v[34:35], v[4:5], v[76:77]
	v_fmac_f64_e32 v[30:31], v[6:7], v[76:77]
	ds_read_b128 v[4:7], v11 offset:144
	ds_read_b128 v[66:69], v11 offset:4224
	ds_read2_b64 v[70:73], v19 offset0:32 offset1:48
	s_waitcnt lgkmcnt(3)
	v_fmac_f64_e32 v[38:39], v[0:1], v[62:63]
	v_fmac_f64_e32 v[36:37], v[2:3], v[62:63]
	ds_read_b128 v[74:77], v11 offset:4240
	s_waitcnt lgkmcnt(2)
	v_fmac_f64_e32 v[34:35], v[0:1], v[66:67]
	v_fmac_f64_e32 v[30:31], v[2:3], v[66:67]
	ds_read2_b64 v[0:3], v19 offset0:64 offset1:80
	s_waitcnt lgkmcnt(2)
	v_fmac_f64_e32 v[38:39], v[70:71], v[64:65]
	v_fmac_f64_e32 v[36:37], v[72:73], v[64:65]
	ds_read2_b64 v[62:65], v19 offset0:96 offset1:112
	v_fmac_f64_e32 v[34:35], v[70:71], v[68:69]
	v_fmac_f64_e32 v[30:31], v[72:73], v[68:69]
	s_waitcnt lgkmcnt(1)
	v_fmac_f64_e32 v[38:39], v[0:1], v[4:5]
	v_fmac_f64_e32 v[36:37], v[2:3], v[4:5]
	;; [unrolled: 1-line block ×4, first 2 shown]
	s_waitcnt lgkmcnt(0)
	v_fmac_f64_e32 v[38:39], v[62:63], v[6:7]
	v_fmac_f64_e32 v[36:37], v[64:65], v[6:7]
	ds_read2_b64 v[0:3], v19 offset0:128 offset1:144
	ds_read_b128 v[4:7], v11 offset:160
	v_fmac_f64_e32 v[34:35], v[62:63], v[76:77]
	v_fmac_f64_e32 v[30:31], v[64:65], v[76:77]
	ds_read_b128 v[62:65], v11 offset:176
	ds_read_b128 v[66:69], v11 offset:4256
	ds_read2_b64 v[70:73], v19 offset0:160 offset1:176
	s_waitcnt lgkmcnt(3)
	v_fmac_f64_e32 v[38:39], v[0:1], v[4:5]
	v_fmac_f64_e32 v[36:37], v[2:3], v[4:5]
	ds_read_b128 v[74:77], v11 offset:4272
	s_waitcnt lgkmcnt(2)
	v_fmac_f64_e32 v[34:35], v[0:1], v[66:67]
	v_fmac_f64_e32 v[30:31], v[2:3], v[66:67]
	ds_read2_b64 v[0:3], v19 offset0:192 offset1:208
	s_waitcnt lgkmcnt(2)
	v_fmac_f64_e32 v[38:39], v[70:71], v[6:7]
	v_fmac_f64_e32 v[36:37], v[72:73], v[6:7]
	ds_read2_b64 v[4:7], v19 offset0:224 offset1:240
	v_fmac_f64_e32 v[34:35], v[70:71], v[68:69]
	v_fmac_f64_e32 v[30:31], v[72:73], v[68:69]
	s_waitcnt lgkmcnt(1)
	v_fmac_f64_e32 v[38:39], v[0:1], v[62:63]
	v_fmac_f64_e32 v[36:37], v[2:3], v[62:63]
	;; [unrolled: 1-line block ×4, first 2 shown]
	v_add_u32_e32 v19, 0x1800, v57
	s_waitcnt lgkmcnt(0)
	v_fmac_f64_e32 v[38:39], v[4:5], v[64:65]
	v_fmac_f64_e32 v[36:37], v[6:7], v[64:65]
	ds_read2_b64 v[0:3], v19 offset1:16
	ds_read_b128 v[62:65], v11 offset:192
	v_fmac_f64_e32 v[34:35], v[4:5], v[76:77]
	v_fmac_f64_e32 v[30:31], v[6:7], v[76:77]
	ds_read_b128 v[4:7], v11 offset:208
	ds_read_b128 v[66:69], v11 offset:4288
	ds_read2_b64 v[70:73], v19 offset0:32 offset1:48
	s_waitcnt lgkmcnt(3)
	v_fmac_f64_e32 v[38:39], v[0:1], v[62:63]
	v_fmac_f64_e32 v[36:37], v[2:3], v[62:63]
	ds_read_b128 v[74:77], v11 offset:4304
	s_waitcnt lgkmcnt(2)
	v_fmac_f64_e32 v[34:35], v[0:1], v[66:67]
	v_fmac_f64_e32 v[30:31], v[2:3], v[66:67]
	ds_read2_b64 v[0:3], v19 offset0:64 offset1:80
	s_waitcnt lgkmcnt(2)
	v_fmac_f64_e32 v[38:39], v[70:71], v[64:65]
	v_fmac_f64_e32 v[36:37], v[72:73], v[64:65]
	ds_read2_b64 v[62:65], v19 offset0:96 offset1:112
	v_fmac_f64_e32 v[34:35], v[70:71], v[68:69]
	v_fmac_f64_e32 v[30:31], v[72:73], v[68:69]
	s_waitcnt lgkmcnt(1)
	v_fmac_f64_e32 v[38:39], v[0:1], v[4:5]
	v_fmac_f64_e32 v[36:37], v[2:3], v[4:5]
	;; [unrolled: 1-line block ×4, first 2 shown]
	s_waitcnt lgkmcnt(0)
	v_fmac_f64_e32 v[38:39], v[62:63], v[6:7]
	v_fmac_f64_e32 v[36:37], v[64:65], v[6:7]
	ds_read2_b64 v[0:3], v19 offset0:128 offset1:144
	ds_read_b128 v[4:7], v11 offset:224
	v_fmac_f64_e32 v[34:35], v[62:63], v[76:77]
	v_fmac_f64_e32 v[30:31], v[64:65], v[76:77]
	ds_read_b128 v[62:65], v11 offset:240
	ds_read_b128 v[66:69], v11 offset:4320
	ds_read2_b64 v[70:73], v19 offset0:160 offset1:176
	s_waitcnt lgkmcnt(3)
	v_fmac_f64_e32 v[38:39], v[0:1], v[4:5]
	v_fmac_f64_e32 v[36:37], v[2:3], v[4:5]
	ds_read_b128 v[74:77], v11 offset:4336
	s_waitcnt lgkmcnt(2)
	v_fmac_f64_e32 v[34:35], v[0:1], v[66:67]
	v_fmac_f64_e32 v[30:31], v[2:3], v[66:67]
	ds_read2_b64 v[0:3], v19 offset0:192 offset1:208
	s_waitcnt lgkmcnt(2)
	v_fmac_f64_e32 v[38:39], v[70:71], v[6:7]
	v_fmac_f64_e32 v[34:35], v[70:71], v[68:69]
	;; [unrolled: 1-line block ×3, first 2 shown]
	ds_read2_b64 v[4:7], v19 offset0:224 offset1:240
	s_waitcnt lgkmcnt(1)
	v_fmac_f64_e32 v[38:39], v[0:1], v[62:63]
	v_fmac_f64_e32 v[34:35], v[0:1], v[74:75]
	v_mov_b32_e32 v0, s43
	v_add_co_u32_e64 v54, s[10:11], s42, v54
	v_addc_co_u32_e64 v55, s[10:11], v55, v0, s[10:11]
	v_mov_b32_e32 v0, s41
	v_add_co_u32_e64 v52, s[10:11], s40, v52
	v_fmac_f64_e32 v[30:31], v[72:73], v[68:69]
	s_add_u32 s20, s20, 32
	v_addc_co_u32_e64 v53, s[10:11], v53, v0, s[10:11]
	v_fmac_f64_e32 v[36:37], v[2:3], v[62:63]
	v_fmac_f64_e32 v[30:31], v[2:3], v[74:75]
	s_addc_u32 s21, s21, 0
	s_sub_i32 s12, s20, 32
	v_add_co_u32_e64 v50, s[10:11], s40, v50
	s_waitcnt lgkmcnt(0)
	v_fmac_f64_e32 v[38:39], v[4:5], v[64:65]
	v_fmac_f64_e32 v[36:37], v[6:7], v[64:65]
	;; [unrolled: 1-line block ×4, first 2 shown]
	s_cmp_ge_i32 s12, s38
	v_addc_co_u32_e64 v51, s[10:11], v51, v0, s[10:11]
	s_barrier
	s_cbranch_scc1 .LBB52_55
.LBB52_7:                               ;   Parent Loop BB52_4 Depth=1
                                        ; =>  This Inner Loop Header: Depth=2
	v_mov_b32_e32 v0, s21
	v_add_co_u32_e64 v2, s[10:11], s20, v10
	v_addc_co_u32_e64 v3, s[10:11], 0, v0, s[10:11]
	v_add_co_u32_e64 v0, s[10:11], v50, v42
	v_addc_co_u32_e64 v1, s[10:11], v51, v43, s[10:11]
	v_cmp_eq_u64_e64 s[10:11], s[20:21], v[40:41]
	s_and_b64 s[26:27], s[22:23], s[10:11]
	v_cmp_gt_i64_e64 s[10:11], v[2:3], v[32:33]
	s_or_b64 s[14:15], s[16:17], s[10:11]
	v_cmp_le_i64_e64 s[12:13], s[30:31], v[2:3]
	s_or_b64 s[14:15], s[14:15], s[26:27]
	s_or_b64 s[14:15], s[12:13], s[14:15]
	s_xor_b64 s[14:15], s[14:15], -1
	s_and_saveexec_b64 s[18:19], s[14:15]
	s_xor_b64 s[14:15], exec, s[18:19]
	s_cbranch_execz .LBB52_9
; %bb.8:                                ;   in Loop: Header=BB52_7 Depth=2
	global_load_dwordx2 v[4:5], v[0:1], off
	s_waitcnt vmcnt(0)
	ds_write_b64 v56, v[4:5]
.LBB52_9:                               ;   in Loop: Header=BB52_7 Depth=2
	s_or_saveexec_b64 s[14:15], s[14:15]
	s_xor_b64 s[24:25], s[26:27], -1
	s_xor_b64 exec, exec, s[14:15]
	s_cbranch_execz .LBB52_15
; %bb.10:                               ;   in Loop: Header=BB52_7 Depth=2
	s_and_saveexec_b64 s[18:19], s[24:25]
	s_xor_b64 s[18:19], exec, s[18:19]
	s_cbranch_execz .LBB52_12
; %bb.11:                               ;   in Loop: Header=BB52_7 Depth=2
	v_mov_b32_e32 v4, v12
	v_mov_b32_e32 v5, v12
	ds_write_b64 v56, v[4:5]
.LBB52_12:                              ;   in Loop: Header=BB52_7 Depth=2
	s_andn2_saveexec_b64 s[18:19], s[18:19]
	s_cbranch_execz .LBB52_14
; %bb.13:                               ;   in Loop: Header=BB52_7 Depth=2
	ds_write_b64 v56, v[12:13]
.LBB52_14:                              ;   in Loop: Header=BB52_7 Depth=2
	s_or_b64 exec, exec, s[18:19]
.LBB52_15:                              ;   in Loop: Header=BB52_7 Depth=2
	s_or_b64 exec, exec, s[14:15]
	v_add_co_u32_e64 v4, s[14:15], 16, v2
	v_addc_co_u32_e64 v5, s[14:15], 0, v3, s[14:15]
	v_cmp_eq_u64_e64 s[14:15], s[20:21], v[48:49]
	v_cmp_gt_i64_e64 s[18:19], v[4:5], v[32:33]
	s_and_b64 s[28:29], s[22:23], s[14:15]
	s_or_b64 s[18:19], s[16:17], s[18:19]
	v_cmp_le_i64_e64 s[14:15], s[30:31], v[4:5]
	s_or_b64 s[18:19], s[18:19], s[28:29]
	s_or_b64 s[18:19], s[14:15], s[18:19]
	s_xor_b64 s[18:19], s[18:19], -1
	s_and_saveexec_b64 s[36:37], s[18:19]
	s_xor_b64 s[36:37], exec, s[36:37]
	s_cbranch_execz .LBB52_17
; %bb.16:                               ;   in Loop: Header=BB52_7 Depth=2
	v_add_co_u32_e64 v4, s[18:19], v52, v42
	v_addc_co_u32_e64 v5, s[18:19], v53, v43, s[18:19]
	global_load_dwordx2 v[4:5], v[4:5], off
	s_waitcnt vmcnt(0)
	ds_write_b64 v56, v[4:5] offset:128
.LBB52_17:                              ;   in Loop: Header=BB52_7 Depth=2
	s_andn2_saveexec_b64 s[18:19], s[36:37]
	s_cbranch_execz .LBB52_23
; %bb.18:                               ;   in Loop: Header=BB52_7 Depth=2
	s_xor_b64 s[28:29], s[28:29], -1
	s_and_saveexec_b64 s[36:37], s[28:29]
	s_xor_b64 s[28:29], exec, s[36:37]
	s_cbranch_execz .LBB52_20
; %bb.19:                               ;   in Loop: Header=BB52_7 Depth=2
	v_mov_b32_e32 v4, v12
	v_mov_b32_e32 v5, v12
	ds_write_b64 v56, v[4:5] offset:128
.LBB52_20:                              ;   in Loop: Header=BB52_7 Depth=2
	s_andn2_saveexec_b64 s[28:29], s[28:29]
	s_cbranch_execz .LBB52_22
; %bb.21:                               ;   in Loop: Header=BB52_7 Depth=2
	ds_write_b64 v56, v[12:13] offset:128
.LBB52_22:                              ;   in Loop: Header=BB52_7 Depth=2
	s_or_b64 exec, exec, s[28:29]
.LBB52_23:                              ;   in Loop: Header=BB52_7 Depth=2
	s_or_b64 exec, exec, s[18:19]
	v_cmp_eq_u64_e64 s[18:19], s[20:21], v[46:47]
	s_and_b64 s[28:29], s[22:23], s[18:19]
	v_cmp_gt_i64_e64 s[18:19], v[2:3], v[44:45]
	s_or_b64 s[18:19], s[8:9], s[18:19]
	s_or_b64 s[18:19], s[18:19], s[28:29]
	;; [unrolled: 1-line block ×3, first 2 shown]
	s_xor_b64 s[12:13], s[12:13], -1
	s_and_saveexec_b64 s[18:19], s[12:13]
	s_xor_b64 s[12:13], exec, s[18:19]
	s_cbranch_execz .LBB52_25
; %bb.24:                               ;   in Loop: Header=BB52_7 Depth=2
	global_load_dwordx2 v[0:1], v[0:1], off offset:128
	s_waitcnt vmcnt(0)
	ds_write_b64 v56, v[0:1] offset:4096
.LBB52_25:                              ;   in Loop: Header=BB52_7 Depth=2
	s_andn2_saveexec_b64 s[12:13], s[12:13]
	s_cbranch_execz .LBB52_31
; %bb.26:                               ;   in Loop: Header=BB52_7 Depth=2
	s_xor_b64 s[18:19], s[28:29], -1
	s_and_saveexec_b64 s[28:29], s[18:19]
	s_xor_b64 s[18:19], exec, s[28:29]
	s_cbranch_execz .LBB52_28
; %bb.27:                               ;   in Loop: Header=BB52_7 Depth=2
	v_mov_b32_e32 v0, v12
	v_mov_b32_e32 v1, v12
	ds_write_b64 v56, v[0:1] offset:4096
.LBB52_28:                              ;   in Loop: Header=BB52_7 Depth=2
	s_andn2_saveexec_b64 s[18:19], s[18:19]
	s_cbranch_execz .LBB52_30
; %bb.29:                               ;   in Loop: Header=BB52_7 Depth=2
	ds_write_b64 v56, v[12:13] offset:4096
.LBB52_30:                              ;   in Loop: Header=BB52_7 Depth=2
	s_or_b64 exec, exec, s[18:19]
.LBB52_31:                              ;   in Loop: Header=BB52_7 Depth=2
	s_or_b64 exec, exec, s[12:13]
	s_or_b64 s[10:11], s[8:9], s[10:11]
	s_or_b64 s[10:11], s[10:11], s[26:27]
	;; [unrolled: 1-line block ×3, first 2 shown]
	s_xor_b64 s[10:11], s[10:11], -1
	s_and_saveexec_b64 s[12:13], s[10:11]
	s_xor_b64 s[12:13], exec, s[12:13]
	s_cbranch_execz .LBB52_33
; %bb.32:                               ;   in Loop: Header=BB52_7 Depth=2
	v_add_co_u32_e64 v0, s[10:11], v52, v42
	v_addc_co_u32_e64 v1, s[10:11], v53, v43, s[10:11]
	global_load_dwordx2 v[0:1], v[0:1], off offset:128
	s_waitcnt vmcnt(0)
	ds_write_b64 v56, v[0:1] offset:4224
.LBB52_33:                              ;   in Loop: Header=BB52_7 Depth=2
	s_andn2_saveexec_b64 s[10:11], s[12:13]
	s_cbranch_execz .LBB52_39
; %bb.34:                               ;   in Loop: Header=BB52_7 Depth=2
	s_and_saveexec_b64 s[12:13], s[24:25]
	s_xor_b64 s[12:13], exec, s[12:13]
	s_cbranch_execz .LBB52_36
; %bb.35:                               ;   in Loop: Header=BB52_7 Depth=2
	v_mov_b32_e32 v0, v12
	v_mov_b32_e32 v1, v12
	ds_write_b64 v56, v[0:1] offset:4224
.LBB52_36:                              ;   in Loop: Header=BB52_7 Depth=2
	s_andn2_saveexec_b64 s[12:13], s[12:13]
	s_cbranch_execz .LBB52_38
; %bb.37:                               ;   in Loop: Header=BB52_7 Depth=2
	ds_write_b64 v56, v[12:13] offset:4224
.LBB52_38:                              ;   in Loop: Header=BB52_7 Depth=2
	s_or_b64 exec, exec, s[12:13]
.LBB52_39:                              ;   in Loop: Header=BB52_7 Depth=2
	s_or_b64 exec, exec, s[10:11]
	v_mov_b32_e32 v1, s21
	v_add_co_u32_e64 v0, s[10:11], s20, v8
	v_addc_co_u32_e64 v1, s[10:11], 0, v1, s[10:11]
	v_add_co_u32_e64 v2, s[10:11], v54, v20
	v_addc_co_u32_e64 v3, s[10:11], v55, v21, s[10:11]
	v_cmp_le_i64_e64 s[10:11], s[30:31], v[0:1]
	s_or_b64 s[12:13], s[10:11], vcc
	s_xor_b64 s[12:13], s[12:13], -1
	s_and_saveexec_b64 s[14:15], s[12:13]
	s_xor_b64 s[12:13], exec, s[14:15]
	s_cbranch_execz .LBB52_41
; %bb.40:                               ;   in Loop: Header=BB52_7 Depth=2
	global_load_dwordx2 v[4:5], v[2:3], off offset:-128
	s_waitcnt vmcnt(0)
	ds_write_b64 v58, v[4:5]
.LBB52_41:                              ;   in Loop: Header=BB52_7 Depth=2
	s_andn2_saveexec_b64 s[12:13], s[12:13]
	s_cbranch_execz .LBB52_43
; %bb.42:                               ;   in Loop: Header=BB52_7 Depth=2
	v_mov_b32_e32 v4, v12
	v_mov_b32_e32 v5, v12
	ds_write_b64 v58, v[4:5]
.LBB52_43:                              ;   in Loop: Header=BB52_7 Depth=2
	s_or_b64 exec, exec, s[12:13]
	s_or_b64 s[10:11], s[10:11], s[0:1]
	s_xor_b64 s[10:11], s[10:11], -1
	s_and_saveexec_b64 s[12:13], s[10:11]
	s_xor_b64 s[10:11], exec, s[12:13]
	s_cbranch_execz .LBB52_45
; %bb.44:                               ;   in Loop: Header=BB52_7 Depth=2
	global_load_dwordx2 v[2:3], v[2:3], off
	s_waitcnt vmcnt(0)
	ds_write_b64 v58, v[2:3] offset:128
.LBB52_45:                              ;   in Loop: Header=BB52_7 Depth=2
	s_andn2_saveexec_b64 s[10:11], s[10:11]
	s_cbranch_execz .LBB52_47
; %bb.46:                               ;   in Loop: Header=BB52_7 Depth=2
	v_mov_b32_e32 v2, v12
	v_mov_b32_e32 v3, v12
	ds_write_b64 v58, v[2:3] offset:128
.LBB52_47:                              ;   in Loop: Header=BB52_7 Depth=2
	s_or_b64 exec, exec, s[10:11]
	v_cmp_le_i64_e64 s[10:11], s[46:47], v[0:1]
	s_or_b64 s[12:13], s[10:11], vcc
	s_xor_b64 s[12:13], s[12:13], -1
	s_and_saveexec_b64 s[14:15], s[12:13]
	s_xor_b64 s[14:15], exec, s[14:15]
	s_cbranch_execz .LBB52_49
; %bb.48:                               ;   in Loop: Header=BB52_7 Depth=2
	v_add_co_u32_e64 v0, s[12:13], v54, v28
	v_addc_co_u32_e64 v1, s[12:13], v55, v9, s[12:13]
	global_load_dwordx2 v[0:1], v[0:1], off offset:-128
	s_waitcnt vmcnt(0)
	ds_write_b64 v58, v[0:1] offset:4096
.LBB52_49:                              ;   in Loop: Header=BB52_7 Depth=2
	s_andn2_saveexec_b64 s[12:13], s[14:15]
	s_cbranch_execz .LBB52_51
; %bb.50:                               ;   in Loop: Header=BB52_7 Depth=2
	v_mov_b32_e32 v0, v12
	v_mov_b32_e32 v1, v12
	ds_write_b64 v58, v[0:1] offset:4096
.LBB52_51:                              ;   in Loop: Header=BB52_7 Depth=2
	s_or_b64 exec, exec, s[12:13]
	s_or_b64 s[10:11], s[10:11], s[0:1]
	s_xor_b64 s[10:11], s[10:11], -1
	s_and_saveexec_b64 s[12:13], s[10:11]
	s_xor_b64 s[12:13], exec, s[12:13]
	s_cbranch_execz .LBB52_53
; %bb.52:                               ;   in Loop: Header=BB52_7 Depth=2
	v_add_co_u32_e64 v0, s[10:11], v54, v28
	v_addc_co_u32_e64 v1, s[10:11], v55, v9, s[10:11]
	global_load_dwordx2 v[0:1], v[0:1], off
	s_waitcnt vmcnt(0)
	ds_write_b64 v58, v[0:1] offset:4224
.LBB52_53:                              ;   in Loop: Header=BB52_7 Depth=2
	s_andn2_saveexec_b64 s[10:11], s[12:13]
	s_cbranch_execz .LBB52_6
; %bb.54:                               ;   in Loop: Header=BB52_7 Depth=2
	v_mov_b32_e32 v0, v12
	v_mov_b32_e32 v1, v12
	ds_write_b64 v58, v[0:1] offset:4224
	s_branch .LBB52_6
.LBB52_55:                              ;   in Loop: Header=BB52_4 Depth=1
	v_mul_lo_u32 v2, v33, s44
	v_mul_lo_u32 v3, v32, s45
	v_mad_u64_u32 v[0:1], s[10:11], v32, s44, 0
	v_add3_u32 v1, v1, v3, v2
	v_lshlrev_b64 v[0:1], 3, v[0:1]
	v_mov_b32_e32 v2, s50
	v_add_co_u32_e64 v0, s[10:11], s49, v0
	v_cmp_gt_i32_e64 s[8:9], s30, v32
	v_addc_co_u32_e64 v1, s[10:11], v2, v1, s[10:11]
	s_and_b64 s[10:11], s[2:3], s[8:9]
	s_and_saveexec_b64 s[12:13], s[10:11]
	s_cbranch_execz .LBB52_57
; %bb.56:                               ;   in Loop: Header=BB52_4 Depth=1
	v_add_co_u32_e64 v2, s[10:11], v0, v22
	v_addc_co_u32_e64 v3, s[10:11], v1, v23, s[10:11]
	global_load_dwordx2 v[4:5], v[2:3], off
	s_waitcnt vmcnt(0)
	v_fmac_f64_e32 v[4:5], s[34:35], v[38:39]
	global_store_dwordx2 v[2:3], v[4:5], off
.LBB52_57:                              ;   in Loop: Header=BB52_4 Depth=1
	s_or_b64 exec, exec, s[12:13]
	s_and_b64 s[8:9], s[4:5], s[8:9]
	s_and_saveexec_b64 s[10:11], s[8:9]
	s_cbranch_execz .LBB52_59
; %bb.58:                               ;   in Loop: Header=BB52_4 Depth=1
	v_lshlrev_b64 v[2:3], 3, v[16:17]
	v_add_co_u32_e64 v0, s[8:9], v0, v2
	v_addc_co_u32_e64 v1, s[8:9], v1, v3, s[8:9]
	global_load_dwordx2 v[2:3], v[0:1], off
	s_waitcnt vmcnt(0)
	v_fmac_f64_e32 v[2:3], s[34:35], v[36:37]
	global_store_dwordx2 v[0:1], v[2:3], off
.LBB52_59:                              ;   in Loop: Header=BB52_4 Depth=1
	s_or_b64 exec, exec, s[10:11]
	v_add_u32_e32 v0, 16, v32
	v_ashrrev_i32_e32 v1, 31, v0
	v_cmp_gt_i32_e64 s[8:9], s30, v0
	v_mul_lo_u32 v2, v1, s44
	v_mul_lo_u32 v3, v0, s45
	v_mad_u64_u32 v[0:1], s[10:11], v0, s44, 0
	v_add3_u32 v1, v1, v3, v2
	v_lshlrev_b64 v[0:1], 3, v[0:1]
	v_mov_b32_e32 v2, s50
	v_add_co_u32_e64 v0, s[10:11], s49, v0
	v_addc_co_u32_e64 v1, s[10:11], v2, v1, s[10:11]
	s_and_b64 s[10:11], s[2:3], s[8:9]
	s_and_saveexec_b64 s[12:13], s[10:11]
	s_cbranch_execz .LBB52_61
; %bb.60:                               ;   in Loop: Header=BB52_4 Depth=1
	v_add_co_u32_e64 v2, s[10:11], v0, v22
	v_addc_co_u32_e64 v3, s[10:11], v1, v23, s[10:11]
	global_load_dwordx2 v[4:5], v[2:3], off
	s_waitcnt vmcnt(0)
	v_fmac_f64_e32 v[4:5], s[34:35], v[34:35]
	global_store_dwordx2 v[2:3], v[4:5], off
.LBB52_61:                              ;   in Loop: Header=BB52_4 Depth=1
	s_or_b64 exec, exec, s[12:13]
	s_and_b64 s[8:9], s[4:5], s[8:9]
	s_and_saveexec_b64 s[10:11], s[8:9]
	s_cbranch_execz .LBB52_3
; %bb.62:                               ;   in Loop: Header=BB52_4 Depth=1
	v_lshlrev_b64 v[2:3], 3, v[16:17]
	v_add_co_u32_e64 v0, s[8:9], v0, v2
	v_addc_co_u32_e64 v1, s[8:9], v1, v3, s[8:9]
	global_load_dwordx2 v[2:3], v[0:1], off
	s_waitcnt vmcnt(0)
	v_fmac_f64_e32 v[2:3], s[34:35], v[30:31]
	global_store_dwordx2 v[0:1], v[2:3], off
	s_branch .LBB52_3
.LBB52_63:
	s_endpgm
	.section	.rodata,"a",@progbits
	.p2align	6, 0x0
	.amdhsa_kernel _ZL30rocblas_trmm_outofplace_kernelIdLi32ELi2ELb0ELb0ELb1ELb0EPKdS0_dEv17rocblas_diagonal_iiT6_lPT7_lllS5_lllPT8_llli
		.amdhsa_group_segment_fixed_size 16384
		.amdhsa_private_segment_fixed_size 0
		.amdhsa_kernarg_size 392
		.amdhsa_user_sgpr_count 6
		.amdhsa_user_sgpr_private_segment_buffer 1
		.amdhsa_user_sgpr_dispatch_ptr 0
		.amdhsa_user_sgpr_queue_ptr 0
		.amdhsa_user_sgpr_kernarg_segment_ptr 1
		.amdhsa_user_sgpr_dispatch_id 0
		.amdhsa_user_sgpr_flat_scratch_init 0
		.amdhsa_user_sgpr_kernarg_preload_length 0
		.amdhsa_user_sgpr_kernarg_preload_offset 0
		.amdhsa_user_sgpr_private_segment_size 0
		.amdhsa_uses_dynamic_stack 0
		.amdhsa_system_sgpr_private_segment_wavefront_offset 0
		.amdhsa_system_sgpr_workgroup_id_x 1
		.amdhsa_system_sgpr_workgroup_id_y 1
		.amdhsa_system_sgpr_workgroup_id_z 1
		.amdhsa_system_sgpr_workgroup_info 0
		.amdhsa_system_vgpr_workitem_id 1
		.amdhsa_next_free_vgpr 86
		.amdhsa_next_free_sgpr 51
		.amdhsa_accum_offset 88
		.amdhsa_reserve_vcc 1
		.amdhsa_reserve_flat_scratch 0
		.amdhsa_float_round_mode_32 0
		.amdhsa_float_round_mode_16_64 0
		.amdhsa_float_denorm_mode_32 3
		.amdhsa_float_denorm_mode_16_64 3
		.amdhsa_dx10_clamp 1
		.amdhsa_ieee_mode 1
		.amdhsa_fp16_overflow 0
		.amdhsa_tg_split 0
		.amdhsa_exception_fp_ieee_invalid_op 0
		.amdhsa_exception_fp_denorm_src 0
		.amdhsa_exception_fp_ieee_div_zero 0
		.amdhsa_exception_fp_ieee_overflow 0
		.amdhsa_exception_fp_ieee_underflow 0
		.amdhsa_exception_fp_ieee_inexact 0
		.amdhsa_exception_int_div_zero 0
	.end_amdhsa_kernel
	.section	.text._ZL30rocblas_trmm_outofplace_kernelIdLi32ELi2ELb0ELb0ELb1ELb0EPKdS0_dEv17rocblas_diagonal_iiT6_lPT7_lllS5_lllPT8_llli,"axG",@progbits,_ZL30rocblas_trmm_outofplace_kernelIdLi32ELi2ELb0ELb0ELb1ELb0EPKdS0_dEv17rocblas_diagonal_iiT6_lPT7_lllS5_lllPT8_llli,comdat
.Lfunc_end52:
	.size	_ZL30rocblas_trmm_outofplace_kernelIdLi32ELi2ELb0ELb0ELb1ELb0EPKdS0_dEv17rocblas_diagonal_iiT6_lPT7_lllS5_lllPT8_llli, .Lfunc_end52-_ZL30rocblas_trmm_outofplace_kernelIdLi32ELi2ELb0ELb0ELb1ELb0EPKdS0_dEv17rocblas_diagonal_iiT6_lPT7_lllS5_lllPT8_llli
                                        ; -- End function
	.section	.AMDGPU.csdata,"",@progbits
; Kernel info:
; codeLenInByte = 3532
; NumSgprs: 55
; NumVgprs: 86
; NumAgprs: 0
; TotalNumVgprs: 86
; ScratchSize: 0
; MemoryBound: 1
; FloatMode: 240
; IeeeMode: 1
; LDSByteSize: 16384 bytes/workgroup (compile time only)
; SGPRBlocks: 6
; VGPRBlocks: 10
; NumSGPRsForWavesPerEU: 55
; NumVGPRsForWavesPerEU: 86
; AccumOffset: 88
; Occupancy: 5
; WaveLimiterHint : 0
; COMPUTE_PGM_RSRC2:SCRATCH_EN: 0
; COMPUTE_PGM_RSRC2:USER_SGPR: 6
; COMPUTE_PGM_RSRC2:TRAP_HANDLER: 0
; COMPUTE_PGM_RSRC2:TGID_X_EN: 1
; COMPUTE_PGM_RSRC2:TGID_Y_EN: 1
; COMPUTE_PGM_RSRC2:TGID_Z_EN: 1
; COMPUTE_PGM_RSRC2:TIDIG_COMP_CNT: 1
; COMPUTE_PGM_RSRC3_GFX90A:ACCUM_OFFSET: 21
; COMPUTE_PGM_RSRC3_GFX90A:TG_SPLIT: 0
	.section	.text._ZL30rocblas_trmm_outofplace_kernelIdLi32ELi2ELb0ELb0ELb1ELb0EdKddEv17rocblas_diagonal_iiT6_lPT7_lllS4_lllPT8_llli,"axG",@progbits,_ZL30rocblas_trmm_outofplace_kernelIdLi32ELi2ELb0ELb0ELb1ELb0EdKddEv17rocblas_diagonal_iiT6_lPT7_lllS4_lllPT8_llli,comdat
	.globl	_ZL30rocblas_trmm_outofplace_kernelIdLi32ELi2ELb0ELb0ELb1ELb0EdKddEv17rocblas_diagonal_iiT6_lPT7_lllS4_lllPT8_llli ; -- Begin function _ZL30rocblas_trmm_outofplace_kernelIdLi32ELi2ELb0ELb0ELb1ELb0EdKddEv17rocblas_diagonal_iiT6_lPT7_lllS4_lllPT8_llli
	.p2align	8
	.type	_ZL30rocblas_trmm_outofplace_kernelIdLi32ELi2ELb0ELb0ELb1ELb0EdKddEv17rocblas_diagonal_iiT6_lPT7_lllS4_lllPT8_llli,@function
_ZL30rocblas_trmm_outofplace_kernelIdLi32ELi2ELb0ELb0ELb1ELb0EdKddEv17rocblas_diagonal_iiT6_lPT7_lllS4_lllPT8_llli: ; @_ZL30rocblas_trmm_outofplace_kernelIdLi32ELi2ELb0ELb0ELb1ELb0EdKddEv17rocblas_diagonal_iiT6_lPT7_lllS4_lllPT8_llli
; %bb.0:
	s_load_dwordx2 s[34:35], s[4:5], 0x10
	s_waitcnt lgkmcnt(0)
	v_cmp_eq_f64_e64 s[0:1], s[34:35], 0
	s_and_b64 vcc, exec, s[0:1]
	s_cbranch_vccnz .LBB53_63
; %bb.1:
	s_load_dwordx4 s[28:31], s[4:5], 0x0
	s_waitcnt lgkmcnt(0)
	s_add_i32 s0, s30, -1
	s_ashr_i32 s1, s0, 31
	s_lshr_b32 s1, s1, 27
	s_add_i32 s0, s0, s1
	s_ashr_i32 s33, s0, 5
	s_cmp_gt_i32 s7, s33
	s_cbranch_scc1 .LBB53_63
; %bb.2:
	s_load_dwordx16 s[12:27], s[4:5], 0x20
	s_load_dwordx8 s[36:43], s[4:5], 0x60
	v_and_b32_e32 v10, 0x3ff, v0
	v_bfe_u32 v8, v0, 10, 10
	v_lshl_add_u32 v0, s6, 5, v10
	s_waitcnt lgkmcnt(0)
	s_mul_i32 s1, s8, s19
	s_mul_hi_u32 s2, s8, s18
	s_mul_i32 s0, s8, s18
	s_add_i32 s1, s2, s1
	s_lshl_b64 s[18:19], s[0:1], 3
	s_add_u32 s0, s12, s18
	s_addc_u32 s1, s13, s19
	s_lshl_b64 s[14:15], s[14:15], 3
	s_add_u32 s2, s0, s14
	s_addc_u32 s3, s1, s15
	s_mul_i32 s0, s8, s43
	s_mul_hi_u32 s1, s8, s42
	s_add_i32 s1, s1, s0
	s_mul_i32 s0, s8, s42
	s_lshl_b64 s[0:1], s[0:1], 3
	s_add_u32 s9, s36, s0
	s_addc_u32 s10, s37, s1
	s_lshl_b64 s[0:1], s[38:39], 3
	s_add_u32 s46, s9, s0
	s_addc_u32 s47, s10, s1
	v_mad_u64_u32 v[2:3], s[0:1], v10, s16, 0
	v_mov_b32_e32 v4, v3
	v_mad_u64_u32 v[4:5], s[0:1], v10, s17, v[4:5]
	v_mov_b32_e32 v3, v4
	v_lshlrev_b64 v[2:3], 3, v[2:3]
	v_mov_b32_e32 v4, s3
	v_add_co_u32_e32 v14, vcc, s2, v2
	s_cmpk_eq_i32 s28, 0x84
	v_addc_co_u32_e32 v15, vcc, v4, v3, vcc
	s_cselect_b64 s[36:37], -1, 0
	s_ashr_i32 s0, s29, 31
	v_ashrrev_i32_e32 v1, 31, v0
	v_mov_b32_e32 v3, s0
	v_sub_co_u32_e32 v2, vcc, s29, v0
	v_subb_co_u32_e32 v3, vcc, v3, v1, vcc
	v_sub_co_u32_e64 v59, s[10:11], 0, v10
	s_load_dword s6, s[4:5], 0x8c
	v_cmp_gt_i64_e32 vcc, 1, v[2:3]
	v_cmp_gt_i64_e64 s[0:1], 17, v[2:3]
	v_subb_co_u32_e64 v60, s[10:11], 0, 0, s[10:11]
	v_mad_u64_u32 v[2:3], s[10:11], s24, v8, 0
	v_mov_b32_e32 v4, v3
	s_ashr_i32 s31, s30, 31
	s_lshl_b64 s[38:39], s[16:17], 8
	s_lshl_b64 s[42:43], s[24:25], 8
	v_mad_u64_u32 v[4:5], s[10:11], s25, v8, v[4:5]
	s_add_u32 s44, s30, -16
	s_mul_i32 s9, s27, s8
	s_mul_hi_u32 s10, s26, s8
	s_addc_u32 s45, s31, -1
	s_add_i32 s9, s10, s9
	s_mul_i32 s8, s26, s8
	s_waitcnt lgkmcnt(0)
	s_lshl_b32 s48, s6, 5
	s_lshl_b64 s[8:9], s[8:9], 3
	s_lshl_b64 s[10:11], s[22:23], 3
	s_add_u32 s8, s8, s10
	s_addc_u32 s9, s9, s11
	s_add_u32 s8, s20, s8
	v_lshlrev_b64 v[22:23], 3, v[0:1]
	s_addc_u32 s9, s21, s9
	v_cmp_gt_i32_e64 s[2:3], s29, v0
	v_add_u32_e32 v16, 16, v0
	v_mov_b32_e32 v0, s9
	v_add_co_u32_e64 v1, s[8:9], s8, v22
	v_addc_co_u32_e64 v0, s[8:9], v0, v23, s[8:9]
	s_movk_i32 s8, 0x80
	v_add_co_u32_e64 v24, s[8:9], s8, v1
	v_addc_co_u32_e64 v25, s[8:9], 0, v0, s[8:9]
	s_add_u32 s8, s12, s14
	s_addc_u32 s9, s13, s15
	s_add_u32 s8, s8, s18
	v_lshlrev_b32_e32 v6, 3, v10
	v_mov_b32_e32 v3, v4
	s_addc_u32 s9, s9, s19
	v_lshlrev_b64 v[20:21], 3, v[2:3]
	v_add_u32_e32 v2, 0x80, v6
	v_pk_mov_b32 v[0:1], s[8:9], s[8:9] op_sel:[0,1]
	v_mad_u64_u32 v[26:27], s[8:9], s16, v2, v[0:1]
	v_mov_b32_e32 v0, v27
	v_mad_u64_u32 v[0:1], s[8:9], s17, v2, v[0:1]
	v_mov_b32_e32 v27, v0
	v_mov_b32_e32 v0, 0x80
	v_lshl_add_u32 v1, v8, 3, v0
	v_mad_u64_u32 v[28:29], s[8:9], s24, v1, 0
	v_mov_b32_e32 v0, v29
	v_lshlrev_b32_e32 v11, 8, v8
	v_or_b32_e32 v57, 0x2000, v6
	v_mad_u64_u32 v[0:1], s[8:9], s25, v1, v[0:1]
	v_mov_b32_e32 v12, 0
	v_add_u32_e32 v56, v11, v6
	v_add_u32_e32 v58, v57, v11
	v_cmp_gt_i32_e64 s[4:5], s29, v16
	v_ashrrev_i32_e32 v17, 31, v16
	v_lshl_add_u32 v18, s7, 5, v8
	v_mov_b32_e32 v9, v0
	v_mov_b32_e32 v13, 0x3ff00000
	s_branch .LBB53_4
.LBB53_3:                               ;   in Loop: Header=BB53_4 Depth=1
	s_or_b64 exec, exec, s[10:11]
	s_add_i32 s7, s6, s7
	s_cmp_le_i32 s7, s33
	v_add_u32_e32 v18, s48, v18
	s_cbranch_scc0 .LBB53_63
.LBB53_4:                               ; =>This Loop Header: Depth=1
                                        ;     Child Loop BB53_7 Depth 2
	s_lshl_b32 s49, s7, 5
	v_add_u32_e32 v32, s49, v8
	v_pk_mov_b32 v[38:39], 0, 0
	v_ashrrev_i32_e32 v33, 31, v32
	s_cmp_lt_i32 s7, 0
	v_pk_mov_b32 v[36:37], v[38:39], v[38:39] op_sel:[0,1]
	v_pk_mov_b32 v[34:35], v[38:39], v[38:39] op_sel:[0,1]
	;; [unrolled: 1-line block ×3, first 2 shown]
	s_cbranch_scc1 .LBB53_55
; %bb.5:                                ;   in Loop: Header=BB53_4 Depth=1
	v_ashrrev_i32_e32 v19, 31, v18
	v_add_co_u32_e64 v40, s[8:9], v59, v18
	v_addc_co_u32_e64 v41, s[8:9], v60, v19, s[8:9]
	v_add_co_u32_e64 v46, s[10:11], 16, v40
	v_add_co_u32_e64 v44, s[8:9], 16, v32
	v_addc_co_u32_e64 v47, s[10:11], 0, v41, s[10:11]
	v_addc_co_u32_e64 v45, s[8:9], 0, v33, s[8:9]
	v_add_co_u32_e64 v48, s[10:11], -16, v40
	v_pk_mov_b32 v[30:31], 0, 0
	v_lshlrev_b64 v[42:43], 3, v[18:19]
	v_cmp_le_i32_e64 s[16:17], s30, v32
	v_cmp_le_i64_e64 s[8:9], s[30:31], v[44:45]
	v_addc_co_u32_e64 v49, s[10:11], -1, v41, s[10:11]
	s_mov_b64 s[20:21], 0
	v_pk_mov_b32 v[50:51], v[14:15], v[14:15] op_sel:[0,1]
	v_pk_mov_b32 v[52:53], v[26:27], v[26:27] op_sel:[0,1]
	;; [unrolled: 1-line block ×6, first 2 shown]
	s_branch .LBB53_7
.LBB53_6:                               ;   in Loop: Header=BB53_7 Depth=2
	s_or_b64 exec, exec, s[10:11]
	s_waitcnt lgkmcnt(0)
	s_barrier
	ds_read2_b64 v[62:65], v57 offset1:16
	ds_read_b128 v[66:69], v11
	ds_read_b128 v[70:73], v11 offset:16
	ds_read_b128 v[4:7], v11 offset:32
	;; [unrolled: 1-line block ×4, first 2 shown]
	ds_read2_b64 v[78:81], v57 offset0:32 offset1:48
	s_waitcnt lgkmcnt(5)
	v_fmac_f64_e32 v[38:39], v[62:63], v[66:67]
	v_fmac_f64_e32 v[36:37], v[64:65], v[66:67]
	ds_read_b128 v[82:85], v11 offset:4112
	s_waitcnt lgkmcnt(2)
	v_fmac_f64_e32 v[34:35], v[62:63], v[74:75]
	v_fmac_f64_e32 v[30:31], v[64:65], v[74:75]
	ds_read2_b64 v[62:65], v57 offset0:64 offset1:80
	s_waitcnt lgkmcnt(2)
	v_fmac_f64_e32 v[38:39], v[78:79], v[68:69]
	v_fmac_f64_e32 v[36:37], v[80:81], v[68:69]
	ds_read2_b64 v[66:69], v57 offset0:96 offset1:112
	v_fmac_f64_e32 v[34:35], v[78:79], v[76:77]
	v_fmac_f64_e32 v[30:31], v[80:81], v[76:77]
	ds_read_b128 v[74:77], v11 offset:4144
	s_waitcnt lgkmcnt(2)
	v_fmac_f64_e32 v[38:39], v[62:63], v[70:71]
	v_fmac_f64_e32 v[36:37], v[64:65], v[70:71]
	;; [unrolled: 1-line block ×4, first 2 shown]
	s_waitcnt lgkmcnt(1)
	v_fmac_f64_e32 v[38:39], v[66:67], v[72:73]
	ds_read2_b64 v[62:65], v57 offset0:128 offset1:144
	v_fmac_f64_e32 v[36:37], v[68:69], v[72:73]
	v_fmac_f64_e32 v[34:35], v[66:67], v[84:85]
	;; [unrolled: 1-line block ×3, first 2 shown]
	ds_read_b128 v[66:69], v11 offset:4128
	ds_read2_b64 v[70:73], v57 offset0:160 offset1:176
	s_waitcnt lgkmcnt(2)
	v_fmac_f64_e32 v[38:39], v[62:63], v[4:5]
	v_fmac_f64_e32 v[36:37], v[64:65], v[4:5]
	v_add_u32_e32 v19, 0x800, v57
	s_waitcnt lgkmcnt(1)
	v_fmac_f64_e32 v[34:35], v[62:63], v[66:67]
	v_fmac_f64_e32 v[30:31], v[64:65], v[66:67]
	ds_read2_b64 v[62:65], v57 offset0:192 offset1:208
	s_waitcnt lgkmcnt(1)
	v_fmac_f64_e32 v[38:39], v[70:71], v[6:7]
	v_fmac_f64_e32 v[36:37], v[72:73], v[6:7]
	ds_read2_b64 v[4:7], v57 offset0:224 offset1:240
	v_fmac_f64_e32 v[34:35], v[70:71], v[68:69]
	v_fmac_f64_e32 v[30:31], v[72:73], v[68:69]
	s_waitcnt lgkmcnt(1)
	v_fmac_f64_e32 v[38:39], v[62:63], v[0:1]
	v_fmac_f64_e32 v[36:37], v[64:65], v[0:1]
	v_fmac_f64_e32 v[34:35], v[62:63], v[74:75]
	v_fmac_f64_e32 v[30:31], v[64:65], v[74:75]
	s_waitcnt lgkmcnt(0)
	v_fmac_f64_e32 v[38:39], v[4:5], v[2:3]
	v_fmac_f64_e32 v[36:37], v[6:7], v[2:3]
	ds_read2_b64 v[0:3], v19 offset1:16
	ds_read_b128 v[62:65], v11 offset:64
	v_fmac_f64_e32 v[34:35], v[4:5], v[76:77]
	v_fmac_f64_e32 v[30:31], v[6:7], v[76:77]
	ds_read_b128 v[4:7], v11 offset:80
	ds_read_b128 v[66:69], v11 offset:4160
	ds_read2_b64 v[70:73], v19 offset0:32 offset1:48
	s_waitcnt lgkmcnt(3)
	v_fmac_f64_e32 v[38:39], v[0:1], v[62:63]
	v_fmac_f64_e32 v[36:37], v[2:3], v[62:63]
	ds_read_b128 v[74:77], v11 offset:4176
	s_waitcnt lgkmcnt(2)
	v_fmac_f64_e32 v[34:35], v[0:1], v[66:67]
	v_fmac_f64_e32 v[30:31], v[2:3], v[66:67]
	ds_read2_b64 v[0:3], v19 offset0:64 offset1:80
	s_waitcnt lgkmcnt(2)
	v_fmac_f64_e32 v[38:39], v[70:71], v[64:65]
	v_fmac_f64_e32 v[36:37], v[72:73], v[64:65]
	ds_read2_b64 v[62:65], v19 offset0:96 offset1:112
	v_fmac_f64_e32 v[34:35], v[70:71], v[68:69]
	v_fmac_f64_e32 v[30:31], v[72:73], v[68:69]
	s_waitcnt lgkmcnt(1)
	v_fmac_f64_e32 v[38:39], v[0:1], v[4:5]
	v_fmac_f64_e32 v[36:37], v[2:3], v[4:5]
	;; [unrolled: 1-line block ×4, first 2 shown]
	s_waitcnt lgkmcnt(0)
	v_fmac_f64_e32 v[38:39], v[62:63], v[6:7]
	v_fmac_f64_e32 v[36:37], v[64:65], v[6:7]
	ds_read2_b64 v[0:3], v19 offset0:128 offset1:144
	ds_read_b128 v[4:7], v11 offset:96
	v_fmac_f64_e32 v[34:35], v[62:63], v[76:77]
	v_fmac_f64_e32 v[30:31], v[64:65], v[76:77]
	ds_read_b128 v[62:65], v11 offset:112
	ds_read_b128 v[66:69], v11 offset:4192
	ds_read2_b64 v[70:73], v19 offset0:160 offset1:176
	s_waitcnt lgkmcnt(3)
	v_fmac_f64_e32 v[38:39], v[0:1], v[4:5]
	v_fmac_f64_e32 v[36:37], v[2:3], v[4:5]
	ds_read_b128 v[74:77], v11 offset:4208
	s_waitcnt lgkmcnt(2)
	v_fmac_f64_e32 v[34:35], v[0:1], v[66:67]
	v_fmac_f64_e32 v[30:31], v[2:3], v[66:67]
	ds_read2_b64 v[0:3], v19 offset0:192 offset1:208
	s_waitcnt lgkmcnt(2)
	v_fmac_f64_e32 v[38:39], v[70:71], v[6:7]
	v_fmac_f64_e32 v[36:37], v[72:73], v[6:7]
	ds_read2_b64 v[4:7], v19 offset0:224 offset1:240
	v_fmac_f64_e32 v[34:35], v[70:71], v[68:69]
	v_fmac_f64_e32 v[30:31], v[72:73], v[68:69]
	s_waitcnt lgkmcnt(1)
	v_fmac_f64_e32 v[38:39], v[0:1], v[62:63]
	v_fmac_f64_e32 v[36:37], v[2:3], v[62:63]
	;; [unrolled: 1-line block ×4, first 2 shown]
	v_add_u32_e32 v19, 0x1000, v57
	s_waitcnt lgkmcnt(0)
	v_fmac_f64_e32 v[38:39], v[4:5], v[64:65]
	v_fmac_f64_e32 v[36:37], v[6:7], v[64:65]
	ds_read2_b64 v[0:3], v19 offset1:16
	ds_read_b128 v[62:65], v11 offset:128
	v_fmac_f64_e32 v[34:35], v[4:5], v[76:77]
	v_fmac_f64_e32 v[30:31], v[6:7], v[76:77]
	ds_read_b128 v[4:7], v11 offset:144
	ds_read_b128 v[66:69], v11 offset:4224
	ds_read2_b64 v[70:73], v19 offset0:32 offset1:48
	s_waitcnt lgkmcnt(3)
	v_fmac_f64_e32 v[38:39], v[0:1], v[62:63]
	v_fmac_f64_e32 v[36:37], v[2:3], v[62:63]
	ds_read_b128 v[74:77], v11 offset:4240
	s_waitcnt lgkmcnt(2)
	v_fmac_f64_e32 v[34:35], v[0:1], v[66:67]
	v_fmac_f64_e32 v[30:31], v[2:3], v[66:67]
	ds_read2_b64 v[0:3], v19 offset0:64 offset1:80
	s_waitcnt lgkmcnt(2)
	v_fmac_f64_e32 v[38:39], v[70:71], v[64:65]
	v_fmac_f64_e32 v[36:37], v[72:73], v[64:65]
	ds_read2_b64 v[62:65], v19 offset0:96 offset1:112
	v_fmac_f64_e32 v[34:35], v[70:71], v[68:69]
	v_fmac_f64_e32 v[30:31], v[72:73], v[68:69]
	s_waitcnt lgkmcnt(1)
	v_fmac_f64_e32 v[38:39], v[0:1], v[4:5]
	v_fmac_f64_e32 v[36:37], v[2:3], v[4:5]
	;; [unrolled: 1-line block ×4, first 2 shown]
	s_waitcnt lgkmcnt(0)
	v_fmac_f64_e32 v[38:39], v[62:63], v[6:7]
	v_fmac_f64_e32 v[36:37], v[64:65], v[6:7]
	ds_read2_b64 v[0:3], v19 offset0:128 offset1:144
	ds_read_b128 v[4:7], v11 offset:160
	v_fmac_f64_e32 v[34:35], v[62:63], v[76:77]
	v_fmac_f64_e32 v[30:31], v[64:65], v[76:77]
	ds_read_b128 v[62:65], v11 offset:176
	ds_read_b128 v[66:69], v11 offset:4256
	ds_read2_b64 v[70:73], v19 offset0:160 offset1:176
	s_waitcnt lgkmcnt(3)
	v_fmac_f64_e32 v[38:39], v[0:1], v[4:5]
	v_fmac_f64_e32 v[36:37], v[2:3], v[4:5]
	ds_read_b128 v[74:77], v11 offset:4272
	s_waitcnt lgkmcnt(2)
	v_fmac_f64_e32 v[34:35], v[0:1], v[66:67]
	v_fmac_f64_e32 v[30:31], v[2:3], v[66:67]
	ds_read2_b64 v[0:3], v19 offset0:192 offset1:208
	s_waitcnt lgkmcnt(2)
	v_fmac_f64_e32 v[38:39], v[70:71], v[6:7]
	v_fmac_f64_e32 v[36:37], v[72:73], v[6:7]
	ds_read2_b64 v[4:7], v19 offset0:224 offset1:240
	v_fmac_f64_e32 v[34:35], v[70:71], v[68:69]
	v_fmac_f64_e32 v[30:31], v[72:73], v[68:69]
	s_waitcnt lgkmcnt(1)
	v_fmac_f64_e32 v[38:39], v[0:1], v[62:63]
	v_fmac_f64_e32 v[36:37], v[2:3], v[62:63]
	;; [unrolled: 1-line block ×4, first 2 shown]
	v_add_u32_e32 v19, 0x1800, v57
	s_waitcnt lgkmcnt(0)
	v_fmac_f64_e32 v[38:39], v[4:5], v[64:65]
	v_fmac_f64_e32 v[36:37], v[6:7], v[64:65]
	ds_read2_b64 v[0:3], v19 offset1:16
	ds_read_b128 v[62:65], v11 offset:192
	v_fmac_f64_e32 v[34:35], v[4:5], v[76:77]
	v_fmac_f64_e32 v[30:31], v[6:7], v[76:77]
	ds_read_b128 v[4:7], v11 offset:208
	ds_read_b128 v[66:69], v11 offset:4288
	ds_read2_b64 v[70:73], v19 offset0:32 offset1:48
	s_waitcnt lgkmcnt(3)
	v_fmac_f64_e32 v[38:39], v[0:1], v[62:63]
	v_fmac_f64_e32 v[36:37], v[2:3], v[62:63]
	ds_read_b128 v[74:77], v11 offset:4304
	s_waitcnt lgkmcnt(2)
	v_fmac_f64_e32 v[34:35], v[0:1], v[66:67]
	v_fmac_f64_e32 v[30:31], v[2:3], v[66:67]
	ds_read2_b64 v[0:3], v19 offset0:64 offset1:80
	s_waitcnt lgkmcnt(2)
	v_fmac_f64_e32 v[38:39], v[70:71], v[64:65]
	v_fmac_f64_e32 v[36:37], v[72:73], v[64:65]
	ds_read2_b64 v[62:65], v19 offset0:96 offset1:112
	v_fmac_f64_e32 v[34:35], v[70:71], v[68:69]
	v_fmac_f64_e32 v[30:31], v[72:73], v[68:69]
	s_waitcnt lgkmcnt(1)
	v_fmac_f64_e32 v[38:39], v[0:1], v[4:5]
	v_fmac_f64_e32 v[36:37], v[2:3], v[4:5]
	;; [unrolled: 1-line block ×4, first 2 shown]
	s_waitcnt lgkmcnt(0)
	v_fmac_f64_e32 v[38:39], v[62:63], v[6:7]
	v_fmac_f64_e32 v[36:37], v[64:65], v[6:7]
	ds_read2_b64 v[0:3], v19 offset0:128 offset1:144
	ds_read_b128 v[4:7], v11 offset:224
	v_fmac_f64_e32 v[34:35], v[62:63], v[76:77]
	v_fmac_f64_e32 v[30:31], v[64:65], v[76:77]
	ds_read_b128 v[62:65], v11 offset:240
	ds_read_b128 v[66:69], v11 offset:4320
	ds_read2_b64 v[70:73], v19 offset0:160 offset1:176
	s_waitcnt lgkmcnt(3)
	v_fmac_f64_e32 v[38:39], v[0:1], v[4:5]
	v_fmac_f64_e32 v[36:37], v[2:3], v[4:5]
	ds_read_b128 v[74:77], v11 offset:4336
	s_waitcnt lgkmcnt(2)
	v_fmac_f64_e32 v[34:35], v[0:1], v[66:67]
	v_fmac_f64_e32 v[30:31], v[2:3], v[66:67]
	ds_read2_b64 v[0:3], v19 offset0:192 offset1:208
	s_waitcnt lgkmcnt(2)
	v_fmac_f64_e32 v[38:39], v[70:71], v[6:7]
	v_fmac_f64_e32 v[34:35], v[70:71], v[68:69]
	;; [unrolled: 1-line block ×3, first 2 shown]
	ds_read2_b64 v[4:7], v19 offset0:224 offset1:240
	s_waitcnt lgkmcnt(1)
	v_fmac_f64_e32 v[38:39], v[0:1], v[62:63]
	v_fmac_f64_e32 v[34:35], v[0:1], v[74:75]
	v_mov_b32_e32 v0, s43
	v_add_co_u32_e64 v54, s[10:11], s42, v54
	v_addc_co_u32_e64 v55, s[10:11], v55, v0, s[10:11]
	v_mov_b32_e32 v0, s39
	v_add_co_u32_e64 v52, s[10:11], s38, v52
	v_fmac_f64_e32 v[30:31], v[72:73], v[68:69]
	s_add_u32 s20, s20, 32
	v_addc_co_u32_e64 v53, s[10:11], v53, v0, s[10:11]
	v_fmac_f64_e32 v[36:37], v[2:3], v[62:63]
	v_fmac_f64_e32 v[30:31], v[2:3], v[74:75]
	s_addc_u32 s21, s21, 0
	s_sub_i32 s12, s20, 32
	v_add_co_u32_e64 v50, s[10:11], s38, v50
	s_waitcnt lgkmcnt(0)
	v_fmac_f64_e32 v[38:39], v[4:5], v[64:65]
	v_fmac_f64_e32 v[36:37], v[6:7], v[64:65]
	;; [unrolled: 1-line block ×4, first 2 shown]
	s_cmp_ge_i32 s12, s49
	v_addc_co_u32_e64 v51, s[10:11], v51, v0, s[10:11]
	s_barrier
	s_cbranch_scc1 .LBB53_55
.LBB53_7:                               ;   Parent Loop BB53_4 Depth=1
                                        ; =>  This Inner Loop Header: Depth=2
	v_mov_b32_e32 v0, s21
	v_add_co_u32_e64 v2, s[10:11], s20, v10
	v_addc_co_u32_e64 v3, s[10:11], 0, v0, s[10:11]
	v_add_co_u32_e64 v0, s[10:11], v50, v42
	v_addc_co_u32_e64 v1, s[10:11], v51, v43, s[10:11]
	v_cmp_eq_u64_e64 s[10:11], s[20:21], v[40:41]
	s_and_b64 s[24:25], s[36:37], s[10:11]
	v_cmp_gt_i64_e64 s[10:11], v[2:3], v[32:33]
	s_or_b64 s[14:15], s[16:17], s[10:11]
	v_cmp_le_i64_e64 s[12:13], s[30:31], v[2:3]
	s_or_b64 s[14:15], s[14:15], s[24:25]
	s_or_b64 s[14:15], s[12:13], s[14:15]
	s_xor_b64 s[14:15], s[14:15], -1
	s_and_saveexec_b64 s[18:19], s[14:15]
	s_xor_b64 s[14:15], exec, s[18:19]
	s_cbranch_execz .LBB53_9
; %bb.8:                                ;   in Loop: Header=BB53_7 Depth=2
	global_load_dwordx2 v[4:5], v[0:1], off
	s_waitcnt vmcnt(0)
	ds_write_b64 v56, v[4:5]
.LBB53_9:                               ;   in Loop: Header=BB53_7 Depth=2
	s_or_saveexec_b64 s[14:15], s[14:15]
	s_xor_b64 s[22:23], s[24:25], -1
	s_xor_b64 exec, exec, s[14:15]
	s_cbranch_execz .LBB53_15
; %bb.10:                               ;   in Loop: Header=BB53_7 Depth=2
	s_and_saveexec_b64 s[18:19], s[22:23]
	s_xor_b64 s[18:19], exec, s[18:19]
	s_cbranch_execz .LBB53_12
; %bb.11:                               ;   in Loop: Header=BB53_7 Depth=2
	v_mov_b32_e32 v4, v12
	v_mov_b32_e32 v5, v12
	ds_write_b64 v56, v[4:5]
.LBB53_12:                              ;   in Loop: Header=BB53_7 Depth=2
	s_andn2_saveexec_b64 s[18:19], s[18:19]
	s_cbranch_execz .LBB53_14
; %bb.13:                               ;   in Loop: Header=BB53_7 Depth=2
	ds_write_b64 v56, v[12:13]
.LBB53_14:                              ;   in Loop: Header=BB53_7 Depth=2
	s_or_b64 exec, exec, s[18:19]
.LBB53_15:                              ;   in Loop: Header=BB53_7 Depth=2
	s_or_b64 exec, exec, s[14:15]
	v_add_co_u32_e64 v4, s[14:15], 16, v2
	v_addc_co_u32_e64 v5, s[14:15], 0, v3, s[14:15]
	v_cmp_eq_u64_e64 s[14:15], s[20:21], v[48:49]
	v_cmp_gt_i64_e64 s[18:19], v[4:5], v[32:33]
	s_and_b64 s[26:27], s[36:37], s[14:15]
	s_or_b64 s[18:19], s[16:17], s[18:19]
	v_cmp_le_i64_e64 s[14:15], s[30:31], v[4:5]
	s_or_b64 s[18:19], s[18:19], s[26:27]
	s_or_b64 s[18:19], s[14:15], s[18:19]
	s_xor_b64 s[18:19], s[18:19], -1
	s_and_saveexec_b64 s[28:29], s[18:19]
	s_xor_b64 s[28:29], exec, s[28:29]
	s_cbranch_execz .LBB53_17
; %bb.16:                               ;   in Loop: Header=BB53_7 Depth=2
	v_add_co_u32_e64 v4, s[18:19], v52, v42
	v_addc_co_u32_e64 v5, s[18:19], v53, v43, s[18:19]
	global_load_dwordx2 v[4:5], v[4:5], off
	s_waitcnt vmcnt(0)
	ds_write_b64 v56, v[4:5] offset:128
.LBB53_17:                              ;   in Loop: Header=BB53_7 Depth=2
	s_andn2_saveexec_b64 s[18:19], s[28:29]
	s_cbranch_execz .LBB53_23
; %bb.18:                               ;   in Loop: Header=BB53_7 Depth=2
	s_xor_b64 s[26:27], s[26:27], -1
	s_and_saveexec_b64 s[28:29], s[26:27]
	s_xor_b64 s[26:27], exec, s[28:29]
	s_cbranch_execz .LBB53_20
; %bb.19:                               ;   in Loop: Header=BB53_7 Depth=2
	v_mov_b32_e32 v4, v12
	v_mov_b32_e32 v5, v12
	ds_write_b64 v56, v[4:5] offset:128
.LBB53_20:                              ;   in Loop: Header=BB53_7 Depth=2
	s_andn2_saveexec_b64 s[26:27], s[26:27]
	s_cbranch_execz .LBB53_22
; %bb.21:                               ;   in Loop: Header=BB53_7 Depth=2
	ds_write_b64 v56, v[12:13] offset:128
.LBB53_22:                              ;   in Loop: Header=BB53_7 Depth=2
	s_or_b64 exec, exec, s[26:27]
.LBB53_23:                              ;   in Loop: Header=BB53_7 Depth=2
	s_or_b64 exec, exec, s[18:19]
	v_cmp_eq_u64_e64 s[18:19], s[20:21], v[46:47]
	s_and_b64 s[26:27], s[36:37], s[18:19]
	v_cmp_gt_i64_e64 s[18:19], v[2:3], v[44:45]
	s_or_b64 s[18:19], s[8:9], s[18:19]
	s_or_b64 s[18:19], s[18:19], s[26:27]
	;; [unrolled: 1-line block ×3, first 2 shown]
	s_xor_b64 s[12:13], s[12:13], -1
	s_and_saveexec_b64 s[18:19], s[12:13]
	s_xor_b64 s[12:13], exec, s[18:19]
	s_cbranch_execz .LBB53_25
; %bb.24:                               ;   in Loop: Header=BB53_7 Depth=2
	global_load_dwordx2 v[0:1], v[0:1], off offset:128
	s_waitcnt vmcnt(0)
	ds_write_b64 v56, v[0:1] offset:4096
.LBB53_25:                              ;   in Loop: Header=BB53_7 Depth=2
	s_andn2_saveexec_b64 s[12:13], s[12:13]
	s_cbranch_execz .LBB53_31
; %bb.26:                               ;   in Loop: Header=BB53_7 Depth=2
	s_xor_b64 s[18:19], s[26:27], -1
	s_and_saveexec_b64 s[26:27], s[18:19]
	s_xor_b64 s[18:19], exec, s[26:27]
	s_cbranch_execz .LBB53_28
; %bb.27:                               ;   in Loop: Header=BB53_7 Depth=2
	v_mov_b32_e32 v0, v12
	v_mov_b32_e32 v1, v12
	ds_write_b64 v56, v[0:1] offset:4096
.LBB53_28:                              ;   in Loop: Header=BB53_7 Depth=2
	s_andn2_saveexec_b64 s[18:19], s[18:19]
	s_cbranch_execz .LBB53_30
; %bb.29:                               ;   in Loop: Header=BB53_7 Depth=2
	ds_write_b64 v56, v[12:13] offset:4096
.LBB53_30:                              ;   in Loop: Header=BB53_7 Depth=2
	s_or_b64 exec, exec, s[18:19]
.LBB53_31:                              ;   in Loop: Header=BB53_7 Depth=2
	s_or_b64 exec, exec, s[12:13]
	s_or_b64 s[10:11], s[8:9], s[10:11]
	s_or_b64 s[10:11], s[10:11], s[24:25]
	;; [unrolled: 1-line block ×3, first 2 shown]
	s_xor_b64 s[10:11], s[10:11], -1
	s_and_saveexec_b64 s[12:13], s[10:11]
	s_xor_b64 s[12:13], exec, s[12:13]
	s_cbranch_execz .LBB53_33
; %bb.32:                               ;   in Loop: Header=BB53_7 Depth=2
	v_add_co_u32_e64 v0, s[10:11], v52, v42
	v_addc_co_u32_e64 v1, s[10:11], v53, v43, s[10:11]
	global_load_dwordx2 v[0:1], v[0:1], off offset:128
	s_waitcnt vmcnt(0)
	ds_write_b64 v56, v[0:1] offset:4224
.LBB53_33:                              ;   in Loop: Header=BB53_7 Depth=2
	s_andn2_saveexec_b64 s[10:11], s[12:13]
	s_cbranch_execz .LBB53_39
; %bb.34:                               ;   in Loop: Header=BB53_7 Depth=2
	s_and_saveexec_b64 s[12:13], s[22:23]
	s_xor_b64 s[12:13], exec, s[12:13]
	s_cbranch_execz .LBB53_36
; %bb.35:                               ;   in Loop: Header=BB53_7 Depth=2
	v_mov_b32_e32 v0, v12
	v_mov_b32_e32 v1, v12
	ds_write_b64 v56, v[0:1] offset:4224
.LBB53_36:                              ;   in Loop: Header=BB53_7 Depth=2
	s_andn2_saveexec_b64 s[12:13], s[12:13]
	s_cbranch_execz .LBB53_38
; %bb.37:                               ;   in Loop: Header=BB53_7 Depth=2
	ds_write_b64 v56, v[12:13] offset:4224
.LBB53_38:                              ;   in Loop: Header=BB53_7 Depth=2
	s_or_b64 exec, exec, s[12:13]
.LBB53_39:                              ;   in Loop: Header=BB53_7 Depth=2
	s_or_b64 exec, exec, s[10:11]
	v_mov_b32_e32 v1, s21
	v_add_co_u32_e64 v0, s[10:11], s20, v8
	v_addc_co_u32_e64 v1, s[10:11], 0, v1, s[10:11]
	v_add_co_u32_e64 v2, s[10:11], v54, v20
	v_addc_co_u32_e64 v3, s[10:11], v55, v21, s[10:11]
	v_cmp_le_i64_e64 s[10:11], s[30:31], v[0:1]
	s_or_b64 s[12:13], s[10:11], vcc
	s_xor_b64 s[12:13], s[12:13], -1
	s_and_saveexec_b64 s[14:15], s[12:13]
	s_xor_b64 s[12:13], exec, s[14:15]
	s_cbranch_execz .LBB53_41
; %bb.40:                               ;   in Loop: Header=BB53_7 Depth=2
	global_load_dwordx2 v[4:5], v[2:3], off offset:-128
	s_waitcnt vmcnt(0)
	ds_write_b64 v58, v[4:5]
.LBB53_41:                              ;   in Loop: Header=BB53_7 Depth=2
	s_andn2_saveexec_b64 s[12:13], s[12:13]
	s_cbranch_execz .LBB53_43
; %bb.42:                               ;   in Loop: Header=BB53_7 Depth=2
	v_mov_b32_e32 v4, v12
	v_mov_b32_e32 v5, v12
	ds_write_b64 v58, v[4:5]
.LBB53_43:                              ;   in Loop: Header=BB53_7 Depth=2
	s_or_b64 exec, exec, s[12:13]
	s_or_b64 s[10:11], s[10:11], s[0:1]
	s_xor_b64 s[10:11], s[10:11], -1
	s_and_saveexec_b64 s[12:13], s[10:11]
	s_xor_b64 s[10:11], exec, s[12:13]
	s_cbranch_execz .LBB53_45
; %bb.44:                               ;   in Loop: Header=BB53_7 Depth=2
	global_load_dwordx2 v[2:3], v[2:3], off
	s_waitcnt vmcnt(0)
	ds_write_b64 v58, v[2:3] offset:128
.LBB53_45:                              ;   in Loop: Header=BB53_7 Depth=2
	s_andn2_saveexec_b64 s[10:11], s[10:11]
	s_cbranch_execz .LBB53_47
; %bb.46:                               ;   in Loop: Header=BB53_7 Depth=2
	v_mov_b32_e32 v2, v12
	v_mov_b32_e32 v3, v12
	ds_write_b64 v58, v[2:3] offset:128
.LBB53_47:                              ;   in Loop: Header=BB53_7 Depth=2
	s_or_b64 exec, exec, s[10:11]
	v_cmp_le_i64_e64 s[10:11], s[44:45], v[0:1]
	s_or_b64 s[12:13], s[10:11], vcc
	s_xor_b64 s[12:13], s[12:13], -1
	s_and_saveexec_b64 s[14:15], s[12:13]
	s_xor_b64 s[14:15], exec, s[14:15]
	s_cbranch_execz .LBB53_49
; %bb.48:                               ;   in Loop: Header=BB53_7 Depth=2
	v_add_co_u32_e64 v0, s[12:13], v54, v28
	v_addc_co_u32_e64 v1, s[12:13], v55, v9, s[12:13]
	global_load_dwordx2 v[0:1], v[0:1], off offset:-128
	s_waitcnt vmcnt(0)
	ds_write_b64 v58, v[0:1] offset:4096
.LBB53_49:                              ;   in Loop: Header=BB53_7 Depth=2
	s_andn2_saveexec_b64 s[12:13], s[14:15]
	s_cbranch_execz .LBB53_51
; %bb.50:                               ;   in Loop: Header=BB53_7 Depth=2
	v_mov_b32_e32 v0, v12
	v_mov_b32_e32 v1, v12
	ds_write_b64 v58, v[0:1] offset:4096
.LBB53_51:                              ;   in Loop: Header=BB53_7 Depth=2
	s_or_b64 exec, exec, s[12:13]
	s_or_b64 s[10:11], s[10:11], s[0:1]
	s_xor_b64 s[10:11], s[10:11], -1
	s_and_saveexec_b64 s[12:13], s[10:11]
	s_xor_b64 s[12:13], exec, s[12:13]
	s_cbranch_execz .LBB53_53
; %bb.52:                               ;   in Loop: Header=BB53_7 Depth=2
	v_add_co_u32_e64 v0, s[10:11], v54, v28
	v_addc_co_u32_e64 v1, s[10:11], v55, v9, s[10:11]
	global_load_dwordx2 v[0:1], v[0:1], off
	s_waitcnt vmcnt(0)
	ds_write_b64 v58, v[0:1] offset:4224
.LBB53_53:                              ;   in Loop: Header=BB53_7 Depth=2
	s_andn2_saveexec_b64 s[10:11], s[12:13]
	s_cbranch_execz .LBB53_6
; %bb.54:                               ;   in Loop: Header=BB53_7 Depth=2
	v_mov_b32_e32 v0, v12
	v_mov_b32_e32 v1, v12
	ds_write_b64 v58, v[0:1] offset:4224
	s_branch .LBB53_6
.LBB53_55:                              ;   in Loop: Header=BB53_4 Depth=1
	v_mul_lo_u32 v2, v33, s40
	v_mul_lo_u32 v3, v32, s41
	v_mad_u64_u32 v[0:1], s[10:11], v32, s40, 0
	v_add3_u32 v1, v1, v3, v2
	v_lshlrev_b64 v[0:1], 3, v[0:1]
	v_mov_b32_e32 v2, s47
	v_add_co_u32_e64 v0, s[10:11], s46, v0
	v_cmp_gt_i32_e64 s[8:9], s30, v32
	v_addc_co_u32_e64 v1, s[10:11], v2, v1, s[10:11]
	s_and_b64 s[10:11], s[2:3], s[8:9]
	s_and_saveexec_b64 s[12:13], s[10:11]
	s_cbranch_execz .LBB53_57
; %bb.56:                               ;   in Loop: Header=BB53_4 Depth=1
	v_add_co_u32_e64 v2, s[10:11], v0, v22
	v_addc_co_u32_e64 v3, s[10:11], v1, v23, s[10:11]
	global_load_dwordx2 v[4:5], v[2:3], off
	s_waitcnt vmcnt(0)
	v_fmac_f64_e32 v[4:5], s[34:35], v[38:39]
	global_store_dwordx2 v[2:3], v[4:5], off
.LBB53_57:                              ;   in Loop: Header=BB53_4 Depth=1
	s_or_b64 exec, exec, s[12:13]
	s_and_b64 s[8:9], s[4:5], s[8:9]
	s_and_saveexec_b64 s[10:11], s[8:9]
	s_cbranch_execz .LBB53_59
; %bb.58:                               ;   in Loop: Header=BB53_4 Depth=1
	v_lshlrev_b64 v[2:3], 3, v[16:17]
	v_add_co_u32_e64 v0, s[8:9], v0, v2
	v_addc_co_u32_e64 v1, s[8:9], v1, v3, s[8:9]
	global_load_dwordx2 v[2:3], v[0:1], off
	s_waitcnt vmcnt(0)
	v_fmac_f64_e32 v[2:3], s[34:35], v[36:37]
	global_store_dwordx2 v[0:1], v[2:3], off
.LBB53_59:                              ;   in Loop: Header=BB53_4 Depth=1
	s_or_b64 exec, exec, s[10:11]
	v_add_u32_e32 v0, 16, v32
	v_ashrrev_i32_e32 v1, 31, v0
	v_cmp_gt_i32_e64 s[8:9], s30, v0
	v_mul_lo_u32 v2, v1, s40
	v_mul_lo_u32 v3, v0, s41
	v_mad_u64_u32 v[0:1], s[10:11], v0, s40, 0
	v_add3_u32 v1, v1, v3, v2
	v_lshlrev_b64 v[0:1], 3, v[0:1]
	v_mov_b32_e32 v2, s47
	v_add_co_u32_e64 v0, s[10:11], s46, v0
	v_addc_co_u32_e64 v1, s[10:11], v2, v1, s[10:11]
	s_and_b64 s[10:11], s[2:3], s[8:9]
	s_and_saveexec_b64 s[12:13], s[10:11]
	s_cbranch_execz .LBB53_61
; %bb.60:                               ;   in Loop: Header=BB53_4 Depth=1
	v_add_co_u32_e64 v2, s[10:11], v0, v22
	v_addc_co_u32_e64 v3, s[10:11], v1, v23, s[10:11]
	global_load_dwordx2 v[4:5], v[2:3], off
	s_waitcnt vmcnt(0)
	v_fmac_f64_e32 v[4:5], s[34:35], v[34:35]
	global_store_dwordx2 v[2:3], v[4:5], off
.LBB53_61:                              ;   in Loop: Header=BB53_4 Depth=1
	s_or_b64 exec, exec, s[12:13]
	s_and_b64 s[8:9], s[4:5], s[8:9]
	s_and_saveexec_b64 s[10:11], s[8:9]
	s_cbranch_execz .LBB53_3
; %bb.62:                               ;   in Loop: Header=BB53_4 Depth=1
	v_lshlrev_b64 v[2:3], 3, v[16:17]
	v_add_co_u32_e64 v0, s[8:9], v0, v2
	v_addc_co_u32_e64 v1, s[8:9], v1, v3, s[8:9]
	global_load_dwordx2 v[2:3], v[0:1], off
	s_waitcnt vmcnt(0)
	v_fmac_f64_e32 v[2:3], s[34:35], v[30:31]
	global_store_dwordx2 v[0:1], v[2:3], off
	s_branch .LBB53_3
.LBB53_63:
	s_endpgm
	.section	.rodata,"a",@progbits
	.p2align	6, 0x0
	.amdhsa_kernel _ZL30rocblas_trmm_outofplace_kernelIdLi32ELi2ELb0ELb0ELb1ELb0EdKddEv17rocblas_diagonal_iiT6_lPT7_lllS4_lllPT8_llli
		.amdhsa_group_segment_fixed_size 16384
		.amdhsa_private_segment_fixed_size 0
		.amdhsa_kernarg_size 392
		.amdhsa_user_sgpr_count 6
		.amdhsa_user_sgpr_private_segment_buffer 1
		.amdhsa_user_sgpr_dispatch_ptr 0
		.amdhsa_user_sgpr_queue_ptr 0
		.amdhsa_user_sgpr_kernarg_segment_ptr 1
		.amdhsa_user_sgpr_dispatch_id 0
		.amdhsa_user_sgpr_flat_scratch_init 0
		.amdhsa_user_sgpr_kernarg_preload_length 0
		.amdhsa_user_sgpr_kernarg_preload_offset 0
		.amdhsa_user_sgpr_private_segment_size 0
		.amdhsa_uses_dynamic_stack 0
		.amdhsa_system_sgpr_private_segment_wavefront_offset 0
		.amdhsa_system_sgpr_workgroup_id_x 1
		.amdhsa_system_sgpr_workgroup_id_y 1
		.amdhsa_system_sgpr_workgroup_id_z 1
		.amdhsa_system_sgpr_workgroup_info 0
		.amdhsa_system_vgpr_workitem_id 1
		.amdhsa_next_free_vgpr 86
		.amdhsa_next_free_sgpr 50
		.amdhsa_accum_offset 88
		.amdhsa_reserve_vcc 1
		.amdhsa_reserve_flat_scratch 0
		.amdhsa_float_round_mode_32 0
		.amdhsa_float_round_mode_16_64 0
		.amdhsa_float_denorm_mode_32 3
		.amdhsa_float_denorm_mode_16_64 3
		.amdhsa_dx10_clamp 1
		.amdhsa_ieee_mode 1
		.amdhsa_fp16_overflow 0
		.amdhsa_tg_split 0
		.amdhsa_exception_fp_ieee_invalid_op 0
		.amdhsa_exception_fp_denorm_src 0
		.amdhsa_exception_fp_ieee_div_zero 0
		.amdhsa_exception_fp_ieee_overflow 0
		.amdhsa_exception_fp_ieee_underflow 0
		.amdhsa_exception_fp_ieee_inexact 0
		.amdhsa_exception_int_div_zero 0
	.end_amdhsa_kernel
	.section	.text._ZL30rocblas_trmm_outofplace_kernelIdLi32ELi2ELb0ELb0ELb1ELb0EdKddEv17rocblas_diagonal_iiT6_lPT7_lllS4_lllPT8_llli,"axG",@progbits,_ZL30rocblas_trmm_outofplace_kernelIdLi32ELi2ELb0ELb0ELb1ELb0EdKddEv17rocblas_diagonal_iiT6_lPT7_lllS4_lllPT8_llli,comdat
.Lfunc_end53:
	.size	_ZL30rocblas_trmm_outofplace_kernelIdLi32ELi2ELb0ELb0ELb1ELb0EdKddEv17rocblas_diagonal_iiT6_lPT7_lllS4_lllPT8_llli, .Lfunc_end53-_ZL30rocblas_trmm_outofplace_kernelIdLi32ELi2ELb0ELb0ELb1ELb0EdKddEv17rocblas_diagonal_iiT6_lPT7_lllS4_lllPT8_llli
                                        ; -- End function
	.section	.AMDGPU.csdata,"",@progbits
; Kernel info:
; codeLenInByte = 3496
; NumSgprs: 54
; NumVgprs: 86
; NumAgprs: 0
; TotalNumVgprs: 86
; ScratchSize: 0
; MemoryBound: 1
; FloatMode: 240
; IeeeMode: 1
; LDSByteSize: 16384 bytes/workgroup (compile time only)
; SGPRBlocks: 6
; VGPRBlocks: 10
; NumSGPRsForWavesPerEU: 54
; NumVGPRsForWavesPerEU: 86
; AccumOffset: 88
; Occupancy: 5
; WaveLimiterHint : 0
; COMPUTE_PGM_RSRC2:SCRATCH_EN: 0
; COMPUTE_PGM_RSRC2:USER_SGPR: 6
; COMPUTE_PGM_RSRC2:TRAP_HANDLER: 0
; COMPUTE_PGM_RSRC2:TGID_X_EN: 1
; COMPUTE_PGM_RSRC2:TGID_Y_EN: 1
; COMPUTE_PGM_RSRC2:TGID_Z_EN: 1
; COMPUTE_PGM_RSRC2:TIDIG_COMP_CNT: 1
; COMPUTE_PGM_RSRC3_GFX90A:ACCUM_OFFSET: 21
; COMPUTE_PGM_RSRC3_GFX90A:TG_SPLIT: 0
	.section	.text._ZL30rocblas_trmm_outofplace_kernelIdLi32ELi2ELb0ELb1ELb1ELb0EPKdS0_dEv17rocblas_diagonal_iiT6_lPT7_lllS5_lllPT8_llli,"axG",@progbits,_ZL30rocblas_trmm_outofplace_kernelIdLi32ELi2ELb0ELb1ELb1ELb0EPKdS0_dEv17rocblas_diagonal_iiT6_lPT7_lllS5_lllPT8_llli,comdat
	.globl	_ZL30rocblas_trmm_outofplace_kernelIdLi32ELi2ELb0ELb1ELb1ELb0EPKdS0_dEv17rocblas_diagonal_iiT6_lPT7_lllS5_lllPT8_llli ; -- Begin function _ZL30rocblas_trmm_outofplace_kernelIdLi32ELi2ELb0ELb1ELb1ELb0EPKdS0_dEv17rocblas_diagonal_iiT6_lPT7_lllS5_lllPT8_llli
	.p2align	8
	.type	_ZL30rocblas_trmm_outofplace_kernelIdLi32ELi2ELb0ELb1ELb1ELb0EPKdS0_dEv17rocblas_diagonal_iiT6_lPT7_lllS5_lllPT8_llli,@function
_ZL30rocblas_trmm_outofplace_kernelIdLi32ELi2ELb0ELb1ELb1ELb0EPKdS0_dEv17rocblas_diagonal_iiT6_lPT7_lllS5_lllPT8_llli: ; @_ZL30rocblas_trmm_outofplace_kernelIdLi32ELi2ELb0ELb1ELb1ELb0EPKdS0_dEv17rocblas_diagonal_iiT6_lPT7_lllS5_lllPT8_llli
; %bb.0:
	s_load_dwordx16 s[16:31], s[4:5], 0x10
	s_waitcnt lgkmcnt(0)
	s_mul_i32 s0, s8, s19
	s_mul_hi_u32 s1, s8, s18
	s_add_i32 s1, s1, s0
	s_mul_i32 s0, s8, s18
	s_lshl_b64 s[0:1], s[0:1], 3
	s_add_u32 s0, s16, s0
	s_addc_u32 s1, s17, s1
	s_load_dwordx2 s[34:35], s[0:1], 0x0
	s_waitcnt lgkmcnt(0)
	v_cmp_eq_f64_e64 s[0:1], s[34:35], 0
	s_and_b64 vcc, exec, s[0:1]
	s_cbranch_vccnz .LBB54_63
; %bb.1:
	s_load_dwordx4 s[44:47], s[4:5], 0x0
	s_waitcnt lgkmcnt(0)
	s_add_i32 s0, s46, -1
	s_ashr_i32 s1, s0, 31
	s_lshr_b32 s1, s1, 27
	s_add_i32 s0, s0, s1
	s_ashr_i32 s33, s0, 5
	s_cmp_gt_i32 s7, s33
	s_cbranch_scc1 .LBB54_63
; %bb.2:
	s_load_dwordx8 s[36:43], s[4:5], 0x50
	s_load_dwordx4 s[48:51], s[4:5], 0x70
	s_load_dword s56, s[4:5], 0x8c
	v_and_b32_e32 v4, 0x3ff, v0
	v_bfe_u32 v50, v0, 10, 10
	s_waitcnt lgkmcnt(0)
	s_mul_i32 s1, s8, s39
	s_mul_hi_u32 s2, s8, s38
	s_mul_i32 s0, s8, s38
	s_add_i32 s1, s2, s1
	s_lshl_b64 s[0:1], s[0:1], 3
	s_add_u32 s2, s28, s0
	s_addc_u32 s3, s29, s1
	s_lshl_b64 s[0:1], s[30:31], 3
	s_add_u32 s2, s2, s0
	s_addc_u32 s3, s3, s1
	s_mul_i32 s0, s8, s51
	s_mul_hi_u32 s1, s8, s50
	s_add_i32 s1, s1, s0
	s_mul_i32 s0, s8, s50
	s_lshl_b64 s[0:1], s[0:1], 3
	s_add_u32 s4, s40, s0
	s_addc_u32 s5, s41, s1
	s_lshl_b64 s[0:1], s[42:43], 3
	s_add_u32 s57, s4, s0
	s_addc_u32 s58, s5, s1
	s_cmpk_eq_i32 s44, 0x84
	s_cselect_b64 s[28:29], -1, 0
	s_ashr_i32 s47, s46, 31
	s_ashr_i32 s0, s45, 31
	s_lshl_b64 s[30:31], s[24:25], 8
	s_lshl_b64 s[38:39], s[36:37], 8
	v_lshl_add_u32 v0, s6, 5, v4
	s_add_u32 s40, s46, -16
	v_ashrrev_i32_e32 v1, 31, v0
	s_addc_u32 s41, s47, -1
	s_lshl_b32 s9, s7, 5
	v_lshlrev_b64 v[8:9], 3, v[0:1]
	v_add_u32_e32 v14, s9, v4
	v_add_u32_e32 v16, s9, v50
	s_mul_i32 s9, s27, s8
	s_mul_hi_u32 s10, s26, s8
	v_mov_b32_e32 v2, s3
	v_add_co_u32_e32 v10, vcc, s2, v8
	s_add_i32 s9, s10, s9
	s_mul_i32 s8, s26, s8
	v_addc_co_u32_e32 v11, vcc, v2, v9, vcc
	s_lshl_b32 s6, s56, 5
	s_lshl_b64 s[42:43], s[36:37], 3
	s_lshl_b64 s[8:9], s[8:9], 3
	s_lshl_b64 s[10:11], s[22:23], 3
	v_mov_b32_e32 v3, s0
	v_sub_co_u32_e32 v2, vcc, s45, v0
	s_add_u32 s8, s8, s10
	v_subb_co_u32_e32 v3, vcc, v3, v1, vcc
	v_lshlrev_b32_e32 v1, 3, v4
	s_addc_u32 s9, s9, s11
	v_lshlrev_b32_e32 v51, 8, v50
	v_or_b32_e32 v53, 0x2000, v1
	v_add_u32_e32 v12, 16, v0
	s_add_u32 s20, s20, s8
	v_add_u32_e32 v52, v51, v1
	v_cmp_gt_i64_e64 s[0:1], 1, v[2:3]
	v_add_u32_e32 v54, v53, v51
	v_cmp_gt_i64_e64 s[2:3], 17, v[2:3]
	v_cmp_gt_i32_e64 s[4:5], s45, v0
	v_cmp_gt_i32_e64 s[16:17], s45, v12
	v_ashrrev_i32_e32 v13, 31, v12
	s_addc_u32 s21, s21, s9
	s_lshl_b64 s[22:23], s[24:25], 3
	s_movk_i32 s59, 0x80
	v_mov_b32_e32 v18, 0
	v_mov_b32_e32 v19, 0x3ff00000
	s_branch .LBB54_4
.LBB54_3:                               ;   in Loop: Header=BB54_4 Depth=1
	s_or_b64 exec, exec, s[8:9]
	s_add_i32 s7, s56, s7
	v_add_u32_e32 v14, s6, v14
	s_cmp_le_i32 s7, s33
	v_add_u32_e32 v16, s6, v16
	s_cbranch_scc0 .LBB54_63
.LBB54_4:                               ; =>This Loop Header: Depth=1
                                        ;     Child Loop BB54_7 Depth 2
	s_lshl_b32 s8, s7, 5
	v_add_u32_e32 v20, s8, v50
	s_sub_i32 s60, s46, s8
	v_pk_mov_b32 v[34:35], 0, 0
	v_ashrrev_i32_e32 v15, 31, v14
	v_ashrrev_i32_e32 v17, 31, v16
	;; [unrolled: 1-line block ×3, first 2 shown]
	s_cmp_lt_i32 s60, 1
	v_pk_mov_b32 v[28:29], v[34:35], v[34:35] op_sel:[0,1]
	v_pk_mov_b32 v[24:25], v[34:35], v[34:35] op_sel:[0,1]
	v_pk_mov_b32 v[22:23], v[34:35], v[34:35] op_sel:[0,1]
	s_cbranch_scc1 .LBB54_55
; %bb.5:                                ;   in Loop: Header=BB54_4 Depth=1
	v_mov_b32_e32 v0, 0x80
	v_mov_b32_e32 v1, 0
	v_sub_co_u32_e32 v26, vcc, v16, v14
	v_mad_u64_u32 v[30:31], s[8:9], s42, v16, v[0:1]
	v_mul_lo_u32 v2, s42, v17
	v_mul_lo_u32 v3, s43, v16
	v_subb_co_u32_e32 v27, vcc, v17, v15, vcc
	v_add3_u32 v31, v3, v31, v2
	v_lshlrev_b64 v[2:3], 3, v[14:15]
	v_add_co_u32_e32 v4, vcc, 0x80, v2
	v_addc_co_u32_e32 v2, vcc, 0, v3, vcc
	v_mul_lo_u32 v5, s24, v2
	v_pk_mov_b32 v[2:3], s[20:21], s[20:21] op_sel:[0,1]
	v_lshlrev_b64 v[32:33], 3, v[16:17]
	v_mad_u64_u32 v[36:37], s[8:9], s24, v4, v[2:3]
	v_mad_u64_u32 v[38:39], s[8:9], s22, v14, v[2:3]
	v_mul_lo_u32 v2, s22, v15
	v_mul_lo_u32 v3, s23, v14
	v_add3_u32 v39, v3, v39, v2
	v_add_co_u32_e32 v2, vcc, s59, v32
	v_mad_u64_u32 v[40:41], s[8:9], s36, v2, v[0:1]
	v_add_co_u32_e64 v44, s[10:11], 16, v26
	v_addc_co_u32_e32 v3, vcc, 0, v33, vcc
	v_add_co_u32_e64 v42, s[8:9], 16, v20
	v_addc_co_u32_e64 v45, s[10:11], 0, v27, s[10:11]
	v_mul_lo_u32 v6, s25, v4
	v_mul_lo_u32 v3, s36, v3
	;; [unrolled: 1-line block ×3, first 2 shown]
	v_addc_co_u32_e64 v43, s[8:9], 0, v21, s[8:9]
	v_add_co_u32_e64 v46, s[10:11], -16, v26
	v_pk_mov_b32 v[22:23], 0, 0
	v_add3_u32 v37, v6, v37, v5
	v_add3_u32 v41, v4, v41, v3
	v_cmp_le_i32_e32 vcc, s46, v20
	v_cmp_le_i64_e64 s[8:9], s[46:47], v[42:43]
	v_addc_co_u32_e64 v47, s[10:11], -1, v27, s[10:11]
	s_mov_b64 s[26:27], 0
	v_pk_mov_b32 v[48:49], v[10:11], v[10:11] op_sel:[0,1]
	v_pk_mov_b32 v[24:25], v[22:23], v[22:23] op_sel:[0,1]
	;; [unrolled: 1-line block ×4, first 2 shown]
	s_branch .LBB54_7
.LBB54_6:                               ;   in Loop: Header=BB54_7 Depth=2
	s_or_b64 exec, exec, s[10:11]
	s_waitcnt lgkmcnt(0)
	s_barrier
	ds_read2_b64 v[56:59], v53 offset1:16
	ds_read_b128 v[60:63], v51
	ds_read_b128 v[64:67], v51 offset:16
	ds_read_b128 v[4:7], v51 offset:32
	;; [unrolled: 1-line block ×4, first 2 shown]
	ds_read2_b64 v[72:75], v53 offset0:32 offset1:48
	s_waitcnt lgkmcnt(5)
	v_fmac_f64_e32 v[34:35], v[56:57], v[60:61]
	v_fmac_f64_e32 v[28:29], v[58:59], v[60:61]
	ds_read_b128 v[76:79], v51 offset:4112
	s_waitcnt lgkmcnt(2)
	v_fmac_f64_e32 v[24:25], v[56:57], v[68:69]
	v_fmac_f64_e32 v[22:23], v[58:59], v[68:69]
	ds_read2_b64 v[56:59], v53 offset0:64 offset1:80
	s_waitcnt lgkmcnt(2)
	v_fmac_f64_e32 v[34:35], v[72:73], v[62:63]
	v_fmac_f64_e32 v[28:29], v[74:75], v[62:63]
	ds_read2_b64 v[60:63], v53 offset0:96 offset1:112
	v_fmac_f64_e32 v[24:25], v[72:73], v[70:71]
	v_fmac_f64_e32 v[22:23], v[74:75], v[70:71]
	ds_read_b128 v[68:71], v51 offset:4144
	s_waitcnt lgkmcnt(2)
	v_fmac_f64_e32 v[34:35], v[56:57], v[64:65]
	v_fmac_f64_e32 v[28:29], v[58:59], v[64:65]
	;; [unrolled: 1-line block ×4, first 2 shown]
	s_waitcnt lgkmcnt(1)
	v_fmac_f64_e32 v[34:35], v[60:61], v[66:67]
	ds_read2_b64 v[56:59], v53 offset0:128 offset1:144
	v_fmac_f64_e32 v[28:29], v[62:63], v[66:67]
	v_fmac_f64_e32 v[24:25], v[60:61], v[78:79]
	v_fmac_f64_e32 v[22:23], v[62:63], v[78:79]
	ds_read_b128 v[60:63], v51 offset:4128
	ds_read2_b64 v[64:67], v53 offset0:160 offset1:176
	s_waitcnt lgkmcnt(2)
	v_fmac_f64_e32 v[34:35], v[56:57], v[4:5]
	v_fmac_f64_e32 v[28:29], v[58:59], v[4:5]
	v_add_u32_e32 v55, 0x800, v53
	s_waitcnt lgkmcnt(1)
	v_fmac_f64_e32 v[24:25], v[56:57], v[60:61]
	v_fmac_f64_e32 v[22:23], v[58:59], v[60:61]
	ds_read2_b64 v[56:59], v53 offset0:192 offset1:208
	s_waitcnt lgkmcnt(1)
	v_fmac_f64_e32 v[34:35], v[64:65], v[6:7]
	v_fmac_f64_e32 v[28:29], v[66:67], v[6:7]
	ds_read2_b64 v[4:7], v53 offset0:224 offset1:240
	v_fmac_f64_e32 v[24:25], v[64:65], v[62:63]
	v_fmac_f64_e32 v[22:23], v[66:67], v[62:63]
	s_waitcnt lgkmcnt(1)
	v_fmac_f64_e32 v[34:35], v[56:57], v[0:1]
	v_fmac_f64_e32 v[28:29], v[58:59], v[0:1]
	;; [unrolled: 1-line block ×4, first 2 shown]
	s_waitcnt lgkmcnt(0)
	v_fmac_f64_e32 v[34:35], v[4:5], v[2:3]
	v_fmac_f64_e32 v[28:29], v[6:7], v[2:3]
	ds_read2_b64 v[0:3], v55 offset1:16
	ds_read_b128 v[56:59], v51 offset:64
	v_fmac_f64_e32 v[24:25], v[4:5], v[70:71]
	v_fmac_f64_e32 v[22:23], v[6:7], v[70:71]
	ds_read_b128 v[4:7], v51 offset:80
	ds_read_b128 v[60:63], v51 offset:4160
	ds_read2_b64 v[64:67], v55 offset0:32 offset1:48
	s_waitcnt lgkmcnt(3)
	v_fmac_f64_e32 v[34:35], v[0:1], v[56:57]
	v_fmac_f64_e32 v[28:29], v[2:3], v[56:57]
	ds_read_b128 v[68:71], v51 offset:4176
	s_waitcnt lgkmcnt(2)
	v_fmac_f64_e32 v[24:25], v[0:1], v[60:61]
	v_fmac_f64_e32 v[22:23], v[2:3], v[60:61]
	ds_read2_b64 v[0:3], v55 offset0:64 offset1:80
	s_waitcnt lgkmcnt(2)
	v_fmac_f64_e32 v[34:35], v[64:65], v[58:59]
	v_fmac_f64_e32 v[28:29], v[66:67], v[58:59]
	ds_read2_b64 v[56:59], v55 offset0:96 offset1:112
	v_fmac_f64_e32 v[24:25], v[64:65], v[62:63]
	v_fmac_f64_e32 v[22:23], v[66:67], v[62:63]
	s_waitcnt lgkmcnt(1)
	v_fmac_f64_e32 v[34:35], v[0:1], v[4:5]
	v_fmac_f64_e32 v[28:29], v[2:3], v[4:5]
	;; [unrolled: 1-line block ×4, first 2 shown]
	s_waitcnt lgkmcnt(0)
	v_fmac_f64_e32 v[34:35], v[56:57], v[6:7]
	v_fmac_f64_e32 v[28:29], v[58:59], v[6:7]
	ds_read2_b64 v[0:3], v55 offset0:128 offset1:144
	ds_read_b128 v[4:7], v51 offset:96
	v_fmac_f64_e32 v[24:25], v[56:57], v[70:71]
	v_fmac_f64_e32 v[22:23], v[58:59], v[70:71]
	ds_read_b128 v[56:59], v51 offset:112
	ds_read_b128 v[60:63], v51 offset:4192
	ds_read2_b64 v[64:67], v55 offset0:160 offset1:176
	s_waitcnt lgkmcnt(3)
	v_fmac_f64_e32 v[34:35], v[0:1], v[4:5]
	v_fmac_f64_e32 v[28:29], v[2:3], v[4:5]
	ds_read_b128 v[68:71], v51 offset:4208
	s_waitcnt lgkmcnt(2)
	v_fmac_f64_e32 v[24:25], v[0:1], v[60:61]
	v_fmac_f64_e32 v[22:23], v[2:3], v[60:61]
	ds_read2_b64 v[0:3], v55 offset0:192 offset1:208
	s_waitcnt lgkmcnt(2)
	v_fmac_f64_e32 v[34:35], v[64:65], v[6:7]
	v_fmac_f64_e32 v[28:29], v[66:67], v[6:7]
	ds_read2_b64 v[4:7], v55 offset0:224 offset1:240
	v_fmac_f64_e32 v[24:25], v[64:65], v[62:63]
	v_fmac_f64_e32 v[22:23], v[66:67], v[62:63]
	s_waitcnt lgkmcnt(1)
	v_fmac_f64_e32 v[34:35], v[0:1], v[56:57]
	v_fmac_f64_e32 v[28:29], v[2:3], v[56:57]
	;; [unrolled: 1-line block ×4, first 2 shown]
	v_add_u32_e32 v55, 0x1000, v53
	s_waitcnt lgkmcnt(0)
	v_fmac_f64_e32 v[34:35], v[4:5], v[58:59]
	v_fmac_f64_e32 v[28:29], v[6:7], v[58:59]
	ds_read2_b64 v[0:3], v55 offset1:16
	ds_read_b128 v[56:59], v51 offset:128
	v_fmac_f64_e32 v[24:25], v[4:5], v[70:71]
	v_fmac_f64_e32 v[22:23], v[6:7], v[70:71]
	ds_read_b128 v[4:7], v51 offset:144
	ds_read_b128 v[60:63], v51 offset:4224
	ds_read2_b64 v[64:67], v55 offset0:32 offset1:48
	s_waitcnt lgkmcnt(3)
	v_fmac_f64_e32 v[34:35], v[0:1], v[56:57]
	v_fmac_f64_e32 v[28:29], v[2:3], v[56:57]
	ds_read_b128 v[68:71], v51 offset:4240
	s_waitcnt lgkmcnt(2)
	v_fmac_f64_e32 v[24:25], v[0:1], v[60:61]
	v_fmac_f64_e32 v[22:23], v[2:3], v[60:61]
	ds_read2_b64 v[0:3], v55 offset0:64 offset1:80
	s_waitcnt lgkmcnt(2)
	v_fmac_f64_e32 v[34:35], v[64:65], v[58:59]
	v_fmac_f64_e32 v[28:29], v[66:67], v[58:59]
	ds_read2_b64 v[56:59], v55 offset0:96 offset1:112
	v_fmac_f64_e32 v[24:25], v[64:65], v[62:63]
	v_fmac_f64_e32 v[22:23], v[66:67], v[62:63]
	s_waitcnt lgkmcnt(1)
	v_fmac_f64_e32 v[34:35], v[0:1], v[4:5]
	v_fmac_f64_e32 v[28:29], v[2:3], v[4:5]
	;; [unrolled: 1-line block ×4, first 2 shown]
	s_waitcnt lgkmcnt(0)
	v_fmac_f64_e32 v[34:35], v[56:57], v[6:7]
	v_fmac_f64_e32 v[28:29], v[58:59], v[6:7]
	ds_read2_b64 v[0:3], v55 offset0:128 offset1:144
	ds_read_b128 v[4:7], v51 offset:160
	v_fmac_f64_e32 v[24:25], v[56:57], v[70:71]
	v_fmac_f64_e32 v[22:23], v[58:59], v[70:71]
	ds_read_b128 v[56:59], v51 offset:176
	ds_read_b128 v[60:63], v51 offset:4256
	ds_read2_b64 v[64:67], v55 offset0:160 offset1:176
	s_waitcnt lgkmcnt(3)
	v_fmac_f64_e32 v[34:35], v[0:1], v[4:5]
	v_fmac_f64_e32 v[28:29], v[2:3], v[4:5]
	ds_read_b128 v[68:71], v51 offset:4272
	s_waitcnt lgkmcnt(2)
	v_fmac_f64_e32 v[24:25], v[0:1], v[60:61]
	v_fmac_f64_e32 v[22:23], v[2:3], v[60:61]
	ds_read2_b64 v[0:3], v55 offset0:192 offset1:208
	s_waitcnt lgkmcnt(2)
	v_fmac_f64_e32 v[34:35], v[64:65], v[6:7]
	v_fmac_f64_e32 v[28:29], v[66:67], v[6:7]
	ds_read2_b64 v[4:7], v55 offset0:224 offset1:240
	v_fmac_f64_e32 v[24:25], v[64:65], v[62:63]
	v_fmac_f64_e32 v[22:23], v[66:67], v[62:63]
	s_waitcnt lgkmcnt(1)
	v_fmac_f64_e32 v[34:35], v[0:1], v[56:57]
	v_fmac_f64_e32 v[28:29], v[2:3], v[56:57]
	;; [unrolled: 1-line block ×4, first 2 shown]
	v_add_u32_e32 v55, 0x1800, v53
	s_waitcnt lgkmcnt(0)
	v_fmac_f64_e32 v[34:35], v[4:5], v[58:59]
	v_fmac_f64_e32 v[28:29], v[6:7], v[58:59]
	ds_read2_b64 v[0:3], v55 offset1:16
	ds_read_b128 v[56:59], v51 offset:192
	v_fmac_f64_e32 v[24:25], v[4:5], v[70:71]
	v_fmac_f64_e32 v[22:23], v[6:7], v[70:71]
	ds_read_b128 v[4:7], v51 offset:208
	ds_read_b128 v[60:63], v51 offset:4288
	ds_read2_b64 v[64:67], v55 offset0:32 offset1:48
	s_waitcnt lgkmcnt(3)
	v_fmac_f64_e32 v[34:35], v[0:1], v[56:57]
	v_fmac_f64_e32 v[28:29], v[2:3], v[56:57]
	ds_read_b128 v[68:71], v51 offset:4304
	s_waitcnt lgkmcnt(2)
	v_fmac_f64_e32 v[24:25], v[0:1], v[60:61]
	v_fmac_f64_e32 v[22:23], v[2:3], v[60:61]
	ds_read2_b64 v[0:3], v55 offset0:64 offset1:80
	s_waitcnt lgkmcnt(2)
	v_fmac_f64_e32 v[34:35], v[64:65], v[58:59]
	v_fmac_f64_e32 v[28:29], v[66:67], v[58:59]
	ds_read2_b64 v[56:59], v55 offset0:96 offset1:112
	v_fmac_f64_e32 v[24:25], v[64:65], v[62:63]
	v_fmac_f64_e32 v[22:23], v[66:67], v[62:63]
	s_waitcnt lgkmcnt(1)
	v_fmac_f64_e32 v[34:35], v[0:1], v[4:5]
	v_fmac_f64_e32 v[28:29], v[2:3], v[4:5]
	;; [unrolled: 1-line block ×4, first 2 shown]
	s_waitcnt lgkmcnt(0)
	v_fmac_f64_e32 v[34:35], v[56:57], v[6:7]
	v_fmac_f64_e32 v[28:29], v[58:59], v[6:7]
	ds_read2_b64 v[0:3], v55 offset0:128 offset1:144
	ds_read_b128 v[4:7], v51 offset:224
	v_fmac_f64_e32 v[24:25], v[56:57], v[70:71]
	v_fmac_f64_e32 v[22:23], v[58:59], v[70:71]
	ds_read_b128 v[56:59], v51 offset:240
	ds_read_b128 v[60:63], v51 offset:4320
	ds_read2_b64 v[64:67], v55 offset0:160 offset1:176
	s_waitcnt lgkmcnt(3)
	v_fmac_f64_e32 v[34:35], v[0:1], v[4:5]
	v_fmac_f64_e32 v[28:29], v[2:3], v[4:5]
	ds_read_b128 v[68:71], v51 offset:4336
	s_waitcnt lgkmcnt(2)
	v_fmac_f64_e32 v[24:25], v[0:1], v[60:61]
	v_fmac_f64_e32 v[22:23], v[2:3], v[60:61]
	ds_read2_b64 v[0:3], v55 offset0:192 offset1:208
	s_waitcnt lgkmcnt(2)
	v_fmac_f64_e32 v[34:35], v[64:65], v[6:7]
	v_fmac_f64_e32 v[24:25], v[64:65], v[62:63]
	v_fmac_f64_e32 v[28:29], v[66:67], v[6:7]
	ds_read2_b64 v[4:7], v55 offset0:224 offset1:240
	s_waitcnt lgkmcnt(1)
	v_fmac_f64_e32 v[34:35], v[0:1], v[56:57]
	v_fmac_f64_e32 v[24:25], v[0:1], v[68:69]
	v_mov_b32_e32 v0, s39
	v_add_co_u32_e64 v48, s[10:11], s38, v48
	v_addc_co_u32_e64 v49, s[10:11], v49, v0, s[10:11]
	v_mov_b32_e32 v0, s31
	v_add_co_u32_e64 v36, s[10:11], s30, v36
	v_fmac_f64_e32 v[22:23], v[66:67], v[62:63]
	s_add_u32 s26, s26, 32
	v_addc_co_u32_e64 v37, s[10:11], v37, v0, s[10:11]
	v_fmac_f64_e32 v[28:29], v[2:3], v[56:57]
	v_fmac_f64_e32 v[22:23], v[2:3], v[68:69]
	s_addc_u32 s27, s27, 0
	v_add_co_u32_e64 v38, s[10:11], s30, v38
	s_waitcnt lgkmcnt(0)
	v_fmac_f64_e32 v[34:35], v[4:5], v[58:59]
	v_fmac_f64_e32 v[28:29], v[6:7], v[58:59]
	;; [unrolled: 1-line block ×4, first 2 shown]
	s_cmp_ge_i32 s26, s60
	v_addc_co_u32_e64 v39, s[10:11], v39, v0, s[10:11]
	s_barrier
	s_cbranch_scc1 .LBB54_55
.LBB54_7:                               ;   Parent Loop BB54_4 Depth=1
                                        ; =>  This Inner Loop Header: Depth=2
	v_mov_b32_e32 v0, s27
	v_add_co_u32_e64 v2, s[10:11], s26, v14
	v_addc_co_u32_e64 v3, s[10:11], v15, v0, s[10:11]
	v_add_co_u32_e64 v0, s[10:11], v38, v32
	v_addc_co_u32_e64 v1, s[10:11], v39, v33, s[10:11]
	v_cmp_eq_u64_e64 s[10:11], s[26:27], v[26:27]
	s_and_b64 s[50:51], s[28:29], s[10:11]
	v_cmp_lt_i64_e64 s[10:11], v[2:3], v[20:21]
	v_cmp_le_i64_e64 s[12:13], s[46:47], v[2:3]
	s_or_b64 s[14:15], vcc, s[10:11]
	s_or_b64 s[14:15], s[12:13], s[14:15]
	s_or_b64 s[14:15], s[14:15], s[50:51]
	s_xor_b64 s[14:15], s[14:15], -1
	s_and_saveexec_b64 s[18:19], s[14:15]
	s_xor_b64 s[14:15], exec, s[18:19]
	s_cbranch_execz .LBB54_9
; %bb.8:                                ;   in Loop: Header=BB54_7 Depth=2
	global_load_dwordx2 v[4:5], v[0:1], off
	s_waitcnt vmcnt(0)
	ds_write_b64 v52, v[4:5]
.LBB54_9:                               ;   in Loop: Header=BB54_7 Depth=2
	s_or_saveexec_b64 s[14:15], s[14:15]
	s_xor_b64 s[44:45], s[50:51], -1
	s_xor_b64 exec, exec, s[14:15]
	s_cbranch_execz .LBB54_15
; %bb.10:                               ;   in Loop: Header=BB54_7 Depth=2
	s_and_saveexec_b64 s[18:19], s[44:45]
	s_xor_b64 s[18:19], exec, s[18:19]
	s_cbranch_execz .LBB54_12
; %bb.11:                               ;   in Loop: Header=BB54_7 Depth=2
	v_mov_b32_e32 v4, v18
	v_mov_b32_e32 v5, v18
	ds_write_b64 v52, v[4:5]
.LBB54_12:                              ;   in Loop: Header=BB54_7 Depth=2
	s_andn2_saveexec_b64 s[18:19], s[18:19]
	s_cbranch_execz .LBB54_14
; %bb.13:                               ;   in Loop: Header=BB54_7 Depth=2
	ds_write_b64 v52, v[18:19]
.LBB54_14:                              ;   in Loop: Header=BB54_7 Depth=2
	s_or_b64 exec, exec, s[18:19]
.LBB54_15:                              ;   in Loop: Header=BB54_7 Depth=2
	s_or_b64 exec, exec, s[14:15]
	v_add_co_u32_e64 v4, s[14:15], 16, v2
	v_addc_co_u32_e64 v5, s[14:15], 0, v3, s[14:15]
	v_cmp_eq_u64_e64 s[14:15], s[26:27], v[46:47]
	v_cmp_lt_i64_e64 s[18:19], v[4:5], v[20:21]
	s_and_b64 s[52:53], s[28:29], s[14:15]
	v_cmp_le_i64_e64 s[14:15], s[46:47], v[4:5]
	s_or_b64 s[18:19], vcc, s[18:19]
	s_or_b64 s[18:19], s[14:15], s[18:19]
	s_or_b64 s[18:19], s[18:19], s[52:53]
	s_xor_b64 s[18:19], s[18:19], -1
	s_and_saveexec_b64 s[54:55], s[18:19]
	s_xor_b64 s[54:55], exec, s[54:55]
	s_cbranch_execz .LBB54_17
; %bb.16:                               ;   in Loop: Header=BB54_7 Depth=2
	v_add_co_u32_e64 v4, s[18:19], v36, v32
	v_addc_co_u32_e64 v5, s[18:19], v37, v33, s[18:19]
	global_load_dwordx2 v[4:5], v[4:5], off
	s_waitcnt vmcnt(0)
	ds_write_b64 v52, v[4:5] offset:128
.LBB54_17:                              ;   in Loop: Header=BB54_7 Depth=2
	s_andn2_saveexec_b64 s[18:19], s[54:55]
	s_cbranch_execz .LBB54_23
; %bb.18:                               ;   in Loop: Header=BB54_7 Depth=2
	s_xor_b64 s[52:53], s[52:53], -1
	s_and_saveexec_b64 s[54:55], s[52:53]
	s_xor_b64 s[52:53], exec, s[54:55]
	s_cbranch_execz .LBB54_20
; %bb.19:                               ;   in Loop: Header=BB54_7 Depth=2
	v_mov_b32_e32 v4, v18
	v_mov_b32_e32 v5, v18
	ds_write_b64 v52, v[4:5] offset:128
.LBB54_20:                              ;   in Loop: Header=BB54_7 Depth=2
	s_andn2_saveexec_b64 s[52:53], s[52:53]
	s_cbranch_execz .LBB54_22
; %bb.21:                               ;   in Loop: Header=BB54_7 Depth=2
	ds_write_b64 v52, v[18:19] offset:128
.LBB54_22:                              ;   in Loop: Header=BB54_7 Depth=2
	s_or_b64 exec, exec, s[52:53]
.LBB54_23:                              ;   in Loop: Header=BB54_7 Depth=2
	s_or_b64 exec, exec, s[18:19]
	v_cmp_eq_u64_e64 s[18:19], s[26:27], v[44:45]
	s_and_b64 s[52:53], s[28:29], s[18:19]
	v_cmp_lt_i64_e64 s[18:19], v[2:3], v[42:43]
	s_or_b64 s[18:19], s[8:9], s[18:19]
	s_or_b64 s[18:19], s[18:19], s[52:53]
	;; [unrolled: 1-line block ×3, first 2 shown]
	s_xor_b64 s[12:13], s[12:13], -1
	s_and_saveexec_b64 s[18:19], s[12:13]
	s_xor_b64 s[12:13], exec, s[18:19]
	s_cbranch_execz .LBB54_25
; %bb.24:                               ;   in Loop: Header=BB54_7 Depth=2
	global_load_dwordx2 v[0:1], v[0:1], off offset:128
	s_waitcnt vmcnt(0)
	ds_write_b64 v52, v[0:1] offset:4096
.LBB54_25:                              ;   in Loop: Header=BB54_7 Depth=2
	s_andn2_saveexec_b64 s[12:13], s[12:13]
	s_cbranch_execz .LBB54_31
; %bb.26:                               ;   in Loop: Header=BB54_7 Depth=2
	s_xor_b64 s[18:19], s[52:53], -1
	s_and_saveexec_b64 s[52:53], s[18:19]
	s_xor_b64 s[18:19], exec, s[52:53]
	s_cbranch_execz .LBB54_28
; %bb.27:                               ;   in Loop: Header=BB54_7 Depth=2
	v_mov_b32_e32 v0, v18
	v_mov_b32_e32 v1, v18
	ds_write_b64 v52, v[0:1] offset:4096
.LBB54_28:                              ;   in Loop: Header=BB54_7 Depth=2
	s_andn2_saveexec_b64 s[18:19], s[18:19]
	s_cbranch_execz .LBB54_30
; %bb.29:                               ;   in Loop: Header=BB54_7 Depth=2
	ds_write_b64 v52, v[18:19] offset:4096
.LBB54_30:                              ;   in Loop: Header=BB54_7 Depth=2
	s_or_b64 exec, exec, s[18:19]
.LBB54_31:                              ;   in Loop: Header=BB54_7 Depth=2
	s_or_b64 exec, exec, s[12:13]
	s_or_b64 s[10:11], s[8:9], s[10:11]
	s_or_b64 s[10:11], s[14:15], s[10:11]
	;; [unrolled: 1-line block ×3, first 2 shown]
	s_xor_b64 s[10:11], s[10:11], -1
	s_and_saveexec_b64 s[12:13], s[10:11]
	s_xor_b64 s[12:13], exec, s[12:13]
	s_cbranch_execz .LBB54_33
; %bb.32:                               ;   in Loop: Header=BB54_7 Depth=2
	v_add_co_u32_e64 v0, s[10:11], v36, v32
	v_addc_co_u32_e64 v1, s[10:11], v37, v33, s[10:11]
	global_load_dwordx2 v[0:1], v[0:1], off offset:128
	s_waitcnt vmcnt(0)
	ds_write_b64 v52, v[0:1] offset:4224
.LBB54_33:                              ;   in Loop: Header=BB54_7 Depth=2
	s_andn2_saveexec_b64 s[10:11], s[12:13]
	s_cbranch_execz .LBB54_39
; %bb.34:                               ;   in Loop: Header=BB54_7 Depth=2
	s_and_saveexec_b64 s[12:13], s[44:45]
	s_xor_b64 s[12:13], exec, s[12:13]
	s_cbranch_execz .LBB54_36
; %bb.35:                               ;   in Loop: Header=BB54_7 Depth=2
	v_mov_b32_e32 v0, v18
	v_mov_b32_e32 v1, v18
	ds_write_b64 v52, v[0:1] offset:4224
.LBB54_36:                              ;   in Loop: Header=BB54_7 Depth=2
	s_andn2_saveexec_b64 s[12:13], s[12:13]
	s_cbranch_execz .LBB54_38
; %bb.37:                               ;   in Loop: Header=BB54_7 Depth=2
	ds_write_b64 v52, v[18:19] offset:4224
.LBB54_38:                              ;   in Loop: Header=BB54_7 Depth=2
	s_or_b64 exec, exec, s[12:13]
.LBB54_39:                              ;   in Loop: Header=BB54_7 Depth=2
	s_or_b64 exec, exec, s[10:11]
	v_mov_b32_e32 v1, s27
	v_add_co_u32_e64 v0, s[10:11], s26, v16
	v_addc_co_u32_e64 v1, s[10:11], v17, v1, s[10:11]
	v_add_co_u32_e64 v2, s[10:11], v48, v30
	v_addc_co_u32_e64 v3, s[10:11], v49, v31, s[10:11]
	v_cmp_le_i64_e64 s[10:11], s[46:47], v[0:1]
	s_or_b64 s[12:13], s[10:11], s[0:1]
	s_xor_b64 s[12:13], s[12:13], -1
	s_and_saveexec_b64 s[14:15], s[12:13]
	s_xor_b64 s[12:13], exec, s[14:15]
	s_cbranch_execz .LBB54_41
; %bb.40:                               ;   in Loop: Header=BB54_7 Depth=2
	global_load_dwordx2 v[4:5], v[2:3], off offset:-128
	s_waitcnt vmcnt(0)
	ds_write_b64 v54, v[4:5]
.LBB54_41:                              ;   in Loop: Header=BB54_7 Depth=2
	s_andn2_saveexec_b64 s[12:13], s[12:13]
	s_cbranch_execz .LBB54_43
; %bb.42:                               ;   in Loop: Header=BB54_7 Depth=2
	v_mov_b32_e32 v4, v18
	v_mov_b32_e32 v5, v18
	ds_write_b64 v54, v[4:5]
.LBB54_43:                              ;   in Loop: Header=BB54_7 Depth=2
	s_or_b64 exec, exec, s[12:13]
	s_or_b64 s[10:11], s[10:11], s[2:3]
	s_xor_b64 s[10:11], s[10:11], -1
	s_and_saveexec_b64 s[12:13], s[10:11]
	s_xor_b64 s[10:11], exec, s[12:13]
	s_cbranch_execz .LBB54_45
; %bb.44:                               ;   in Loop: Header=BB54_7 Depth=2
	global_load_dwordx2 v[2:3], v[2:3], off
	s_waitcnt vmcnt(0)
	ds_write_b64 v54, v[2:3] offset:128
.LBB54_45:                              ;   in Loop: Header=BB54_7 Depth=2
	s_andn2_saveexec_b64 s[10:11], s[10:11]
	s_cbranch_execz .LBB54_47
; %bb.46:                               ;   in Loop: Header=BB54_7 Depth=2
	v_mov_b32_e32 v2, v18
	v_mov_b32_e32 v3, v18
	ds_write_b64 v54, v[2:3] offset:128
.LBB54_47:                              ;   in Loop: Header=BB54_7 Depth=2
	s_or_b64 exec, exec, s[10:11]
	v_cmp_le_i64_e64 s[10:11], s[40:41], v[0:1]
	s_or_b64 s[12:13], s[10:11], s[0:1]
	s_xor_b64 s[12:13], s[12:13], -1
	s_and_saveexec_b64 s[14:15], s[12:13]
	s_xor_b64 s[14:15], exec, s[14:15]
	s_cbranch_execz .LBB54_49
; %bb.48:                               ;   in Loop: Header=BB54_7 Depth=2
	v_add_co_u32_e64 v0, s[12:13], v48, v40
	v_addc_co_u32_e64 v1, s[12:13], v49, v41, s[12:13]
	global_load_dwordx2 v[0:1], v[0:1], off offset:-128
	s_waitcnt vmcnt(0)
	ds_write_b64 v54, v[0:1] offset:4096
.LBB54_49:                              ;   in Loop: Header=BB54_7 Depth=2
	s_andn2_saveexec_b64 s[12:13], s[14:15]
	s_cbranch_execz .LBB54_51
; %bb.50:                               ;   in Loop: Header=BB54_7 Depth=2
	v_mov_b32_e32 v0, v18
	v_mov_b32_e32 v1, v18
	ds_write_b64 v54, v[0:1] offset:4096
.LBB54_51:                              ;   in Loop: Header=BB54_7 Depth=2
	s_or_b64 exec, exec, s[12:13]
	s_or_b64 s[10:11], s[10:11], s[2:3]
	s_xor_b64 s[10:11], s[10:11], -1
	s_and_saveexec_b64 s[12:13], s[10:11]
	s_xor_b64 s[12:13], exec, s[12:13]
	s_cbranch_execz .LBB54_53
; %bb.52:                               ;   in Loop: Header=BB54_7 Depth=2
	v_add_co_u32_e64 v0, s[10:11], v48, v40
	v_addc_co_u32_e64 v1, s[10:11], v49, v41, s[10:11]
	global_load_dwordx2 v[0:1], v[0:1], off
	s_waitcnt vmcnt(0)
	ds_write_b64 v54, v[0:1] offset:4224
.LBB54_53:                              ;   in Loop: Header=BB54_7 Depth=2
	s_andn2_saveexec_b64 s[10:11], s[12:13]
	s_cbranch_execz .LBB54_6
; %bb.54:                               ;   in Loop: Header=BB54_7 Depth=2
	v_mov_b32_e32 v0, v18
	v_mov_b32_e32 v1, v18
	ds_write_b64 v54, v[0:1] offset:4224
	s_branch .LBB54_6
.LBB54_55:                              ;   in Loop: Header=BB54_4 Depth=1
	v_mul_lo_u32 v2, v21, s48
	v_mul_lo_u32 v3, v20, s49
	v_mad_u64_u32 v[0:1], s[8:9], v20, s48, 0
	v_add3_u32 v1, v1, v3, v2
	v_lshlrev_b64 v[0:1], 3, v[0:1]
	v_mov_b32_e32 v2, s58
	v_add_co_u32_e64 v0, s[8:9], s57, v0
	v_cmp_gt_i32_e32 vcc, s46, v20
	v_addc_co_u32_e64 v1, s[8:9], v2, v1, s[8:9]
	s_and_b64 s[8:9], s[4:5], vcc
	s_and_saveexec_b64 s[10:11], s[8:9]
	s_cbranch_execz .LBB54_57
; %bb.56:                               ;   in Loop: Header=BB54_4 Depth=1
	v_add_co_u32_e64 v2, s[8:9], v0, v8
	v_addc_co_u32_e64 v3, s[8:9], v1, v9, s[8:9]
	global_load_dwordx2 v[4:5], v[2:3], off
	s_waitcnt vmcnt(0)
	v_fmac_f64_e32 v[4:5], s[34:35], v[34:35]
	global_store_dwordx2 v[2:3], v[4:5], off
.LBB54_57:                              ;   in Loop: Header=BB54_4 Depth=1
	s_or_b64 exec, exec, s[10:11]
	s_and_b64 s[10:11], s[16:17], vcc
	s_and_saveexec_b64 s[8:9], s[10:11]
	s_cbranch_execz .LBB54_59
; %bb.58:                               ;   in Loop: Header=BB54_4 Depth=1
	v_lshlrev_b64 v[2:3], 3, v[12:13]
	v_add_co_u32_e32 v0, vcc, v0, v2
	v_addc_co_u32_e32 v1, vcc, v1, v3, vcc
	global_load_dwordx2 v[2:3], v[0:1], off
	s_waitcnt vmcnt(0)
	v_fmac_f64_e32 v[2:3], s[34:35], v[28:29]
	global_store_dwordx2 v[0:1], v[2:3], off
.LBB54_59:                              ;   in Loop: Header=BB54_4 Depth=1
	s_or_b64 exec, exec, s[8:9]
	v_add_u32_e32 v0, 16, v20
	v_ashrrev_i32_e32 v1, 31, v0
	v_cmp_gt_i32_e32 vcc, s46, v0
	v_mul_lo_u32 v2, v1, s48
	v_mul_lo_u32 v3, v0, s49
	v_mad_u64_u32 v[0:1], s[8:9], v0, s48, 0
	v_add3_u32 v1, v1, v3, v2
	v_lshlrev_b64 v[0:1], 3, v[0:1]
	v_mov_b32_e32 v2, s58
	v_add_co_u32_e64 v0, s[8:9], s57, v0
	v_addc_co_u32_e64 v1, s[8:9], v2, v1, s[8:9]
	s_and_b64 s[8:9], s[4:5], vcc
	s_and_saveexec_b64 s[10:11], s[8:9]
	s_cbranch_execz .LBB54_61
; %bb.60:                               ;   in Loop: Header=BB54_4 Depth=1
	v_add_co_u32_e64 v2, s[8:9], v0, v8
	v_addc_co_u32_e64 v3, s[8:9], v1, v9, s[8:9]
	global_load_dwordx2 v[4:5], v[2:3], off
	s_waitcnt vmcnt(0)
	v_fmac_f64_e32 v[4:5], s[34:35], v[24:25]
	global_store_dwordx2 v[2:3], v[4:5], off
.LBB54_61:                              ;   in Loop: Header=BB54_4 Depth=1
	s_or_b64 exec, exec, s[10:11]
	s_and_b64 s[10:11], s[16:17], vcc
	s_and_saveexec_b64 s[8:9], s[10:11]
	s_cbranch_execz .LBB54_3
; %bb.62:                               ;   in Loop: Header=BB54_4 Depth=1
	v_lshlrev_b64 v[2:3], 3, v[12:13]
	v_add_co_u32_e32 v0, vcc, v0, v2
	v_addc_co_u32_e32 v1, vcc, v1, v3, vcc
	global_load_dwordx2 v[2:3], v[0:1], off
	s_waitcnt vmcnt(0)
	v_fmac_f64_e32 v[2:3], s[34:35], v[22:23]
	global_store_dwordx2 v[0:1], v[2:3], off
	s_branch .LBB54_3
.LBB54_63:
	s_endpgm
	.section	.rodata,"a",@progbits
	.p2align	6, 0x0
	.amdhsa_kernel _ZL30rocblas_trmm_outofplace_kernelIdLi32ELi2ELb0ELb1ELb1ELb0EPKdS0_dEv17rocblas_diagonal_iiT6_lPT7_lllS5_lllPT8_llli
		.amdhsa_group_segment_fixed_size 16384
		.amdhsa_private_segment_fixed_size 0
		.amdhsa_kernarg_size 392
		.amdhsa_user_sgpr_count 6
		.amdhsa_user_sgpr_private_segment_buffer 1
		.amdhsa_user_sgpr_dispatch_ptr 0
		.amdhsa_user_sgpr_queue_ptr 0
		.amdhsa_user_sgpr_kernarg_segment_ptr 1
		.amdhsa_user_sgpr_dispatch_id 0
		.amdhsa_user_sgpr_flat_scratch_init 0
		.amdhsa_user_sgpr_kernarg_preload_length 0
		.amdhsa_user_sgpr_kernarg_preload_offset 0
		.amdhsa_user_sgpr_private_segment_size 0
		.amdhsa_uses_dynamic_stack 0
		.amdhsa_system_sgpr_private_segment_wavefront_offset 0
		.amdhsa_system_sgpr_workgroup_id_x 1
		.amdhsa_system_sgpr_workgroup_id_y 1
		.amdhsa_system_sgpr_workgroup_id_z 1
		.amdhsa_system_sgpr_workgroup_info 0
		.amdhsa_system_vgpr_workitem_id 1
		.amdhsa_next_free_vgpr 80
		.amdhsa_next_free_sgpr 61
		.amdhsa_accum_offset 80
		.amdhsa_reserve_vcc 1
		.amdhsa_reserve_flat_scratch 0
		.amdhsa_float_round_mode_32 0
		.amdhsa_float_round_mode_16_64 0
		.amdhsa_float_denorm_mode_32 3
		.amdhsa_float_denorm_mode_16_64 3
		.amdhsa_dx10_clamp 1
		.amdhsa_ieee_mode 1
		.amdhsa_fp16_overflow 0
		.amdhsa_tg_split 0
		.amdhsa_exception_fp_ieee_invalid_op 0
		.amdhsa_exception_fp_denorm_src 0
		.amdhsa_exception_fp_ieee_div_zero 0
		.amdhsa_exception_fp_ieee_overflow 0
		.amdhsa_exception_fp_ieee_underflow 0
		.amdhsa_exception_fp_ieee_inexact 0
		.amdhsa_exception_int_div_zero 0
	.end_amdhsa_kernel
	.section	.text._ZL30rocblas_trmm_outofplace_kernelIdLi32ELi2ELb0ELb1ELb1ELb0EPKdS0_dEv17rocblas_diagonal_iiT6_lPT7_lllS5_lllPT8_llli,"axG",@progbits,_ZL30rocblas_trmm_outofplace_kernelIdLi32ELi2ELb0ELb1ELb1ELb0EPKdS0_dEv17rocblas_diagonal_iiT6_lPT7_lllS5_lllPT8_llli,comdat
.Lfunc_end54:
	.size	_ZL30rocblas_trmm_outofplace_kernelIdLi32ELi2ELb0ELb1ELb1ELb0EPKdS0_dEv17rocblas_diagonal_iiT6_lPT7_lllS5_lllPT8_llli, .Lfunc_end54-_ZL30rocblas_trmm_outofplace_kernelIdLi32ELi2ELb0ELb1ELb1ELb0EPKdS0_dEv17rocblas_diagonal_iiT6_lPT7_lllS5_lllPT8_llli
                                        ; -- End function
	.section	.AMDGPU.csdata,"",@progbits
; Kernel info:
; codeLenInByte = 3468
; NumSgprs: 65
; NumVgprs: 80
; NumAgprs: 0
; TotalNumVgprs: 80
; ScratchSize: 0
; MemoryBound: 1
; FloatMode: 240
; IeeeMode: 1
; LDSByteSize: 16384 bytes/workgroup (compile time only)
; SGPRBlocks: 8
; VGPRBlocks: 9
; NumSGPRsForWavesPerEU: 65
; NumVGPRsForWavesPerEU: 80
; AccumOffset: 80
; Occupancy: 6
; WaveLimiterHint : 0
; COMPUTE_PGM_RSRC2:SCRATCH_EN: 0
; COMPUTE_PGM_RSRC2:USER_SGPR: 6
; COMPUTE_PGM_RSRC2:TRAP_HANDLER: 0
; COMPUTE_PGM_RSRC2:TGID_X_EN: 1
; COMPUTE_PGM_RSRC2:TGID_Y_EN: 1
; COMPUTE_PGM_RSRC2:TGID_Z_EN: 1
; COMPUTE_PGM_RSRC2:TIDIG_COMP_CNT: 1
; COMPUTE_PGM_RSRC3_GFX90A:ACCUM_OFFSET: 19
; COMPUTE_PGM_RSRC3_GFX90A:TG_SPLIT: 0
	.section	.text._ZL30rocblas_trmm_outofplace_kernelIdLi32ELi2ELb0ELb1ELb1ELb0EdKddEv17rocblas_diagonal_iiT6_lPT7_lllS4_lllPT8_llli,"axG",@progbits,_ZL30rocblas_trmm_outofplace_kernelIdLi32ELi2ELb0ELb1ELb1ELb0EdKddEv17rocblas_diagonal_iiT6_lPT7_lllS4_lllPT8_llli,comdat
	.globl	_ZL30rocblas_trmm_outofplace_kernelIdLi32ELi2ELb0ELb1ELb1ELb0EdKddEv17rocblas_diagonal_iiT6_lPT7_lllS4_lllPT8_llli ; -- Begin function _ZL30rocblas_trmm_outofplace_kernelIdLi32ELi2ELb0ELb1ELb1ELb0EdKddEv17rocblas_diagonal_iiT6_lPT7_lllS4_lllPT8_llli
	.p2align	8
	.type	_ZL30rocblas_trmm_outofplace_kernelIdLi32ELi2ELb0ELb1ELb1ELb0EdKddEv17rocblas_diagonal_iiT6_lPT7_lllS4_lllPT8_llli,@function
_ZL30rocblas_trmm_outofplace_kernelIdLi32ELi2ELb0ELb1ELb1ELb0EdKddEv17rocblas_diagonal_iiT6_lPT7_lllS4_lllPT8_llli: ; @_ZL30rocblas_trmm_outofplace_kernelIdLi32ELi2ELb0ELb1ELb1ELb0EdKddEv17rocblas_diagonal_iiT6_lPT7_lllS4_lllPT8_llli
; %bb.0:
	s_load_dwordx2 s[28:29], s[4:5], 0x10
	s_waitcnt lgkmcnt(0)
	v_cmp_eq_f64_e64 s[0:1], s[28:29], 0
	s_and_b64 vcc, exec, s[0:1]
	s_cbranch_vccnz .LBB55_63
; %bb.1:
	s_load_dwordx4 s[24:27], s[4:5], 0x0
	s_waitcnt lgkmcnt(0)
	s_add_i32 s0, s26, -1
	s_ashr_i32 s1, s0, 31
	s_lshr_b32 s1, s1, 27
	s_add_i32 s0, s0, s1
	s_ashr_i32 s33, s0, 5
	s_cmp_gt_i32 s7, s33
	s_cbranch_scc1 .LBB55_63
; %bb.2:
	s_load_dwordx16 s[36:51], s[4:5], 0x20
	s_load_dwordx8 s[16:23], s[4:5], 0x60
	v_and_b32_e32 v4, 0x3ff, v0
	v_bfe_u32 v50, v0, 10, 10
	v_lshl_add_u32 v0, s6, 5, v4
	s_waitcnt lgkmcnt(0)
	s_mul_i32 s1, s8, s51
	s_mul_hi_u32 s2, s8, s50
	s_mul_i32 s0, s8, s50
	s_add_i32 s1, s2, s1
	s_lshl_b64 s[0:1], s[0:1], 3
	s_add_u32 s2, s44, s0
	s_addc_u32 s3, s45, s1
	s_lshl_b64 s[0:1], s[46:47], 3
	s_add_u32 s2, s2, s0
	s_addc_u32 s3, s3, s1
	s_mul_i32 s0, s8, s23
	s_mul_hi_u32 s1, s8, s22
	s_add_i32 s1, s1, s0
	s_mul_i32 s0, s8, s22
	s_lshl_b64 s[0:1], s[0:1], 3
	s_add_u32 s9, s16, s0
	s_addc_u32 s10, s17, s1
	s_lshl_b64 s[0:1], s[18:19], 3
	s_add_u32 s56, s9, s0
	s_addc_u32 s57, s10, s1
	s_cmpk_eq_i32 s24, 0x84
	s_cselect_b64 s[22:23], -1, 0
	s_ashr_i32 s27, s26, 31
	s_ashr_i32 s0, s25, 31
	s_lshl_b64 s[30:31], s[40:41], 8
	s_lshl_b64 s[34:35], s[48:49], 8
	s_load_dword s6, s[4:5], 0x8c
	v_ashrrev_i32_e32 v1, 31, v0
	s_add_u32 s44, s26, -16
	v_lshlrev_b64 v[8:9], 3, v[0:1]
	s_addc_u32 s45, s27, -1
	s_lshl_b32 s9, s7, 5
	v_mov_b32_e32 v2, s3
	v_add_co_u32_e32 v10, vcc, s2, v8
	v_add_u32_e32 v14, s9, v4
	v_add_u32_e32 v16, s9, v50
	s_mul_i32 s9, s43, s8
	s_mul_hi_u32 s10, s42, s8
	v_addc_co_u32_e32 v11, vcc, v2, v9, vcc
	v_add_u32_e32 v12, 16, v0
	s_add_i32 s9, s10, s9
	s_mul_i32 s8, s42, s8
	v_sub_co_u32_e32 v2, vcc, s25, v0
	v_cmp_gt_i32_e64 s[4:5], s25, v0
	v_cmp_gt_i32_e64 s[16:17], s25, v12
	s_waitcnt lgkmcnt(0)
	s_lshl_b32 s58, s6, 5
	s_lshl_b64 s[24:25], s[48:49], 3
	s_lshl_b64 s[8:9], s[8:9], 3
	;; [unrolled: 1-line block ×3, first 2 shown]
	v_mov_b32_e32 v3, s0
	s_add_u32 s8, s8, s10
	v_subb_co_u32_e32 v3, vcc, v3, v1, vcc
	v_lshlrev_b32_e32 v1, 3, v4
	s_addc_u32 s9, s9, s11
	v_lshlrev_b32_e32 v51, 8, v50
	v_or_b32_e32 v53, 0x2000, v1
	s_add_u32 s36, s36, s8
	v_add_u32_e32 v52, v51, v1
	v_cmp_gt_i64_e64 s[0:1], 1, v[2:3]
	v_add_u32_e32 v54, v53, v51
	v_cmp_gt_i64_e64 s[2:3], 17, v[2:3]
	v_ashrrev_i32_e32 v13, 31, v12
	s_addc_u32 s37, s37, s9
	s_lshl_b64 s[38:39], s[40:41], 3
	s_movk_i32 s59, 0x80
	v_mov_b32_e32 v18, 0
	v_mov_b32_e32 v19, 0x3ff00000
	s_branch .LBB55_4
.LBB55_3:                               ;   in Loop: Header=BB55_4 Depth=1
	s_or_b64 exec, exec, s[8:9]
	s_add_i32 s7, s6, s7
	v_add_u32_e32 v14, s58, v14
	s_cmp_le_i32 s7, s33
	v_add_u32_e32 v16, s58, v16
	s_cbranch_scc0 .LBB55_63
.LBB55_4:                               ; =>This Loop Header: Depth=1
                                        ;     Child Loop BB55_7 Depth 2
	s_lshl_b32 s8, s7, 5
	v_add_u32_e32 v20, s8, v50
	s_sub_i32 s60, s26, s8
	v_pk_mov_b32 v[34:35], 0, 0
	v_ashrrev_i32_e32 v15, 31, v14
	v_ashrrev_i32_e32 v17, 31, v16
	;; [unrolled: 1-line block ×3, first 2 shown]
	s_cmp_lt_i32 s60, 1
	v_pk_mov_b32 v[28:29], v[34:35], v[34:35] op_sel:[0,1]
	v_pk_mov_b32 v[24:25], v[34:35], v[34:35] op_sel:[0,1]
	;; [unrolled: 1-line block ×3, first 2 shown]
	s_cbranch_scc1 .LBB55_55
; %bb.5:                                ;   in Loop: Header=BB55_4 Depth=1
	v_mov_b32_e32 v0, 0x80
	v_mov_b32_e32 v1, 0
	v_sub_co_u32_e32 v26, vcc, v16, v14
	v_mad_u64_u32 v[30:31], s[8:9], s24, v16, v[0:1]
	v_mul_lo_u32 v2, s24, v17
	v_mul_lo_u32 v3, s25, v16
	v_subb_co_u32_e32 v27, vcc, v17, v15, vcc
	v_add3_u32 v31, v3, v31, v2
	v_lshlrev_b64 v[2:3], 3, v[14:15]
	v_add_co_u32_e32 v4, vcc, 0x80, v2
	v_addc_co_u32_e32 v2, vcc, 0, v3, vcc
	v_mul_lo_u32 v5, s40, v2
	v_pk_mov_b32 v[2:3], s[36:37], s[36:37] op_sel:[0,1]
	v_lshlrev_b64 v[32:33], 3, v[16:17]
	v_mad_u64_u32 v[36:37], s[8:9], s40, v4, v[2:3]
	v_mad_u64_u32 v[38:39], s[8:9], s38, v14, v[2:3]
	v_mul_lo_u32 v2, s38, v15
	v_mul_lo_u32 v3, s39, v14
	v_add3_u32 v39, v3, v39, v2
	v_add_co_u32_e32 v2, vcc, s59, v32
	v_mad_u64_u32 v[40:41], s[8:9], s48, v2, v[0:1]
	v_add_co_u32_e64 v44, s[10:11], 16, v26
	v_addc_co_u32_e32 v3, vcc, 0, v33, vcc
	v_add_co_u32_e64 v42, s[8:9], 16, v20
	v_addc_co_u32_e64 v45, s[10:11], 0, v27, s[10:11]
	v_mul_lo_u32 v6, s41, v4
	v_mul_lo_u32 v3, s48, v3
	;; [unrolled: 1-line block ×3, first 2 shown]
	v_addc_co_u32_e64 v43, s[8:9], 0, v21, s[8:9]
	v_add_co_u32_e64 v46, s[10:11], -16, v26
	v_pk_mov_b32 v[22:23], 0, 0
	v_add3_u32 v37, v6, v37, v5
	v_add3_u32 v41, v4, v41, v3
	v_cmp_le_i32_e32 vcc, s26, v20
	v_cmp_le_i64_e64 s[8:9], s[26:27], v[42:43]
	v_addc_co_u32_e64 v47, s[10:11], -1, v27, s[10:11]
	s_mov_b64 s[42:43], 0
	v_pk_mov_b32 v[48:49], v[10:11], v[10:11] op_sel:[0,1]
	v_pk_mov_b32 v[24:25], v[22:23], v[22:23] op_sel:[0,1]
	;; [unrolled: 1-line block ×4, first 2 shown]
	s_branch .LBB55_7
.LBB55_6:                               ;   in Loop: Header=BB55_7 Depth=2
	s_or_b64 exec, exec, s[10:11]
	s_waitcnt lgkmcnt(0)
	s_barrier
	ds_read2_b64 v[56:59], v53 offset1:16
	ds_read_b128 v[60:63], v51
	ds_read_b128 v[64:67], v51 offset:16
	ds_read_b128 v[4:7], v51 offset:32
	;; [unrolled: 1-line block ×4, first 2 shown]
	ds_read2_b64 v[72:75], v53 offset0:32 offset1:48
	s_waitcnt lgkmcnt(5)
	v_fmac_f64_e32 v[34:35], v[56:57], v[60:61]
	v_fmac_f64_e32 v[28:29], v[58:59], v[60:61]
	ds_read_b128 v[76:79], v51 offset:4112
	s_waitcnt lgkmcnt(2)
	v_fmac_f64_e32 v[24:25], v[56:57], v[68:69]
	v_fmac_f64_e32 v[22:23], v[58:59], v[68:69]
	ds_read2_b64 v[56:59], v53 offset0:64 offset1:80
	s_waitcnt lgkmcnt(2)
	v_fmac_f64_e32 v[34:35], v[72:73], v[62:63]
	v_fmac_f64_e32 v[28:29], v[74:75], v[62:63]
	ds_read2_b64 v[60:63], v53 offset0:96 offset1:112
	v_fmac_f64_e32 v[24:25], v[72:73], v[70:71]
	v_fmac_f64_e32 v[22:23], v[74:75], v[70:71]
	ds_read_b128 v[68:71], v51 offset:4144
	s_waitcnt lgkmcnt(2)
	v_fmac_f64_e32 v[34:35], v[56:57], v[64:65]
	v_fmac_f64_e32 v[28:29], v[58:59], v[64:65]
	;; [unrolled: 1-line block ×4, first 2 shown]
	s_waitcnt lgkmcnt(1)
	v_fmac_f64_e32 v[34:35], v[60:61], v[66:67]
	ds_read2_b64 v[56:59], v53 offset0:128 offset1:144
	v_fmac_f64_e32 v[28:29], v[62:63], v[66:67]
	v_fmac_f64_e32 v[24:25], v[60:61], v[78:79]
	;; [unrolled: 1-line block ×3, first 2 shown]
	ds_read_b128 v[60:63], v51 offset:4128
	ds_read2_b64 v[64:67], v53 offset0:160 offset1:176
	s_waitcnt lgkmcnt(2)
	v_fmac_f64_e32 v[34:35], v[56:57], v[4:5]
	v_fmac_f64_e32 v[28:29], v[58:59], v[4:5]
	v_add_u32_e32 v55, 0x800, v53
	s_waitcnt lgkmcnt(1)
	v_fmac_f64_e32 v[24:25], v[56:57], v[60:61]
	v_fmac_f64_e32 v[22:23], v[58:59], v[60:61]
	ds_read2_b64 v[56:59], v53 offset0:192 offset1:208
	s_waitcnt lgkmcnt(1)
	v_fmac_f64_e32 v[34:35], v[64:65], v[6:7]
	v_fmac_f64_e32 v[28:29], v[66:67], v[6:7]
	ds_read2_b64 v[4:7], v53 offset0:224 offset1:240
	v_fmac_f64_e32 v[24:25], v[64:65], v[62:63]
	v_fmac_f64_e32 v[22:23], v[66:67], v[62:63]
	s_waitcnt lgkmcnt(1)
	v_fmac_f64_e32 v[34:35], v[56:57], v[0:1]
	v_fmac_f64_e32 v[28:29], v[58:59], v[0:1]
	;; [unrolled: 1-line block ×4, first 2 shown]
	s_waitcnt lgkmcnt(0)
	v_fmac_f64_e32 v[34:35], v[4:5], v[2:3]
	v_fmac_f64_e32 v[28:29], v[6:7], v[2:3]
	ds_read2_b64 v[0:3], v55 offset1:16
	ds_read_b128 v[56:59], v51 offset:64
	v_fmac_f64_e32 v[24:25], v[4:5], v[70:71]
	v_fmac_f64_e32 v[22:23], v[6:7], v[70:71]
	ds_read_b128 v[4:7], v51 offset:80
	ds_read_b128 v[60:63], v51 offset:4160
	ds_read2_b64 v[64:67], v55 offset0:32 offset1:48
	s_waitcnt lgkmcnt(3)
	v_fmac_f64_e32 v[34:35], v[0:1], v[56:57]
	v_fmac_f64_e32 v[28:29], v[2:3], v[56:57]
	ds_read_b128 v[68:71], v51 offset:4176
	s_waitcnt lgkmcnt(2)
	v_fmac_f64_e32 v[24:25], v[0:1], v[60:61]
	v_fmac_f64_e32 v[22:23], v[2:3], v[60:61]
	ds_read2_b64 v[0:3], v55 offset0:64 offset1:80
	s_waitcnt lgkmcnt(2)
	v_fmac_f64_e32 v[34:35], v[64:65], v[58:59]
	v_fmac_f64_e32 v[28:29], v[66:67], v[58:59]
	ds_read2_b64 v[56:59], v55 offset0:96 offset1:112
	v_fmac_f64_e32 v[24:25], v[64:65], v[62:63]
	v_fmac_f64_e32 v[22:23], v[66:67], v[62:63]
	s_waitcnt lgkmcnt(1)
	v_fmac_f64_e32 v[34:35], v[0:1], v[4:5]
	v_fmac_f64_e32 v[28:29], v[2:3], v[4:5]
	;; [unrolled: 1-line block ×4, first 2 shown]
	s_waitcnt lgkmcnt(0)
	v_fmac_f64_e32 v[34:35], v[56:57], v[6:7]
	v_fmac_f64_e32 v[28:29], v[58:59], v[6:7]
	ds_read2_b64 v[0:3], v55 offset0:128 offset1:144
	ds_read_b128 v[4:7], v51 offset:96
	v_fmac_f64_e32 v[24:25], v[56:57], v[70:71]
	v_fmac_f64_e32 v[22:23], v[58:59], v[70:71]
	ds_read_b128 v[56:59], v51 offset:112
	ds_read_b128 v[60:63], v51 offset:4192
	ds_read2_b64 v[64:67], v55 offset0:160 offset1:176
	s_waitcnt lgkmcnt(3)
	v_fmac_f64_e32 v[34:35], v[0:1], v[4:5]
	v_fmac_f64_e32 v[28:29], v[2:3], v[4:5]
	ds_read_b128 v[68:71], v51 offset:4208
	s_waitcnt lgkmcnt(2)
	v_fmac_f64_e32 v[24:25], v[0:1], v[60:61]
	v_fmac_f64_e32 v[22:23], v[2:3], v[60:61]
	ds_read2_b64 v[0:3], v55 offset0:192 offset1:208
	s_waitcnt lgkmcnt(2)
	v_fmac_f64_e32 v[34:35], v[64:65], v[6:7]
	v_fmac_f64_e32 v[28:29], v[66:67], v[6:7]
	ds_read2_b64 v[4:7], v55 offset0:224 offset1:240
	v_fmac_f64_e32 v[24:25], v[64:65], v[62:63]
	v_fmac_f64_e32 v[22:23], v[66:67], v[62:63]
	s_waitcnt lgkmcnt(1)
	v_fmac_f64_e32 v[34:35], v[0:1], v[56:57]
	v_fmac_f64_e32 v[28:29], v[2:3], v[56:57]
	;; [unrolled: 1-line block ×4, first 2 shown]
	v_add_u32_e32 v55, 0x1000, v53
	s_waitcnt lgkmcnt(0)
	v_fmac_f64_e32 v[34:35], v[4:5], v[58:59]
	v_fmac_f64_e32 v[28:29], v[6:7], v[58:59]
	ds_read2_b64 v[0:3], v55 offset1:16
	ds_read_b128 v[56:59], v51 offset:128
	v_fmac_f64_e32 v[24:25], v[4:5], v[70:71]
	v_fmac_f64_e32 v[22:23], v[6:7], v[70:71]
	ds_read_b128 v[4:7], v51 offset:144
	ds_read_b128 v[60:63], v51 offset:4224
	ds_read2_b64 v[64:67], v55 offset0:32 offset1:48
	s_waitcnt lgkmcnt(3)
	v_fmac_f64_e32 v[34:35], v[0:1], v[56:57]
	v_fmac_f64_e32 v[28:29], v[2:3], v[56:57]
	ds_read_b128 v[68:71], v51 offset:4240
	s_waitcnt lgkmcnt(2)
	v_fmac_f64_e32 v[24:25], v[0:1], v[60:61]
	v_fmac_f64_e32 v[22:23], v[2:3], v[60:61]
	ds_read2_b64 v[0:3], v55 offset0:64 offset1:80
	s_waitcnt lgkmcnt(2)
	v_fmac_f64_e32 v[34:35], v[64:65], v[58:59]
	v_fmac_f64_e32 v[28:29], v[66:67], v[58:59]
	ds_read2_b64 v[56:59], v55 offset0:96 offset1:112
	v_fmac_f64_e32 v[24:25], v[64:65], v[62:63]
	v_fmac_f64_e32 v[22:23], v[66:67], v[62:63]
	s_waitcnt lgkmcnt(1)
	v_fmac_f64_e32 v[34:35], v[0:1], v[4:5]
	v_fmac_f64_e32 v[28:29], v[2:3], v[4:5]
	;; [unrolled: 1-line block ×4, first 2 shown]
	s_waitcnt lgkmcnt(0)
	v_fmac_f64_e32 v[34:35], v[56:57], v[6:7]
	v_fmac_f64_e32 v[28:29], v[58:59], v[6:7]
	ds_read2_b64 v[0:3], v55 offset0:128 offset1:144
	ds_read_b128 v[4:7], v51 offset:160
	v_fmac_f64_e32 v[24:25], v[56:57], v[70:71]
	v_fmac_f64_e32 v[22:23], v[58:59], v[70:71]
	ds_read_b128 v[56:59], v51 offset:176
	ds_read_b128 v[60:63], v51 offset:4256
	ds_read2_b64 v[64:67], v55 offset0:160 offset1:176
	s_waitcnt lgkmcnt(3)
	v_fmac_f64_e32 v[34:35], v[0:1], v[4:5]
	v_fmac_f64_e32 v[28:29], v[2:3], v[4:5]
	ds_read_b128 v[68:71], v51 offset:4272
	s_waitcnt lgkmcnt(2)
	v_fmac_f64_e32 v[24:25], v[0:1], v[60:61]
	v_fmac_f64_e32 v[22:23], v[2:3], v[60:61]
	ds_read2_b64 v[0:3], v55 offset0:192 offset1:208
	s_waitcnt lgkmcnt(2)
	v_fmac_f64_e32 v[34:35], v[64:65], v[6:7]
	v_fmac_f64_e32 v[28:29], v[66:67], v[6:7]
	ds_read2_b64 v[4:7], v55 offset0:224 offset1:240
	v_fmac_f64_e32 v[24:25], v[64:65], v[62:63]
	v_fmac_f64_e32 v[22:23], v[66:67], v[62:63]
	s_waitcnt lgkmcnt(1)
	v_fmac_f64_e32 v[34:35], v[0:1], v[56:57]
	v_fmac_f64_e32 v[28:29], v[2:3], v[56:57]
	;; [unrolled: 1-line block ×4, first 2 shown]
	v_add_u32_e32 v55, 0x1800, v53
	s_waitcnt lgkmcnt(0)
	v_fmac_f64_e32 v[34:35], v[4:5], v[58:59]
	v_fmac_f64_e32 v[28:29], v[6:7], v[58:59]
	ds_read2_b64 v[0:3], v55 offset1:16
	ds_read_b128 v[56:59], v51 offset:192
	v_fmac_f64_e32 v[24:25], v[4:5], v[70:71]
	v_fmac_f64_e32 v[22:23], v[6:7], v[70:71]
	ds_read_b128 v[4:7], v51 offset:208
	ds_read_b128 v[60:63], v51 offset:4288
	ds_read2_b64 v[64:67], v55 offset0:32 offset1:48
	s_waitcnt lgkmcnt(3)
	v_fmac_f64_e32 v[34:35], v[0:1], v[56:57]
	v_fmac_f64_e32 v[28:29], v[2:3], v[56:57]
	ds_read_b128 v[68:71], v51 offset:4304
	s_waitcnt lgkmcnt(2)
	v_fmac_f64_e32 v[24:25], v[0:1], v[60:61]
	v_fmac_f64_e32 v[22:23], v[2:3], v[60:61]
	ds_read2_b64 v[0:3], v55 offset0:64 offset1:80
	s_waitcnt lgkmcnt(2)
	v_fmac_f64_e32 v[34:35], v[64:65], v[58:59]
	v_fmac_f64_e32 v[28:29], v[66:67], v[58:59]
	ds_read2_b64 v[56:59], v55 offset0:96 offset1:112
	v_fmac_f64_e32 v[24:25], v[64:65], v[62:63]
	v_fmac_f64_e32 v[22:23], v[66:67], v[62:63]
	s_waitcnt lgkmcnt(1)
	v_fmac_f64_e32 v[34:35], v[0:1], v[4:5]
	v_fmac_f64_e32 v[28:29], v[2:3], v[4:5]
	;; [unrolled: 1-line block ×4, first 2 shown]
	s_waitcnt lgkmcnt(0)
	v_fmac_f64_e32 v[34:35], v[56:57], v[6:7]
	v_fmac_f64_e32 v[28:29], v[58:59], v[6:7]
	ds_read2_b64 v[0:3], v55 offset0:128 offset1:144
	ds_read_b128 v[4:7], v51 offset:224
	v_fmac_f64_e32 v[24:25], v[56:57], v[70:71]
	v_fmac_f64_e32 v[22:23], v[58:59], v[70:71]
	ds_read_b128 v[56:59], v51 offset:240
	ds_read_b128 v[60:63], v51 offset:4320
	ds_read2_b64 v[64:67], v55 offset0:160 offset1:176
	s_waitcnt lgkmcnt(3)
	v_fmac_f64_e32 v[34:35], v[0:1], v[4:5]
	v_fmac_f64_e32 v[28:29], v[2:3], v[4:5]
	ds_read_b128 v[68:71], v51 offset:4336
	s_waitcnt lgkmcnt(2)
	v_fmac_f64_e32 v[24:25], v[0:1], v[60:61]
	v_fmac_f64_e32 v[22:23], v[2:3], v[60:61]
	ds_read2_b64 v[0:3], v55 offset0:192 offset1:208
	s_waitcnt lgkmcnt(2)
	v_fmac_f64_e32 v[34:35], v[64:65], v[6:7]
	v_fmac_f64_e32 v[24:25], v[64:65], v[62:63]
	;; [unrolled: 1-line block ×3, first 2 shown]
	ds_read2_b64 v[4:7], v55 offset0:224 offset1:240
	s_waitcnt lgkmcnt(1)
	v_fmac_f64_e32 v[34:35], v[0:1], v[56:57]
	v_fmac_f64_e32 v[24:25], v[0:1], v[68:69]
	v_mov_b32_e32 v0, s35
	v_add_co_u32_e64 v48, s[10:11], s34, v48
	v_addc_co_u32_e64 v49, s[10:11], v49, v0, s[10:11]
	v_mov_b32_e32 v0, s31
	v_add_co_u32_e64 v36, s[10:11], s30, v36
	v_fmac_f64_e32 v[22:23], v[66:67], v[62:63]
	s_add_u32 s42, s42, 32
	v_addc_co_u32_e64 v37, s[10:11], v37, v0, s[10:11]
	v_fmac_f64_e32 v[28:29], v[2:3], v[56:57]
	v_fmac_f64_e32 v[22:23], v[2:3], v[68:69]
	s_addc_u32 s43, s43, 0
	v_add_co_u32_e64 v38, s[10:11], s30, v38
	s_waitcnt lgkmcnt(0)
	v_fmac_f64_e32 v[34:35], v[4:5], v[58:59]
	v_fmac_f64_e32 v[28:29], v[6:7], v[58:59]
	;; [unrolled: 1-line block ×4, first 2 shown]
	s_cmp_ge_i32 s42, s60
	v_addc_co_u32_e64 v39, s[10:11], v39, v0, s[10:11]
	s_barrier
	s_cbranch_scc1 .LBB55_55
.LBB55_7:                               ;   Parent Loop BB55_4 Depth=1
                                        ; =>  This Inner Loop Header: Depth=2
	v_mov_b32_e32 v0, s43
	v_add_co_u32_e64 v2, s[10:11], s42, v14
	v_addc_co_u32_e64 v3, s[10:11], v15, v0, s[10:11]
	v_add_co_u32_e64 v0, s[10:11], v38, v32
	v_addc_co_u32_e64 v1, s[10:11], v39, v33, s[10:11]
	v_cmp_eq_u64_e64 s[10:11], s[42:43], v[26:27]
	s_and_b64 s[50:51], s[22:23], s[10:11]
	v_cmp_lt_i64_e64 s[10:11], v[2:3], v[20:21]
	v_cmp_le_i64_e64 s[12:13], s[26:27], v[2:3]
	s_or_b64 s[14:15], vcc, s[10:11]
	s_or_b64 s[14:15], s[12:13], s[14:15]
	s_or_b64 s[14:15], s[14:15], s[50:51]
	s_xor_b64 s[14:15], s[14:15], -1
	s_and_saveexec_b64 s[18:19], s[14:15]
	s_xor_b64 s[14:15], exec, s[18:19]
	s_cbranch_execz .LBB55_9
; %bb.8:                                ;   in Loop: Header=BB55_7 Depth=2
	global_load_dwordx2 v[4:5], v[0:1], off
	s_waitcnt vmcnt(0)
	ds_write_b64 v52, v[4:5]
.LBB55_9:                               ;   in Loop: Header=BB55_7 Depth=2
	s_or_saveexec_b64 s[14:15], s[14:15]
	s_xor_b64 s[46:47], s[50:51], -1
	s_xor_b64 exec, exec, s[14:15]
	s_cbranch_execz .LBB55_15
; %bb.10:                               ;   in Loop: Header=BB55_7 Depth=2
	s_and_saveexec_b64 s[18:19], s[46:47]
	s_xor_b64 s[18:19], exec, s[18:19]
	s_cbranch_execz .LBB55_12
; %bb.11:                               ;   in Loop: Header=BB55_7 Depth=2
	v_mov_b32_e32 v4, v18
	v_mov_b32_e32 v5, v18
	ds_write_b64 v52, v[4:5]
.LBB55_12:                              ;   in Loop: Header=BB55_7 Depth=2
	s_andn2_saveexec_b64 s[18:19], s[18:19]
	s_cbranch_execz .LBB55_14
; %bb.13:                               ;   in Loop: Header=BB55_7 Depth=2
	ds_write_b64 v52, v[18:19]
.LBB55_14:                              ;   in Loop: Header=BB55_7 Depth=2
	s_or_b64 exec, exec, s[18:19]
.LBB55_15:                              ;   in Loop: Header=BB55_7 Depth=2
	s_or_b64 exec, exec, s[14:15]
	v_add_co_u32_e64 v4, s[14:15], 16, v2
	v_addc_co_u32_e64 v5, s[14:15], 0, v3, s[14:15]
	v_cmp_eq_u64_e64 s[14:15], s[42:43], v[46:47]
	v_cmp_lt_i64_e64 s[18:19], v[4:5], v[20:21]
	s_and_b64 s[52:53], s[22:23], s[14:15]
	v_cmp_le_i64_e64 s[14:15], s[26:27], v[4:5]
	s_or_b64 s[18:19], vcc, s[18:19]
	s_or_b64 s[18:19], s[14:15], s[18:19]
	s_or_b64 s[18:19], s[18:19], s[52:53]
	s_xor_b64 s[18:19], s[18:19], -1
	s_and_saveexec_b64 s[54:55], s[18:19]
	s_xor_b64 s[54:55], exec, s[54:55]
	s_cbranch_execz .LBB55_17
; %bb.16:                               ;   in Loop: Header=BB55_7 Depth=2
	v_add_co_u32_e64 v4, s[18:19], v36, v32
	v_addc_co_u32_e64 v5, s[18:19], v37, v33, s[18:19]
	global_load_dwordx2 v[4:5], v[4:5], off
	s_waitcnt vmcnt(0)
	ds_write_b64 v52, v[4:5] offset:128
.LBB55_17:                              ;   in Loop: Header=BB55_7 Depth=2
	s_andn2_saveexec_b64 s[18:19], s[54:55]
	s_cbranch_execz .LBB55_23
; %bb.18:                               ;   in Loop: Header=BB55_7 Depth=2
	s_xor_b64 s[52:53], s[52:53], -1
	s_and_saveexec_b64 s[54:55], s[52:53]
	s_xor_b64 s[52:53], exec, s[54:55]
	s_cbranch_execz .LBB55_20
; %bb.19:                               ;   in Loop: Header=BB55_7 Depth=2
	v_mov_b32_e32 v4, v18
	v_mov_b32_e32 v5, v18
	ds_write_b64 v52, v[4:5] offset:128
.LBB55_20:                              ;   in Loop: Header=BB55_7 Depth=2
	s_andn2_saveexec_b64 s[52:53], s[52:53]
	s_cbranch_execz .LBB55_22
; %bb.21:                               ;   in Loop: Header=BB55_7 Depth=2
	ds_write_b64 v52, v[18:19] offset:128
.LBB55_22:                              ;   in Loop: Header=BB55_7 Depth=2
	s_or_b64 exec, exec, s[52:53]
.LBB55_23:                              ;   in Loop: Header=BB55_7 Depth=2
	s_or_b64 exec, exec, s[18:19]
	v_cmp_eq_u64_e64 s[18:19], s[42:43], v[44:45]
	s_and_b64 s[52:53], s[22:23], s[18:19]
	v_cmp_lt_i64_e64 s[18:19], v[2:3], v[42:43]
	s_or_b64 s[18:19], s[8:9], s[18:19]
	s_or_b64 s[18:19], s[18:19], s[52:53]
	;; [unrolled: 1-line block ×3, first 2 shown]
	s_xor_b64 s[12:13], s[12:13], -1
	s_and_saveexec_b64 s[18:19], s[12:13]
	s_xor_b64 s[12:13], exec, s[18:19]
	s_cbranch_execz .LBB55_25
; %bb.24:                               ;   in Loop: Header=BB55_7 Depth=2
	global_load_dwordx2 v[0:1], v[0:1], off offset:128
	s_waitcnt vmcnt(0)
	ds_write_b64 v52, v[0:1] offset:4096
.LBB55_25:                              ;   in Loop: Header=BB55_7 Depth=2
	s_andn2_saveexec_b64 s[12:13], s[12:13]
	s_cbranch_execz .LBB55_31
; %bb.26:                               ;   in Loop: Header=BB55_7 Depth=2
	s_xor_b64 s[18:19], s[52:53], -1
	s_and_saveexec_b64 s[52:53], s[18:19]
	s_xor_b64 s[18:19], exec, s[52:53]
	s_cbranch_execz .LBB55_28
; %bb.27:                               ;   in Loop: Header=BB55_7 Depth=2
	v_mov_b32_e32 v0, v18
	v_mov_b32_e32 v1, v18
	ds_write_b64 v52, v[0:1] offset:4096
.LBB55_28:                              ;   in Loop: Header=BB55_7 Depth=2
	s_andn2_saveexec_b64 s[18:19], s[18:19]
	s_cbranch_execz .LBB55_30
; %bb.29:                               ;   in Loop: Header=BB55_7 Depth=2
	ds_write_b64 v52, v[18:19] offset:4096
.LBB55_30:                              ;   in Loop: Header=BB55_7 Depth=2
	s_or_b64 exec, exec, s[18:19]
.LBB55_31:                              ;   in Loop: Header=BB55_7 Depth=2
	s_or_b64 exec, exec, s[12:13]
	s_or_b64 s[10:11], s[8:9], s[10:11]
	s_or_b64 s[10:11], s[14:15], s[10:11]
	;; [unrolled: 1-line block ×3, first 2 shown]
	s_xor_b64 s[10:11], s[10:11], -1
	s_and_saveexec_b64 s[12:13], s[10:11]
	s_xor_b64 s[12:13], exec, s[12:13]
	s_cbranch_execz .LBB55_33
; %bb.32:                               ;   in Loop: Header=BB55_7 Depth=2
	v_add_co_u32_e64 v0, s[10:11], v36, v32
	v_addc_co_u32_e64 v1, s[10:11], v37, v33, s[10:11]
	global_load_dwordx2 v[0:1], v[0:1], off offset:128
	s_waitcnt vmcnt(0)
	ds_write_b64 v52, v[0:1] offset:4224
.LBB55_33:                              ;   in Loop: Header=BB55_7 Depth=2
	s_andn2_saveexec_b64 s[10:11], s[12:13]
	s_cbranch_execz .LBB55_39
; %bb.34:                               ;   in Loop: Header=BB55_7 Depth=2
	s_and_saveexec_b64 s[12:13], s[46:47]
	s_xor_b64 s[12:13], exec, s[12:13]
	s_cbranch_execz .LBB55_36
; %bb.35:                               ;   in Loop: Header=BB55_7 Depth=2
	v_mov_b32_e32 v0, v18
	v_mov_b32_e32 v1, v18
	ds_write_b64 v52, v[0:1] offset:4224
.LBB55_36:                              ;   in Loop: Header=BB55_7 Depth=2
	s_andn2_saveexec_b64 s[12:13], s[12:13]
	s_cbranch_execz .LBB55_38
; %bb.37:                               ;   in Loop: Header=BB55_7 Depth=2
	ds_write_b64 v52, v[18:19] offset:4224
.LBB55_38:                              ;   in Loop: Header=BB55_7 Depth=2
	s_or_b64 exec, exec, s[12:13]
.LBB55_39:                              ;   in Loop: Header=BB55_7 Depth=2
	s_or_b64 exec, exec, s[10:11]
	v_mov_b32_e32 v1, s43
	v_add_co_u32_e64 v0, s[10:11], s42, v16
	v_addc_co_u32_e64 v1, s[10:11], v17, v1, s[10:11]
	v_add_co_u32_e64 v2, s[10:11], v48, v30
	v_addc_co_u32_e64 v3, s[10:11], v49, v31, s[10:11]
	v_cmp_le_i64_e64 s[10:11], s[26:27], v[0:1]
	s_or_b64 s[12:13], s[10:11], s[0:1]
	s_xor_b64 s[12:13], s[12:13], -1
	s_and_saveexec_b64 s[14:15], s[12:13]
	s_xor_b64 s[12:13], exec, s[14:15]
	s_cbranch_execz .LBB55_41
; %bb.40:                               ;   in Loop: Header=BB55_7 Depth=2
	global_load_dwordx2 v[4:5], v[2:3], off offset:-128
	s_waitcnt vmcnt(0)
	ds_write_b64 v54, v[4:5]
.LBB55_41:                              ;   in Loop: Header=BB55_7 Depth=2
	s_andn2_saveexec_b64 s[12:13], s[12:13]
	s_cbranch_execz .LBB55_43
; %bb.42:                               ;   in Loop: Header=BB55_7 Depth=2
	v_mov_b32_e32 v4, v18
	v_mov_b32_e32 v5, v18
	ds_write_b64 v54, v[4:5]
.LBB55_43:                              ;   in Loop: Header=BB55_7 Depth=2
	s_or_b64 exec, exec, s[12:13]
	s_or_b64 s[10:11], s[10:11], s[2:3]
	s_xor_b64 s[10:11], s[10:11], -1
	s_and_saveexec_b64 s[12:13], s[10:11]
	s_xor_b64 s[10:11], exec, s[12:13]
	s_cbranch_execz .LBB55_45
; %bb.44:                               ;   in Loop: Header=BB55_7 Depth=2
	global_load_dwordx2 v[2:3], v[2:3], off
	s_waitcnt vmcnt(0)
	ds_write_b64 v54, v[2:3] offset:128
.LBB55_45:                              ;   in Loop: Header=BB55_7 Depth=2
	s_andn2_saveexec_b64 s[10:11], s[10:11]
	s_cbranch_execz .LBB55_47
; %bb.46:                               ;   in Loop: Header=BB55_7 Depth=2
	v_mov_b32_e32 v2, v18
	v_mov_b32_e32 v3, v18
	ds_write_b64 v54, v[2:3] offset:128
.LBB55_47:                              ;   in Loop: Header=BB55_7 Depth=2
	s_or_b64 exec, exec, s[10:11]
	v_cmp_le_i64_e64 s[10:11], s[44:45], v[0:1]
	s_or_b64 s[12:13], s[10:11], s[0:1]
	s_xor_b64 s[12:13], s[12:13], -1
	s_and_saveexec_b64 s[14:15], s[12:13]
	s_xor_b64 s[14:15], exec, s[14:15]
	s_cbranch_execz .LBB55_49
; %bb.48:                               ;   in Loop: Header=BB55_7 Depth=2
	v_add_co_u32_e64 v0, s[12:13], v48, v40
	v_addc_co_u32_e64 v1, s[12:13], v49, v41, s[12:13]
	global_load_dwordx2 v[0:1], v[0:1], off offset:-128
	s_waitcnt vmcnt(0)
	ds_write_b64 v54, v[0:1] offset:4096
.LBB55_49:                              ;   in Loop: Header=BB55_7 Depth=2
	s_andn2_saveexec_b64 s[12:13], s[14:15]
	s_cbranch_execz .LBB55_51
; %bb.50:                               ;   in Loop: Header=BB55_7 Depth=2
	v_mov_b32_e32 v0, v18
	v_mov_b32_e32 v1, v18
	ds_write_b64 v54, v[0:1] offset:4096
.LBB55_51:                              ;   in Loop: Header=BB55_7 Depth=2
	s_or_b64 exec, exec, s[12:13]
	s_or_b64 s[10:11], s[10:11], s[2:3]
	s_xor_b64 s[10:11], s[10:11], -1
	s_and_saveexec_b64 s[12:13], s[10:11]
	s_xor_b64 s[12:13], exec, s[12:13]
	s_cbranch_execz .LBB55_53
; %bb.52:                               ;   in Loop: Header=BB55_7 Depth=2
	v_add_co_u32_e64 v0, s[10:11], v48, v40
	v_addc_co_u32_e64 v1, s[10:11], v49, v41, s[10:11]
	global_load_dwordx2 v[0:1], v[0:1], off
	s_waitcnt vmcnt(0)
	ds_write_b64 v54, v[0:1] offset:4224
.LBB55_53:                              ;   in Loop: Header=BB55_7 Depth=2
	s_andn2_saveexec_b64 s[10:11], s[12:13]
	s_cbranch_execz .LBB55_6
; %bb.54:                               ;   in Loop: Header=BB55_7 Depth=2
	v_mov_b32_e32 v0, v18
	v_mov_b32_e32 v1, v18
	ds_write_b64 v54, v[0:1] offset:4224
	s_branch .LBB55_6
.LBB55_55:                              ;   in Loop: Header=BB55_4 Depth=1
	v_mul_lo_u32 v2, v21, s20
	v_mul_lo_u32 v3, v20, s21
	v_mad_u64_u32 v[0:1], s[8:9], v20, s20, 0
	v_add3_u32 v1, v1, v3, v2
	v_lshlrev_b64 v[0:1], 3, v[0:1]
	v_mov_b32_e32 v2, s57
	v_add_co_u32_e64 v0, s[8:9], s56, v0
	v_cmp_gt_i32_e32 vcc, s26, v20
	v_addc_co_u32_e64 v1, s[8:9], v2, v1, s[8:9]
	s_and_b64 s[8:9], s[4:5], vcc
	s_and_saveexec_b64 s[10:11], s[8:9]
	s_cbranch_execz .LBB55_57
; %bb.56:                               ;   in Loop: Header=BB55_4 Depth=1
	v_add_co_u32_e64 v2, s[8:9], v0, v8
	v_addc_co_u32_e64 v3, s[8:9], v1, v9, s[8:9]
	global_load_dwordx2 v[4:5], v[2:3], off
	s_waitcnt vmcnt(0)
	v_fmac_f64_e32 v[4:5], s[28:29], v[34:35]
	global_store_dwordx2 v[2:3], v[4:5], off
.LBB55_57:                              ;   in Loop: Header=BB55_4 Depth=1
	s_or_b64 exec, exec, s[10:11]
	s_and_b64 s[10:11], s[16:17], vcc
	s_and_saveexec_b64 s[8:9], s[10:11]
	s_cbranch_execz .LBB55_59
; %bb.58:                               ;   in Loop: Header=BB55_4 Depth=1
	v_lshlrev_b64 v[2:3], 3, v[12:13]
	v_add_co_u32_e32 v0, vcc, v0, v2
	v_addc_co_u32_e32 v1, vcc, v1, v3, vcc
	global_load_dwordx2 v[2:3], v[0:1], off
	s_waitcnt vmcnt(0)
	v_fmac_f64_e32 v[2:3], s[28:29], v[28:29]
	global_store_dwordx2 v[0:1], v[2:3], off
.LBB55_59:                              ;   in Loop: Header=BB55_4 Depth=1
	s_or_b64 exec, exec, s[8:9]
	v_add_u32_e32 v0, 16, v20
	v_ashrrev_i32_e32 v1, 31, v0
	v_cmp_gt_i32_e32 vcc, s26, v0
	v_mul_lo_u32 v2, v1, s20
	v_mul_lo_u32 v3, v0, s21
	v_mad_u64_u32 v[0:1], s[8:9], v0, s20, 0
	v_add3_u32 v1, v1, v3, v2
	v_lshlrev_b64 v[0:1], 3, v[0:1]
	v_mov_b32_e32 v2, s57
	v_add_co_u32_e64 v0, s[8:9], s56, v0
	v_addc_co_u32_e64 v1, s[8:9], v2, v1, s[8:9]
	s_and_b64 s[8:9], s[4:5], vcc
	s_and_saveexec_b64 s[10:11], s[8:9]
	s_cbranch_execz .LBB55_61
; %bb.60:                               ;   in Loop: Header=BB55_4 Depth=1
	v_add_co_u32_e64 v2, s[8:9], v0, v8
	v_addc_co_u32_e64 v3, s[8:9], v1, v9, s[8:9]
	global_load_dwordx2 v[4:5], v[2:3], off
	s_waitcnt vmcnt(0)
	v_fmac_f64_e32 v[4:5], s[28:29], v[24:25]
	global_store_dwordx2 v[2:3], v[4:5], off
.LBB55_61:                              ;   in Loop: Header=BB55_4 Depth=1
	s_or_b64 exec, exec, s[10:11]
	s_and_b64 s[10:11], s[16:17], vcc
	s_and_saveexec_b64 s[8:9], s[10:11]
	s_cbranch_execz .LBB55_3
; %bb.62:                               ;   in Loop: Header=BB55_4 Depth=1
	v_lshlrev_b64 v[2:3], 3, v[12:13]
	v_add_co_u32_e32 v0, vcc, v0, v2
	v_addc_co_u32_e32 v1, vcc, v1, v3, vcc
	global_load_dwordx2 v[2:3], v[0:1], off
	s_waitcnt vmcnt(0)
	v_fmac_f64_e32 v[2:3], s[28:29], v[22:23]
	global_store_dwordx2 v[0:1], v[2:3], off
	s_branch .LBB55_3
.LBB55_63:
	s_endpgm
	.section	.rodata,"a",@progbits
	.p2align	6, 0x0
	.amdhsa_kernel _ZL30rocblas_trmm_outofplace_kernelIdLi32ELi2ELb0ELb1ELb1ELb0EdKddEv17rocblas_diagonal_iiT6_lPT7_lllS4_lllPT8_llli
		.amdhsa_group_segment_fixed_size 16384
		.amdhsa_private_segment_fixed_size 0
		.amdhsa_kernarg_size 392
		.amdhsa_user_sgpr_count 6
		.amdhsa_user_sgpr_private_segment_buffer 1
		.amdhsa_user_sgpr_dispatch_ptr 0
		.amdhsa_user_sgpr_queue_ptr 0
		.amdhsa_user_sgpr_kernarg_segment_ptr 1
		.amdhsa_user_sgpr_dispatch_id 0
		.amdhsa_user_sgpr_flat_scratch_init 0
		.amdhsa_user_sgpr_kernarg_preload_length 0
		.amdhsa_user_sgpr_kernarg_preload_offset 0
		.amdhsa_user_sgpr_private_segment_size 0
		.amdhsa_uses_dynamic_stack 0
		.amdhsa_system_sgpr_private_segment_wavefront_offset 0
		.amdhsa_system_sgpr_workgroup_id_x 1
		.amdhsa_system_sgpr_workgroup_id_y 1
		.amdhsa_system_sgpr_workgroup_id_z 1
		.amdhsa_system_sgpr_workgroup_info 0
		.amdhsa_system_vgpr_workitem_id 1
		.amdhsa_next_free_vgpr 80
		.amdhsa_next_free_sgpr 61
		.amdhsa_accum_offset 80
		.amdhsa_reserve_vcc 1
		.amdhsa_reserve_flat_scratch 0
		.amdhsa_float_round_mode_32 0
		.amdhsa_float_round_mode_16_64 0
		.amdhsa_float_denorm_mode_32 3
		.amdhsa_float_denorm_mode_16_64 3
		.amdhsa_dx10_clamp 1
		.amdhsa_ieee_mode 1
		.amdhsa_fp16_overflow 0
		.amdhsa_tg_split 0
		.amdhsa_exception_fp_ieee_invalid_op 0
		.amdhsa_exception_fp_denorm_src 0
		.amdhsa_exception_fp_ieee_div_zero 0
		.amdhsa_exception_fp_ieee_overflow 0
		.amdhsa_exception_fp_ieee_underflow 0
		.amdhsa_exception_fp_ieee_inexact 0
		.amdhsa_exception_int_div_zero 0
	.end_amdhsa_kernel
	.section	.text._ZL30rocblas_trmm_outofplace_kernelIdLi32ELi2ELb0ELb1ELb1ELb0EdKddEv17rocblas_diagonal_iiT6_lPT7_lllS4_lllPT8_llli,"axG",@progbits,_ZL30rocblas_trmm_outofplace_kernelIdLi32ELi2ELb0ELb1ELb1ELb0EdKddEv17rocblas_diagonal_iiT6_lPT7_lllS4_lllPT8_llli,comdat
.Lfunc_end55:
	.size	_ZL30rocblas_trmm_outofplace_kernelIdLi32ELi2ELb0ELb1ELb1ELb0EdKddEv17rocblas_diagonal_iiT6_lPT7_lllS4_lllPT8_llli, .Lfunc_end55-_ZL30rocblas_trmm_outofplace_kernelIdLi32ELi2ELb0ELb1ELb1ELb0EdKddEv17rocblas_diagonal_iiT6_lPT7_lllS4_lllPT8_llli
                                        ; -- End function
	.section	.AMDGPU.csdata,"",@progbits
; Kernel info:
; codeLenInByte = 3432
; NumSgprs: 65
; NumVgprs: 80
; NumAgprs: 0
; TotalNumVgprs: 80
; ScratchSize: 0
; MemoryBound: 1
; FloatMode: 240
; IeeeMode: 1
; LDSByteSize: 16384 bytes/workgroup (compile time only)
; SGPRBlocks: 8
; VGPRBlocks: 9
; NumSGPRsForWavesPerEU: 65
; NumVGPRsForWavesPerEU: 80
; AccumOffset: 80
; Occupancy: 6
; WaveLimiterHint : 0
; COMPUTE_PGM_RSRC2:SCRATCH_EN: 0
; COMPUTE_PGM_RSRC2:USER_SGPR: 6
; COMPUTE_PGM_RSRC2:TRAP_HANDLER: 0
; COMPUTE_PGM_RSRC2:TGID_X_EN: 1
; COMPUTE_PGM_RSRC2:TGID_Y_EN: 1
; COMPUTE_PGM_RSRC2:TGID_Z_EN: 1
; COMPUTE_PGM_RSRC2:TIDIG_COMP_CNT: 1
; COMPUTE_PGM_RSRC3_GFX90A:ACCUM_OFFSET: 19
; COMPUTE_PGM_RSRC3_GFX90A:TG_SPLIT: 0
	.section	.text._ZL30rocblas_trmm_outofplace_kernelIdLi32ELi2ELb0ELb0ELb1ELb1EPKdS0_dEv17rocblas_diagonal_iiT6_lPT7_lllS5_lllPT8_llli,"axG",@progbits,_ZL30rocblas_trmm_outofplace_kernelIdLi32ELi2ELb0ELb0ELb1ELb1EPKdS0_dEv17rocblas_diagonal_iiT6_lPT7_lllS5_lllPT8_llli,comdat
	.globl	_ZL30rocblas_trmm_outofplace_kernelIdLi32ELi2ELb0ELb0ELb1ELb1EPKdS0_dEv17rocblas_diagonal_iiT6_lPT7_lllS5_lllPT8_llli ; -- Begin function _ZL30rocblas_trmm_outofplace_kernelIdLi32ELi2ELb0ELb0ELb1ELb1EPKdS0_dEv17rocblas_diagonal_iiT6_lPT7_lllS5_lllPT8_llli
	.p2align	8
	.type	_ZL30rocblas_trmm_outofplace_kernelIdLi32ELi2ELb0ELb0ELb1ELb1EPKdS0_dEv17rocblas_diagonal_iiT6_lPT7_lllS5_lllPT8_llli,@function
_ZL30rocblas_trmm_outofplace_kernelIdLi32ELi2ELb0ELb0ELb1ELb1EPKdS0_dEv17rocblas_diagonal_iiT6_lPT7_lllS5_lllPT8_llli: ; @_ZL30rocblas_trmm_outofplace_kernelIdLi32ELi2ELb0ELb0ELb1ELb1EPKdS0_dEv17rocblas_diagonal_iiT6_lPT7_lllS5_lllPT8_llli
; %bb.0:
	s_load_dwordx16 s[12:27], s[4:5], 0x10
	s_waitcnt lgkmcnt(0)
	s_mul_i32 s0, s8, s15
	s_mul_hi_u32 s1, s8, s14
	s_add_i32 s1, s1, s0
	s_mul_i32 s0, s8, s14
	s_lshl_b64 s[0:1], s[0:1], 3
	s_add_u32 s0, s12, s0
	s_addc_u32 s1, s13, s1
	s_load_dwordx2 s[34:35], s[0:1], 0x0
	s_waitcnt lgkmcnt(0)
	v_cmp_eq_f64_e64 s[0:1], s[34:35], 0
	s_and_b64 vcc, exec, s[0:1]
	s_cbranch_vccnz .LBB56_63
; %bb.1:
	s_load_dwordx4 s[28:31], s[4:5], 0x0
	s_waitcnt lgkmcnt(0)
	s_add_i32 s0, s30, -1
	s_ashr_i32 s1, s0, 31
	s_lshr_b32 s1, s1, 27
	s_add_i32 s0, s0, s1
	s_ashr_i32 s33, s0, 5
	s_cmp_gt_i32 s7, s33
	s_cbranch_scc1 .LBB56_63
; %bb.2:
	s_mul_i32 s0, s8, s23
	s_mul_hi_u32 s1, s8, s22
	s_add_i32 s1, s1, s0
	s_mul_i32 s0, s8, s22
	s_load_dwordx4 s[44:47], s[4:5], 0x70
	s_load_dword s48, s[4:5], 0x8c
	s_lshl_b64 s[12:13], s[0:1], 3
	s_add_u32 s0, s16, s12
	s_load_dwordx8 s[36:43], s[4:5], 0x50
	s_addc_u32 s1, s17, s13
	s_lshl_b64 s[14:15], s[18:19], 3
	s_add_u32 s2, s0, s14
	s_addc_u32 s3, s1, s15
	s_waitcnt lgkmcnt(0)
	s_mul_i32 s0, s8, s47
	s_mul_hi_u32 s1, s8, s46
	s_add_i32 s1, s1, s0
	s_mul_i32 s0, s8, s46
	s_lshl_b64 s[0:1], s[0:1], 3
	s_add_u32 s4, s40, s0
	s_addc_u32 s5, s41, s1
	s_lshl_b64 s[0:1], s[42:43], 3
	s_add_u32 s49, s4, s0
	v_and_b32_e32 v10, 0x3ff, v0
	s_addc_u32 s50, s5, s1
	v_mad_u64_u32 v[2:3], s[0:1], v10, s20, 0
	v_mov_b32_e32 v4, v3
	v_mad_u64_u32 v[4:5], s[0:1], v10, s21, v[4:5]
	v_mov_b32_e32 v3, v4
	v_lshlrev_b64 v[2:3], 3, v[2:3]
	v_mov_b32_e32 v4, s3
	v_add_co_u32_e32 v14, vcc, s2, v2
	s_cmpk_eq_i32 s28, 0x84
	v_bfe_u32 v8, v0, 10, 10
	v_lshl_add_u32 v0, s6, 5, v10
	v_addc_co_u32_e32 v15, vcc, v4, v3, vcc
	s_cselect_b64 s[22:23], -1, 0
	s_ashr_i32 s0, s29, 31
	v_ashrrev_i32_e32 v1, 31, v0
	v_mov_b32_e32 v3, s0
	v_sub_co_u32_e32 v2, vcc, s29, v0
	v_subb_co_u32_e32 v3, vcc, v3, v1, vcc
	v_sub_co_u32_e64 v59, s[10:11], 0, v10
	v_cmp_gt_i64_e32 vcc, 1, v[2:3]
	v_cmp_gt_i64_e64 s[0:1], 17, v[2:3]
	v_subb_co_u32_e64 v60, s[10:11], 0, 0, s[10:11]
	v_mad_u64_u32 v[2:3], s[10:11], s36, v8, 0
	v_mov_b32_e32 v4, v3
	s_ashr_i32 s31, s30, 31
	s_lshl_b64 s[40:41], s[20:21], 8
	s_lshl_b64 s[42:43], s[36:37], 8
	v_mad_u64_u32 v[4:5], s[10:11], s37, v8, v[4:5]
	s_add_u32 s46, s30, -16
	s_mul_i32 s9, s39, s8
	s_mul_hi_u32 s10, s38, s8
	s_addc_u32 s47, s31, -1
	s_add_i32 s9, s10, s9
	s_mul_i32 s8, s38, s8
	s_lshl_b32 s6, s48, 5
	s_lshl_b64 s[8:9], s[8:9], 3
	s_lshl_b64 s[10:11], s[26:27], 3
	s_add_u32 s8, s8, s10
	s_addc_u32 s9, s9, s11
	s_add_u32 s8, s24, s8
	v_lshlrev_b64 v[22:23], 3, v[0:1]
	s_addc_u32 s9, s25, s9
	v_cmp_gt_i32_e64 s[2:3], s29, v0
	v_add_u32_e32 v16, 16, v0
	v_mov_b32_e32 v0, s9
	v_add_co_u32_e64 v1, s[8:9], s8, v22
	v_addc_co_u32_e64 v0, s[8:9], v0, v23, s[8:9]
	s_movk_i32 s8, 0x80
	v_add_co_u32_e64 v24, s[8:9], s8, v1
	v_addc_co_u32_e64 v25, s[8:9], 0, v0, s[8:9]
	s_add_u32 s8, s16, s14
	s_addc_u32 s9, s17, s15
	s_add_u32 s8, s8, s12
	v_lshlrev_b32_e32 v6, 3, v10
	v_mov_b32_e32 v3, v4
	s_addc_u32 s9, s9, s13
	v_lshlrev_b64 v[20:21], 3, v[2:3]
	v_add_u32_e32 v2, 0x80, v6
	v_pk_mov_b32 v[0:1], s[8:9], s[8:9] op_sel:[0,1]
	v_mad_u64_u32 v[26:27], s[8:9], s20, v2, v[0:1]
	v_mov_b32_e32 v0, v27
	v_mad_u64_u32 v[0:1], s[8:9], s21, v2, v[0:1]
	v_mov_b32_e32 v27, v0
	v_mov_b32_e32 v0, 0x80
	v_lshl_add_u32 v1, v8, 3, v0
	v_mad_u64_u32 v[28:29], s[8:9], s36, v1, 0
	v_mov_b32_e32 v0, v29
	v_lshlrev_b32_e32 v11, 8, v8
	v_or_b32_e32 v57, 0x2000, v6
	v_mad_u64_u32 v[0:1], s[8:9], s37, v1, v[0:1]
	v_mov_b32_e32 v12, 0
	v_add_u32_e32 v56, v11, v6
	v_add_u32_e32 v58, v57, v11
	v_cmp_gt_i32_e64 s[4:5], s29, v16
	v_ashrrev_i32_e32 v17, 31, v16
	v_lshl_add_u32 v18, s7, 5, v8
	v_mov_b32_e32 v9, v0
	v_mov_b32_e32 v13, 0x3ff00000
	s_branch .LBB56_4
.LBB56_3:                               ;   in Loop: Header=BB56_4 Depth=1
	s_or_b64 exec, exec, s[10:11]
	s_add_i32 s7, s48, s7
	s_cmp_le_i32 s7, s33
	v_add_u32_e32 v18, s6, v18
	s_cbranch_scc0 .LBB56_63
.LBB56_4:                               ; =>This Loop Header: Depth=1
                                        ;     Child Loop BB56_7 Depth 2
	s_lshl_b32 s38, s7, 5
	v_add_u32_e32 v32, s38, v8
	v_pk_mov_b32 v[38:39], 0, 0
	v_ashrrev_i32_e32 v33, 31, v32
	s_cmp_lt_i32 s7, 0
	v_pk_mov_b32 v[36:37], v[38:39], v[38:39] op_sel:[0,1]
	v_pk_mov_b32 v[34:35], v[38:39], v[38:39] op_sel:[0,1]
	v_pk_mov_b32 v[30:31], v[38:39], v[38:39] op_sel:[0,1]
	s_cbranch_scc1 .LBB56_55
; %bb.5:                                ;   in Loop: Header=BB56_4 Depth=1
	v_ashrrev_i32_e32 v19, 31, v18
	v_add_co_u32_e64 v40, s[8:9], v59, v18
	v_addc_co_u32_e64 v41, s[8:9], v60, v19, s[8:9]
	v_add_co_u32_e64 v46, s[10:11], 16, v40
	v_add_co_u32_e64 v44, s[8:9], 16, v32
	v_addc_co_u32_e64 v47, s[10:11], 0, v41, s[10:11]
	v_addc_co_u32_e64 v45, s[8:9], 0, v33, s[8:9]
	v_add_co_u32_e64 v48, s[10:11], -16, v40
	v_pk_mov_b32 v[30:31], 0, 0
	v_lshlrev_b64 v[42:43], 3, v[18:19]
	v_cmp_le_i32_e64 s[16:17], s30, v32
	v_cmp_le_i64_e64 s[8:9], s[30:31], v[44:45]
	v_addc_co_u32_e64 v49, s[10:11], -1, v41, s[10:11]
	s_mov_b64 s[20:21], 0
	v_pk_mov_b32 v[50:51], v[14:15], v[14:15] op_sel:[0,1]
	v_pk_mov_b32 v[52:53], v[26:27], v[26:27] op_sel:[0,1]
	;; [unrolled: 1-line block ×6, first 2 shown]
	s_branch .LBB56_7
.LBB56_6:                               ;   in Loop: Header=BB56_7 Depth=2
	s_or_b64 exec, exec, s[10:11]
	s_waitcnt lgkmcnt(0)
	s_barrier
	ds_read2_b64 v[62:65], v57 offset1:16
	ds_read_b128 v[66:69], v11
	ds_read_b128 v[70:73], v11 offset:16
	ds_read_b128 v[4:7], v11 offset:32
	;; [unrolled: 1-line block ×4, first 2 shown]
	ds_read2_b64 v[78:81], v57 offset0:32 offset1:48
	s_waitcnt lgkmcnt(5)
	v_fmac_f64_e32 v[38:39], v[62:63], v[66:67]
	v_fmac_f64_e32 v[36:37], v[64:65], v[66:67]
	ds_read_b128 v[82:85], v11 offset:4112
	s_waitcnt lgkmcnt(2)
	v_fmac_f64_e32 v[34:35], v[62:63], v[74:75]
	v_fmac_f64_e32 v[30:31], v[64:65], v[74:75]
	ds_read2_b64 v[62:65], v57 offset0:64 offset1:80
	s_waitcnt lgkmcnt(2)
	v_fmac_f64_e32 v[38:39], v[78:79], v[68:69]
	v_fmac_f64_e32 v[36:37], v[80:81], v[68:69]
	ds_read2_b64 v[66:69], v57 offset0:96 offset1:112
	v_fmac_f64_e32 v[34:35], v[78:79], v[76:77]
	v_fmac_f64_e32 v[30:31], v[80:81], v[76:77]
	ds_read_b128 v[74:77], v11 offset:4144
	s_waitcnt lgkmcnt(2)
	v_fmac_f64_e32 v[38:39], v[62:63], v[70:71]
	v_fmac_f64_e32 v[36:37], v[64:65], v[70:71]
	;; [unrolled: 1-line block ×4, first 2 shown]
	s_waitcnt lgkmcnt(1)
	v_fmac_f64_e32 v[38:39], v[66:67], v[72:73]
	ds_read2_b64 v[62:65], v57 offset0:128 offset1:144
	v_fmac_f64_e32 v[36:37], v[68:69], v[72:73]
	v_fmac_f64_e32 v[34:35], v[66:67], v[84:85]
	;; [unrolled: 1-line block ×3, first 2 shown]
	ds_read_b128 v[66:69], v11 offset:4128
	ds_read2_b64 v[70:73], v57 offset0:160 offset1:176
	s_waitcnt lgkmcnt(2)
	v_fmac_f64_e32 v[38:39], v[62:63], v[4:5]
	v_fmac_f64_e32 v[36:37], v[64:65], v[4:5]
	v_add_u32_e32 v19, 0x800, v57
	s_waitcnt lgkmcnt(1)
	v_fmac_f64_e32 v[34:35], v[62:63], v[66:67]
	v_fmac_f64_e32 v[30:31], v[64:65], v[66:67]
	ds_read2_b64 v[62:65], v57 offset0:192 offset1:208
	s_waitcnt lgkmcnt(1)
	v_fmac_f64_e32 v[38:39], v[70:71], v[6:7]
	v_fmac_f64_e32 v[36:37], v[72:73], v[6:7]
	ds_read2_b64 v[4:7], v57 offset0:224 offset1:240
	v_fmac_f64_e32 v[34:35], v[70:71], v[68:69]
	v_fmac_f64_e32 v[30:31], v[72:73], v[68:69]
	s_waitcnt lgkmcnt(1)
	v_fmac_f64_e32 v[38:39], v[62:63], v[0:1]
	v_fmac_f64_e32 v[36:37], v[64:65], v[0:1]
	;; [unrolled: 1-line block ×4, first 2 shown]
	s_waitcnt lgkmcnt(0)
	v_fmac_f64_e32 v[38:39], v[4:5], v[2:3]
	v_fmac_f64_e32 v[36:37], v[6:7], v[2:3]
	ds_read2_b64 v[0:3], v19 offset1:16
	ds_read_b128 v[62:65], v11 offset:64
	v_fmac_f64_e32 v[34:35], v[4:5], v[76:77]
	v_fmac_f64_e32 v[30:31], v[6:7], v[76:77]
	ds_read_b128 v[4:7], v11 offset:80
	ds_read_b128 v[66:69], v11 offset:4160
	ds_read2_b64 v[70:73], v19 offset0:32 offset1:48
	s_waitcnt lgkmcnt(3)
	v_fmac_f64_e32 v[38:39], v[0:1], v[62:63]
	v_fmac_f64_e32 v[36:37], v[2:3], v[62:63]
	ds_read_b128 v[74:77], v11 offset:4176
	s_waitcnt lgkmcnt(2)
	v_fmac_f64_e32 v[34:35], v[0:1], v[66:67]
	v_fmac_f64_e32 v[30:31], v[2:3], v[66:67]
	ds_read2_b64 v[0:3], v19 offset0:64 offset1:80
	s_waitcnt lgkmcnt(2)
	v_fmac_f64_e32 v[38:39], v[70:71], v[64:65]
	v_fmac_f64_e32 v[36:37], v[72:73], v[64:65]
	ds_read2_b64 v[62:65], v19 offset0:96 offset1:112
	v_fmac_f64_e32 v[34:35], v[70:71], v[68:69]
	v_fmac_f64_e32 v[30:31], v[72:73], v[68:69]
	s_waitcnt lgkmcnt(1)
	v_fmac_f64_e32 v[38:39], v[0:1], v[4:5]
	v_fmac_f64_e32 v[36:37], v[2:3], v[4:5]
	v_fmac_f64_e32 v[34:35], v[0:1], v[74:75]
	v_fmac_f64_e32 v[30:31], v[2:3], v[74:75]
	s_waitcnt lgkmcnt(0)
	v_fmac_f64_e32 v[38:39], v[62:63], v[6:7]
	v_fmac_f64_e32 v[36:37], v[64:65], v[6:7]
	ds_read2_b64 v[0:3], v19 offset0:128 offset1:144
	ds_read_b128 v[4:7], v11 offset:96
	v_fmac_f64_e32 v[34:35], v[62:63], v[76:77]
	v_fmac_f64_e32 v[30:31], v[64:65], v[76:77]
	ds_read_b128 v[62:65], v11 offset:112
	ds_read_b128 v[66:69], v11 offset:4192
	ds_read2_b64 v[70:73], v19 offset0:160 offset1:176
	s_waitcnt lgkmcnt(3)
	v_fmac_f64_e32 v[38:39], v[0:1], v[4:5]
	v_fmac_f64_e32 v[36:37], v[2:3], v[4:5]
	ds_read_b128 v[74:77], v11 offset:4208
	s_waitcnt lgkmcnt(2)
	v_fmac_f64_e32 v[34:35], v[0:1], v[66:67]
	v_fmac_f64_e32 v[30:31], v[2:3], v[66:67]
	ds_read2_b64 v[0:3], v19 offset0:192 offset1:208
	s_waitcnt lgkmcnt(2)
	v_fmac_f64_e32 v[38:39], v[70:71], v[6:7]
	v_fmac_f64_e32 v[36:37], v[72:73], v[6:7]
	ds_read2_b64 v[4:7], v19 offset0:224 offset1:240
	v_fmac_f64_e32 v[34:35], v[70:71], v[68:69]
	v_fmac_f64_e32 v[30:31], v[72:73], v[68:69]
	s_waitcnt lgkmcnt(1)
	v_fmac_f64_e32 v[38:39], v[0:1], v[62:63]
	v_fmac_f64_e32 v[36:37], v[2:3], v[62:63]
	;; [unrolled: 1-line block ×4, first 2 shown]
	v_add_u32_e32 v19, 0x1000, v57
	s_waitcnt lgkmcnt(0)
	v_fmac_f64_e32 v[38:39], v[4:5], v[64:65]
	v_fmac_f64_e32 v[36:37], v[6:7], v[64:65]
	ds_read2_b64 v[0:3], v19 offset1:16
	ds_read_b128 v[62:65], v11 offset:128
	v_fmac_f64_e32 v[34:35], v[4:5], v[76:77]
	v_fmac_f64_e32 v[30:31], v[6:7], v[76:77]
	ds_read_b128 v[4:7], v11 offset:144
	ds_read_b128 v[66:69], v11 offset:4224
	ds_read2_b64 v[70:73], v19 offset0:32 offset1:48
	s_waitcnt lgkmcnt(3)
	v_fmac_f64_e32 v[38:39], v[0:1], v[62:63]
	v_fmac_f64_e32 v[36:37], v[2:3], v[62:63]
	ds_read_b128 v[74:77], v11 offset:4240
	s_waitcnt lgkmcnt(2)
	v_fmac_f64_e32 v[34:35], v[0:1], v[66:67]
	v_fmac_f64_e32 v[30:31], v[2:3], v[66:67]
	ds_read2_b64 v[0:3], v19 offset0:64 offset1:80
	s_waitcnt lgkmcnt(2)
	v_fmac_f64_e32 v[38:39], v[70:71], v[64:65]
	v_fmac_f64_e32 v[36:37], v[72:73], v[64:65]
	ds_read2_b64 v[62:65], v19 offset0:96 offset1:112
	v_fmac_f64_e32 v[34:35], v[70:71], v[68:69]
	v_fmac_f64_e32 v[30:31], v[72:73], v[68:69]
	s_waitcnt lgkmcnt(1)
	v_fmac_f64_e32 v[38:39], v[0:1], v[4:5]
	v_fmac_f64_e32 v[36:37], v[2:3], v[4:5]
	;; [unrolled: 1-line block ×4, first 2 shown]
	s_waitcnt lgkmcnt(0)
	v_fmac_f64_e32 v[38:39], v[62:63], v[6:7]
	v_fmac_f64_e32 v[36:37], v[64:65], v[6:7]
	ds_read2_b64 v[0:3], v19 offset0:128 offset1:144
	ds_read_b128 v[4:7], v11 offset:160
	v_fmac_f64_e32 v[34:35], v[62:63], v[76:77]
	v_fmac_f64_e32 v[30:31], v[64:65], v[76:77]
	ds_read_b128 v[62:65], v11 offset:176
	ds_read_b128 v[66:69], v11 offset:4256
	ds_read2_b64 v[70:73], v19 offset0:160 offset1:176
	s_waitcnt lgkmcnt(3)
	v_fmac_f64_e32 v[38:39], v[0:1], v[4:5]
	v_fmac_f64_e32 v[36:37], v[2:3], v[4:5]
	ds_read_b128 v[74:77], v11 offset:4272
	s_waitcnt lgkmcnt(2)
	v_fmac_f64_e32 v[34:35], v[0:1], v[66:67]
	v_fmac_f64_e32 v[30:31], v[2:3], v[66:67]
	ds_read2_b64 v[0:3], v19 offset0:192 offset1:208
	s_waitcnt lgkmcnt(2)
	v_fmac_f64_e32 v[38:39], v[70:71], v[6:7]
	v_fmac_f64_e32 v[36:37], v[72:73], v[6:7]
	ds_read2_b64 v[4:7], v19 offset0:224 offset1:240
	v_fmac_f64_e32 v[34:35], v[70:71], v[68:69]
	v_fmac_f64_e32 v[30:31], v[72:73], v[68:69]
	s_waitcnt lgkmcnt(1)
	v_fmac_f64_e32 v[38:39], v[0:1], v[62:63]
	v_fmac_f64_e32 v[36:37], v[2:3], v[62:63]
	;; [unrolled: 1-line block ×4, first 2 shown]
	v_add_u32_e32 v19, 0x1800, v57
	s_waitcnt lgkmcnt(0)
	v_fmac_f64_e32 v[38:39], v[4:5], v[64:65]
	v_fmac_f64_e32 v[36:37], v[6:7], v[64:65]
	ds_read2_b64 v[0:3], v19 offset1:16
	ds_read_b128 v[62:65], v11 offset:192
	v_fmac_f64_e32 v[34:35], v[4:5], v[76:77]
	v_fmac_f64_e32 v[30:31], v[6:7], v[76:77]
	ds_read_b128 v[4:7], v11 offset:208
	ds_read_b128 v[66:69], v11 offset:4288
	ds_read2_b64 v[70:73], v19 offset0:32 offset1:48
	s_waitcnt lgkmcnt(3)
	v_fmac_f64_e32 v[38:39], v[0:1], v[62:63]
	v_fmac_f64_e32 v[36:37], v[2:3], v[62:63]
	ds_read_b128 v[74:77], v11 offset:4304
	s_waitcnt lgkmcnt(2)
	v_fmac_f64_e32 v[34:35], v[0:1], v[66:67]
	v_fmac_f64_e32 v[30:31], v[2:3], v[66:67]
	ds_read2_b64 v[0:3], v19 offset0:64 offset1:80
	s_waitcnt lgkmcnt(2)
	v_fmac_f64_e32 v[38:39], v[70:71], v[64:65]
	v_fmac_f64_e32 v[36:37], v[72:73], v[64:65]
	ds_read2_b64 v[62:65], v19 offset0:96 offset1:112
	v_fmac_f64_e32 v[34:35], v[70:71], v[68:69]
	v_fmac_f64_e32 v[30:31], v[72:73], v[68:69]
	s_waitcnt lgkmcnt(1)
	v_fmac_f64_e32 v[38:39], v[0:1], v[4:5]
	v_fmac_f64_e32 v[36:37], v[2:3], v[4:5]
	;; [unrolled: 1-line block ×4, first 2 shown]
	s_waitcnt lgkmcnt(0)
	v_fmac_f64_e32 v[38:39], v[62:63], v[6:7]
	v_fmac_f64_e32 v[36:37], v[64:65], v[6:7]
	ds_read2_b64 v[0:3], v19 offset0:128 offset1:144
	ds_read_b128 v[4:7], v11 offset:224
	v_fmac_f64_e32 v[34:35], v[62:63], v[76:77]
	v_fmac_f64_e32 v[30:31], v[64:65], v[76:77]
	ds_read_b128 v[62:65], v11 offset:240
	ds_read_b128 v[66:69], v11 offset:4320
	ds_read2_b64 v[70:73], v19 offset0:160 offset1:176
	s_waitcnt lgkmcnt(3)
	v_fmac_f64_e32 v[38:39], v[0:1], v[4:5]
	v_fmac_f64_e32 v[36:37], v[2:3], v[4:5]
	ds_read_b128 v[74:77], v11 offset:4336
	s_waitcnt lgkmcnt(2)
	v_fmac_f64_e32 v[34:35], v[0:1], v[66:67]
	v_fmac_f64_e32 v[30:31], v[2:3], v[66:67]
	ds_read2_b64 v[0:3], v19 offset0:192 offset1:208
	s_waitcnt lgkmcnt(2)
	v_fmac_f64_e32 v[38:39], v[70:71], v[6:7]
	v_fmac_f64_e32 v[34:35], v[70:71], v[68:69]
	;; [unrolled: 1-line block ×3, first 2 shown]
	ds_read2_b64 v[4:7], v19 offset0:224 offset1:240
	s_waitcnt lgkmcnt(1)
	v_fmac_f64_e32 v[38:39], v[0:1], v[62:63]
	v_fmac_f64_e32 v[34:35], v[0:1], v[74:75]
	v_mov_b32_e32 v0, s43
	v_add_co_u32_e64 v54, s[10:11], s42, v54
	v_addc_co_u32_e64 v55, s[10:11], v55, v0, s[10:11]
	v_mov_b32_e32 v0, s41
	v_add_co_u32_e64 v52, s[10:11], s40, v52
	v_fmac_f64_e32 v[30:31], v[72:73], v[68:69]
	s_add_u32 s20, s20, 32
	v_addc_co_u32_e64 v53, s[10:11], v53, v0, s[10:11]
	v_fmac_f64_e32 v[36:37], v[2:3], v[62:63]
	v_fmac_f64_e32 v[30:31], v[2:3], v[74:75]
	s_addc_u32 s21, s21, 0
	s_sub_i32 s12, s20, 32
	v_add_co_u32_e64 v50, s[10:11], s40, v50
	s_waitcnt lgkmcnt(0)
	v_fmac_f64_e32 v[38:39], v[4:5], v[64:65]
	v_fmac_f64_e32 v[36:37], v[6:7], v[64:65]
	;; [unrolled: 1-line block ×4, first 2 shown]
	s_cmp_ge_i32 s12, s38
	v_addc_co_u32_e64 v51, s[10:11], v51, v0, s[10:11]
	s_barrier
	s_cbranch_scc1 .LBB56_55
.LBB56_7:                               ;   Parent Loop BB56_4 Depth=1
                                        ; =>  This Inner Loop Header: Depth=2
	v_mov_b32_e32 v0, s21
	v_add_co_u32_e64 v2, s[10:11], s20, v10
	v_addc_co_u32_e64 v3, s[10:11], 0, v0, s[10:11]
	v_add_co_u32_e64 v0, s[10:11], v50, v42
	v_addc_co_u32_e64 v1, s[10:11], v51, v43, s[10:11]
	v_cmp_eq_u64_e64 s[10:11], s[20:21], v[40:41]
	s_and_b64 s[26:27], s[22:23], s[10:11]
	v_cmp_gt_i64_e64 s[10:11], v[2:3], v[32:33]
	s_or_b64 s[14:15], s[16:17], s[10:11]
	v_cmp_le_i64_e64 s[12:13], s[30:31], v[2:3]
	s_or_b64 s[14:15], s[14:15], s[26:27]
	s_or_b64 s[14:15], s[12:13], s[14:15]
	s_xor_b64 s[14:15], s[14:15], -1
	s_and_saveexec_b64 s[18:19], s[14:15]
	s_xor_b64 s[14:15], exec, s[18:19]
	s_cbranch_execz .LBB56_9
; %bb.8:                                ;   in Loop: Header=BB56_7 Depth=2
	global_load_dwordx2 v[4:5], v[0:1], off
	s_waitcnt vmcnt(0)
	ds_write_b64 v56, v[4:5]
.LBB56_9:                               ;   in Loop: Header=BB56_7 Depth=2
	s_or_saveexec_b64 s[14:15], s[14:15]
	s_xor_b64 s[24:25], s[26:27], -1
	s_xor_b64 exec, exec, s[14:15]
	s_cbranch_execz .LBB56_15
; %bb.10:                               ;   in Loop: Header=BB56_7 Depth=2
	s_and_saveexec_b64 s[18:19], s[24:25]
	s_xor_b64 s[18:19], exec, s[18:19]
	s_cbranch_execz .LBB56_12
; %bb.11:                               ;   in Loop: Header=BB56_7 Depth=2
	v_mov_b32_e32 v4, v12
	v_mov_b32_e32 v5, v12
	ds_write_b64 v56, v[4:5]
.LBB56_12:                              ;   in Loop: Header=BB56_7 Depth=2
	s_andn2_saveexec_b64 s[18:19], s[18:19]
	s_cbranch_execz .LBB56_14
; %bb.13:                               ;   in Loop: Header=BB56_7 Depth=2
	ds_write_b64 v56, v[12:13]
.LBB56_14:                              ;   in Loop: Header=BB56_7 Depth=2
	s_or_b64 exec, exec, s[18:19]
.LBB56_15:                              ;   in Loop: Header=BB56_7 Depth=2
	s_or_b64 exec, exec, s[14:15]
	v_add_co_u32_e64 v4, s[14:15], 16, v2
	v_addc_co_u32_e64 v5, s[14:15], 0, v3, s[14:15]
	v_cmp_eq_u64_e64 s[14:15], s[20:21], v[48:49]
	v_cmp_gt_i64_e64 s[18:19], v[4:5], v[32:33]
	s_and_b64 s[28:29], s[22:23], s[14:15]
	s_or_b64 s[18:19], s[16:17], s[18:19]
	v_cmp_le_i64_e64 s[14:15], s[30:31], v[4:5]
	s_or_b64 s[18:19], s[18:19], s[28:29]
	s_or_b64 s[18:19], s[14:15], s[18:19]
	s_xor_b64 s[18:19], s[18:19], -1
	s_and_saveexec_b64 s[36:37], s[18:19]
	s_xor_b64 s[36:37], exec, s[36:37]
	s_cbranch_execz .LBB56_17
; %bb.16:                               ;   in Loop: Header=BB56_7 Depth=2
	v_add_co_u32_e64 v4, s[18:19], v52, v42
	v_addc_co_u32_e64 v5, s[18:19], v53, v43, s[18:19]
	global_load_dwordx2 v[4:5], v[4:5], off
	s_waitcnt vmcnt(0)
	ds_write_b64 v56, v[4:5] offset:128
.LBB56_17:                              ;   in Loop: Header=BB56_7 Depth=2
	s_andn2_saveexec_b64 s[18:19], s[36:37]
	s_cbranch_execz .LBB56_23
; %bb.18:                               ;   in Loop: Header=BB56_7 Depth=2
	s_xor_b64 s[28:29], s[28:29], -1
	s_and_saveexec_b64 s[36:37], s[28:29]
	s_xor_b64 s[28:29], exec, s[36:37]
	s_cbranch_execz .LBB56_20
; %bb.19:                               ;   in Loop: Header=BB56_7 Depth=2
	v_mov_b32_e32 v4, v12
	v_mov_b32_e32 v5, v12
	ds_write_b64 v56, v[4:5] offset:128
.LBB56_20:                              ;   in Loop: Header=BB56_7 Depth=2
	s_andn2_saveexec_b64 s[28:29], s[28:29]
	s_cbranch_execz .LBB56_22
; %bb.21:                               ;   in Loop: Header=BB56_7 Depth=2
	ds_write_b64 v56, v[12:13] offset:128
.LBB56_22:                              ;   in Loop: Header=BB56_7 Depth=2
	s_or_b64 exec, exec, s[28:29]
.LBB56_23:                              ;   in Loop: Header=BB56_7 Depth=2
	s_or_b64 exec, exec, s[18:19]
	v_cmp_eq_u64_e64 s[18:19], s[20:21], v[46:47]
	s_and_b64 s[28:29], s[22:23], s[18:19]
	v_cmp_gt_i64_e64 s[18:19], v[2:3], v[44:45]
	s_or_b64 s[18:19], s[8:9], s[18:19]
	s_or_b64 s[18:19], s[18:19], s[28:29]
	;; [unrolled: 1-line block ×3, first 2 shown]
	s_xor_b64 s[12:13], s[12:13], -1
	s_and_saveexec_b64 s[18:19], s[12:13]
	s_xor_b64 s[12:13], exec, s[18:19]
	s_cbranch_execz .LBB56_25
; %bb.24:                               ;   in Loop: Header=BB56_7 Depth=2
	global_load_dwordx2 v[0:1], v[0:1], off offset:128
	s_waitcnt vmcnt(0)
	ds_write_b64 v56, v[0:1] offset:4096
.LBB56_25:                              ;   in Loop: Header=BB56_7 Depth=2
	s_andn2_saveexec_b64 s[12:13], s[12:13]
	s_cbranch_execz .LBB56_31
; %bb.26:                               ;   in Loop: Header=BB56_7 Depth=2
	s_xor_b64 s[18:19], s[28:29], -1
	s_and_saveexec_b64 s[28:29], s[18:19]
	s_xor_b64 s[18:19], exec, s[28:29]
	s_cbranch_execz .LBB56_28
; %bb.27:                               ;   in Loop: Header=BB56_7 Depth=2
	v_mov_b32_e32 v0, v12
	v_mov_b32_e32 v1, v12
	ds_write_b64 v56, v[0:1] offset:4096
.LBB56_28:                              ;   in Loop: Header=BB56_7 Depth=2
	s_andn2_saveexec_b64 s[18:19], s[18:19]
	s_cbranch_execz .LBB56_30
; %bb.29:                               ;   in Loop: Header=BB56_7 Depth=2
	ds_write_b64 v56, v[12:13] offset:4096
.LBB56_30:                              ;   in Loop: Header=BB56_7 Depth=2
	s_or_b64 exec, exec, s[18:19]
.LBB56_31:                              ;   in Loop: Header=BB56_7 Depth=2
	s_or_b64 exec, exec, s[12:13]
	s_or_b64 s[10:11], s[8:9], s[10:11]
	s_or_b64 s[10:11], s[10:11], s[26:27]
	;; [unrolled: 1-line block ×3, first 2 shown]
	s_xor_b64 s[10:11], s[10:11], -1
	s_and_saveexec_b64 s[12:13], s[10:11]
	s_xor_b64 s[12:13], exec, s[12:13]
	s_cbranch_execz .LBB56_33
; %bb.32:                               ;   in Loop: Header=BB56_7 Depth=2
	v_add_co_u32_e64 v0, s[10:11], v52, v42
	v_addc_co_u32_e64 v1, s[10:11], v53, v43, s[10:11]
	global_load_dwordx2 v[0:1], v[0:1], off offset:128
	s_waitcnt vmcnt(0)
	ds_write_b64 v56, v[0:1] offset:4224
.LBB56_33:                              ;   in Loop: Header=BB56_7 Depth=2
	s_andn2_saveexec_b64 s[10:11], s[12:13]
	s_cbranch_execz .LBB56_39
; %bb.34:                               ;   in Loop: Header=BB56_7 Depth=2
	s_and_saveexec_b64 s[12:13], s[24:25]
	s_xor_b64 s[12:13], exec, s[12:13]
	s_cbranch_execz .LBB56_36
; %bb.35:                               ;   in Loop: Header=BB56_7 Depth=2
	v_mov_b32_e32 v0, v12
	v_mov_b32_e32 v1, v12
	ds_write_b64 v56, v[0:1] offset:4224
.LBB56_36:                              ;   in Loop: Header=BB56_7 Depth=2
	s_andn2_saveexec_b64 s[12:13], s[12:13]
	s_cbranch_execz .LBB56_38
; %bb.37:                               ;   in Loop: Header=BB56_7 Depth=2
	ds_write_b64 v56, v[12:13] offset:4224
.LBB56_38:                              ;   in Loop: Header=BB56_7 Depth=2
	s_or_b64 exec, exec, s[12:13]
.LBB56_39:                              ;   in Loop: Header=BB56_7 Depth=2
	s_or_b64 exec, exec, s[10:11]
	v_mov_b32_e32 v1, s21
	v_add_co_u32_e64 v0, s[10:11], s20, v8
	v_addc_co_u32_e64 v1, s[10:11], 0, v1, s[10:11]
	v_add_co_u32_e64 v2, s[10:11], v54, v20
	v_addc_co_u32_e64 v3, s[10:11], v55, v21, s[10:11]
	v_cmp_le_i64_e64 s[10:11], s[30:31], v[0:1]
	s_or_b64 s[12:13], s[10:11], vcc
	s_xor_b64 s[12:13], s[12:13], -1
	s_and_saveexec_b64 s[14:15], s[12:13]
	s_xor_b64 s[12:13], exec, s[14:15]
	s_cbranch_execz .LBB56_41
; %bb.40:                               ;   in Loop: Header=BB56_7 Depth=2
	global_load_dwordx2 v[4:5], v[2:3], off offset:-128
	s_waitcnt vmcnt(0)
	ds_write_b64 v58, v[4:5]
.LBB56_41:                              ;   in Loop: Header=BB56_7 Depth=2
	s_andn2_saveexec_b64 s[12:13], s[12:13]
	s_cbranch_execz .LBB56_43
; %bb.42:                               ;   in Loop: Header=BB56_7 Depth=2
	v_mov_b32_e32 v4, v12
	v_mov_b32_e32 v5, v12
	ds_write_b64 v58, v[4:5]
.LBB56_43:                              ;   in Loop: Header=BB56_7 Depth=2
	s_or_b64 exec, exec, s[12:13]
	s_or_b64 s[10:11], s[10:11], s[0:1]
	s_xor_b64 s[10:11], s[10:11], -1
	s_and_saveexec_b64 s[12:13], s[10:11]
	s_xor_b64 s[10:11], exec, s[12:13]
	s_cbranch_execz .LBB56_45
; %bb.44:                               ;   in Loop: Header=BB56_7 Depth=2
	global_load_dwordx2 v[2:3], v[2:3], off
	s_waitcnt vmcnt(0)
	ds_write_b64 v58, v[2:3] offset:128
.LBB56_45:                              ;   in Loop: Header=BB56_7 Depth=2
	s_andn2_saveexec_b64 s[10:11], s[10:11]
	s_cbranch_execz .LBB56_47
; %bb.46:                               ;   in Loop: Header=BB56_7 Depth=2
	v_mov_b32_e32 v2, v12
	v_mov_b32_e32 v3, v12
	ds_write_b64 v58, v[2:3] offset:128
.LBB56_47:                              ;   in Loop: Header=BB56_7 Depth=2
	s_or_b64 exec, exec, s[10:11]
	v_cmp_le_i64_e64 s[10:11], s[46:47], v[0:1]
	s_or_b64 s[12:13], s[10:11], vcc
	s_xor_b64 s[12:13], s[12:13], -1
	s_and_saveexec_b64 s[14:15], s[12:13]
	s_xor_b64 s[14:15], exec, s[14:15]
	s_cbranch_execz .LBB56_49
; %bb.48:                               ;   in Loop: Header=BB56_7 Depth=2
	v_add_co_u32_e64 v0, s[12:13], v54, v28
	v_addc_co_u32_e64 v1, s[12:13], v55, v9, s[12:13]
	global_load_dwordx2 v[0:1], v[0:1], off offset:-128
	s_waitcnt vmcnt(0)
	ds_write_b64 v58, v[0:1] offset:4096
.LBB56_49:                              ;   in Loop: Header=BB56_7 Depth=2
	s_andn2_saveexec_b64 s[12:13], s[14:15]
	s_cbranch_execz .LBB56_51
; %bb.50:                               ;   in Loop: Header=BB56_7 Depth=2
	v_mov_b32_e32 v0, v12
	v_mov_b32_e32 v1, v12
	ds_write_b64 v58, v[0:1] offset:4096
.LBB56_51:                              ;   in Loop: Header=BB56_7 Depth=2
	s_or_b64 exec, exec, s[12:13]
	s_or_b64 s[10:11], s[10:11], s[0:1]
	s_xor_b64 s[10:11], s[10:11], -1
	s_and_saveexec_b64 s[12:13], s[10:11]
	s_xor_b64 s[12:13], exec, s[12:13]
	s_cbranch_execz .LBB56_53
; %bb.52:                               ;   in Loop: Header=BB56_7 Depth=2
	v_add_co_u32_e64 v0, s[10:11], v54, v28
	v_addc_co_u32_e64 v1, s[10:11], v55, v9, s[10:11]
	global_load_dwordx2 v[0:1], v[0:1], off
	s_waitcnt vmcnt(0)
	ds_write_b64 v58, v[0:1] offset:4224
.LBB56_53:                              ;   in Loop: Header=BB56_7 Depth=2
	s_andn2_saveexec_b64 s[10:11], s[12:13]
	s_cbranch_execz .LBB56_6
; %bb.54:                               ;   in Loop: Header=BB56_7 Depth=2
	v_mov_b32_e32 v0, v12
	v_mov_b32_e32 v1, v12
	ds_write_b64 v58, v[0:1] offset:4224
	s_branch .LBB56_6
.LBB56_55:                              ;   in Loop: Header=BB56_4 Depth=1
	v_mul_lo_u32 v2, v33, s44
	v_mul_lo_u32 v3, v32, s45
	v_mad_u64_u32 v[0:1], s[10:11], v32, s44, 0
	v_add3_u32 v1, v1, v3, v2
	v_lshlrev_b64 v[0:1], 3, v[0:1]
	v_mov_b32_e32 v2, s50
	v_add_co_u32_e64 v0, s[10:11], s49, v0
	v_cmp_gt_i32_e64 s[8:9], s30, v32
	v_addc_co_u32_e64 v1, s[10:11], v2, v1, s[10:11]
	s_and_b64 s[10:11], s[2:3], s[8:9]
	s_and_saveexec_b64 s[12:13], s[10:11]
	s_cbranch_execz .LBB56_57
; %bb.56:                               ;   in Loop: Header=BB56_4 Depth=1
	v_add_co_u32_e64 v2, s[10:11], v0, v22
	v_addc_co_u32_e64 v3, s[10:11], v1, v23, s[10:11]
	global_load_dwordx2 v[4:5], v[2:3], off
	s_waitcnt vmcnt(0)
	v_fmac_f64_e32 v[4:5], s[34:35], v[38:39]
	global_store_dwordx2 v[2:3], v[4:5], off
.LBB56_57:                              ;   in Loop: Header=BB56_4 Depth=1
	s_or_b64 exec, exec, s[12:13]
	s_and_b64 s[8:9], s[4:5], s[8:9]
	s_and_saveexec_b64 s[10:11], s[8:9]
	s_cbranch_execz .LBB56_59
; %bb.58:                               ;   in Loop: Header=BB56_4 Depth=1
	v_lshlrev_b64 v[2:3], 3, v[16:17]
	v_add_co_u32_e64 v0, s[8:9], v0, v2
	v_addc_co_u32_e64 v1, s[8:9], v1, v3, s[8:9]
	global_load_dwordx2 v[2:3], v[0:1], off
	s_waitcnt vmcnt(0)
	v_fmac_f64_e32 v[2:3], s[34:35], v[36:37]
	global_store_dwordx2 v[0:1], v[2:3], off
.LBB56_59:                              ;   in Loop: Header=BB56_4 Depth=1
	s_or_b64 exec, exec, s[10:11]
	v_add_u32_e32 v0, 16, v32
	v_ashrrev_i32_e32 v1, 31, v0
	v_cmp_gt_i32_e64 s[8:9], s30, v0
	v_mul_lo_u32 v2, v1, s44
	v_mul_lo_u32 v3, v0, s45
	v_mad_u64_u32 v[0:1], s[10:11], v0, s44, 0
	v_add3_u32 v1, v1, v3, v2
	v_lshlrev_b64 v[0:1], 3, v[0:1]
	v_mov_b32_e32 v2, s50
	v_add_co_u32_e64 v0, s[10:11], s49, v0
	v_addc_co_u32_e64 v1, s[10:11], v2, v1, s[10:11]
	s_and_b64 s[10:11], s[2:3], s[8:9]
	s_and_saveexec_b64 s[12:13], s[10:11]
	s_cbranch_execz .LBB56_61
; %bb.60:                               ;   in Loop: Header=BB56_4 Depth=1
	v_add_co_u32_e64 v2, s[10:11], v0, v22
	v_addc_co_u32_e64 v3, s[10:11], v1, v23, s[10:11]
	global_load_dwordx2 v[4:5], v[2:3], off
	s_waitcnt vmcnt(0)
	v_fmac_f64_e32 v[4:5], s[34:35], v[34:35]
	global_store_dwordx2 v[2:3], v[4:5], off
.LBB56_61:                              ;   in Loop: Header=BB56_4 Depth=1
	s_or_b64 exec, exec, s[12:13]
	s_and_b64 s[8:9], s[4:5], s[8:9]
	s_and_saveexec_b64 s[10:11], s[8:9]
	s_cbranch_execz .LBB56_3
; %bb.62:                               ;   in Loop: Header=BB56_4 Depth=1
	v_lshlrev_b64 v[2:3], 3, v[16:17]
	v_add_co_u32_e64 v0, s[8:9], v0, v2
	v_addc_co_u32_e64 v1, s[8:9], v1, v3, s[8:9]
	global_load_dwordx2 v[2:3], v[0:1], off
	s_waitcnt vmcnt(0)
	v_fmac_f64_e32 v[2:3], s[34:35], v[30:31]
	global_store_dwordx2 v[0:1], v[2:3], off
	s_branch .LBB56_3
.LBB56_63:
	s_endpgm
	.section	.rodata,"a",@progbits
	.p2align	6, 0x0
	.amdhsa_kernel _ZL30rocblas_trmm_outofplace_kernelIdLi32ELi2ELb0ELb0ELb1ELb1EPKdS0_dEv17rocblas_diagonal_iiT6_lPT7_lllS5_lllPT8_llli
		.amdhsa_group_segment_fixed_size 16384
		.amdhsa_private_segment_fixed_size 0
		.amdhsa_kernarg_size 392
		.amdhsa_user_sgpr_count 6
		.amdhsa_user_sgpr_private_segment_buffer 1
		.amdhsa_user_sgpr_dispatch_ptr 0
		.amdhsa_user_sgpr_queue_ptr 0
		.amdhsa_user_sgpr_kernarg_segment_ptr 1
		.amdhsa_user_sgpr_dispatch_id 0
		.amdhsa_user_sgpr_flat_scratch_init 0
		.amdhsa_user_sgpr_kernarg_preload_length 0
		.amdhsa_user_sgpr_kernarg_preload_offset 0
		.amdhsa_user_sgpr_private_segment_size 0
		.amdhsa_uses_dynamic_stack 0
		.amdhsa_system_sgpr_private_segment_wavefront_offset 0
		.amdhsa_system_sgpr_workgroup_id_x 1
		.amdhsa_system_sgpr_workgroup_id_y 1
		.amdhsa_system_sgpr_workgroup_id_z 1
		.amdhsa_system_sgpr_workgroup_info 0
		.amdhsa_system_vgpr_workitem_id 1
		.amdhsa_next_free_vgpr 86
		.amdhsa_next_free_sgpr 51
		.amdhsa_accum_offset 88
		.amdhsa_reserve_vcc 1
		.amdhsa_reserve_flat_scratch 0
		.amdhsa_float_round_mode_32 0
		.amdhsa_float_round_mode_16_64 0
		.amdhsa_float_denorm_mode_32 3
		.amdhsa_float_denorm_mode_16_64 3
		.amdhsa_dx10_clamp 1
		.amdhsa_ieee_mode 1
		.amdhsa_fp16_overflow 0
		.amdhsa_tg_split 0
		.amdhsa_exception_fp_ieee_invalid_op 0
		.amdhsa_exception_fp_denorm_src 0
		.amdhsa_exception_fp_ieee_div_zero 0
		.amdhsa_exception_fp_ieee_overflow 0
		.amdhsa_exception_fp_ieee_underflow 0
		.amdhsa_exception_fp_ieee_inexact 0
		.amdhsa_exception_int_div_zero 0
	.end_amdhsa_kernel
	.section	.text._ZL30rocblas_trmm_outofplace_kernelIdLi32ELi2ELb0ELb0ELb1ELb1EPKdS0_dEv17rocblas_diagonal_iiT6_lPT7_lllS5_lllPT8_llli,"axG",@progbits,_ZL30rocblas_trmm_outofplace_kernelIdLi32ELi2ELb0ELb0ELb1ELb1EPKdS0_dEv17rocblas_diagonal_iiT6_lPT7_lllS5_lllPT8_llli,comdat
.Lfunc_end56:
	.size	_ZL30rocblas_trmm_outofplace_kernelIdLi32ELi2ELb0ELb0ELb1ELb1EPKdS0_dEv17rocblas_diagonal_iiT6_lPT7_lllS5_lllPT8_llli, .Lfunc_end56-_ZL30rocblas_trmm_outofplace_kernelIdLi32ELi2ELb0ELb0ELb1ELb1EPKdS0_dEv17rocblas_diagonal_iiT6_lPT7_lllS5_lllPT8_llli
                                        ; -- End function
	.section	.AMDGPU.csdata,"",@progbits
; Kernel info:
; codeLenInByte = 3532
; NumSgprs: 55
; NumVgprs: 86
; NumAgprs: 0
; TotalNumVgprs: 86
; ScratchSize: 0
; MemoryBound: 1
; FloatMode: 240
; IeeeMode: 1
; LDSByteSize: 16384 bytes/workgroup (compile time only)
; SGPRBlocks: 6
; VGPRBlocks: 10
; NumSGPRsForWavesPerEU: 55
; NumVGPRsForWavesPerEU: 86
; AccumOffset: 88
; Occupancy: 5
; WaveLimiterHint : 0
; COMPUTE_PGM_RSRC2:SCRATCH_EN: 0
; COMPUTE_PGM_RSRC2:USER_SGPR: 6
; COMPUTE_PGM_RSRC2:TRAP_HANDLER: 0
; COMPUTE_PGM_RSRC2:TGID_X_EN: 1
; COMPUTE_PGM_RSRC2:TGID_Y_EN: 1
; COMPUTE_PGM_RSRC2:TGID_Z_EN: 1
; COMPUTE_PGM_RSRC2:TIDIG_COMP_CNT: 1
; COMPUTE_PGM_RSRC3_GFX90A:ACCUM_OFFSET: 21
; COMPUTE_PGM_RSRC3_GFX90A:TG_SPLIT: 0
	.section	.text._ZL30rocblas_trmm_outofplace_kernelIdLi32ELi2ELb0ELb0ELb1ELb1EdKddEv17rocblas_diagonal_iiT6_lPT7_lllS4_lllPT8_llli,"axG",@progbits,_ZL30rocblas_trmm_outofplace_kernelIdLi32ELi2ELb0ELb0ELb1ELb1EdKddEv17rocblas_diagonal_iiT6_lPT7_lllS4_lllPT8_llli,comdat
	.globl	_ZL30rocblas_trmm_outofplace_kernelIdLi32ELi2ELb0ELb0ELb1ELb1EdKddEv17rocblas_diagonal_iiT6_lPT7_lllS4_lllPT8_llli ; -- Begin function _ZL30rocblas_trmm_outofplace_kernelIdLi32ELi2ELb0ELb0ELb1ELb1EdKddEv17rocblas_diagonal_iiT6_lPT7_lllS4_lllPT8_llli
	.p2align	8
	.type	_ZL30rocblas_trmm_outofplace_kernelIdLi32ELi2ELb0ELb0ELb1ELb1EdKddEv17rocblas_diagonal_iiT6_lPT7_lllS4_lllPT8_llli,@function
_ZL30rocblas_trmm_outofplace_kernelIdLi32ELi2ELb0ELb0ELb1ELb1EdKddEv17rocblas_diagonal_iiT6_lPT7_lllS4_lllPT8_llli: ; @_ZL30rocblas_trmm_outofplace_kernelIdLi32ELi2ELb0ELb0ELb1ELb1EdKddEv17rocblas_diagonal_iiT6_lPT7_lllS4_lllPT8_llli
; %bb.0:
	s_load_dwordx2 s[34:35], s[4:5], 0x10
	s_waitcnt lgkmcnt(0)
	v_cmp_eq_f64_e64 s[0:1], s[34:35], 0
	s_and_b64 vcc, exec, s[0:1]
	s_cbranch_vccnz .LBB57_63
; %bb.1:
	s_load_dwordx4 s[28:31], s[4:5], 0x0
	s_waitcnt lgkmcnt(0)
	s_add_i32 s0, s30, -1
	s_ashr_i32 s1, s0, 31
	s_lshr_b32 s1, s1, 27
	s_add_i32 s0, s0, s1
	s_ashr_i32 s33, s0, 5
	s_cmp_gt_i32 s7, s33
	s_cbranch_scc1 .LBB57_63
; %bb.2:
	s_load_dwordx16 s[12:27], s[4:5], 0x20
	s_load_dwordx8 s[36:43], s[4:5], 0x60
	v_and_b32_e32 v10, 0x3ff, v0
	v_bfe_u32 v8, v0, 10, 10
	v_lshl_add_u32 v0, s6, 5, v10
	s_waitcnt lgkmcnt(0)
	s_mul_i32 s1, s8, s19
	s_mul_hi_u32 s2, s8, s18
	s_mul_i32 s0, s8, s18
	s_add_i32 s1, s2, s1
	s_lshl_b64 s[18:19], s[0:1], 3
	s_add_u32 s0, s12, s18
	s_addc_u32 s1, s13, s19
	s_lshl_b64 s[14:15], s[14:15], 3
	s_add_u32 s2, s0, s14
	s_addc_u32 s3, s1, s15
	s_mul_i32 s0, s8, s43
	s_mul_hi_u32 s1, s8, s42
	s_add_i32 s1, s1, s0
	s_mul_i32 s0, s8, s42
	s_lshl_b64 s[0:1], s[0:1], 3
	s_add_u32 s9, s36, s0
	s_addc_u32 s10, s37, s1
	s_lshl_b64 s[0:1], s[38:39], 3
	s_add_u32 s46, s9, s0
	s_addc_u32 s47, s10, s1
	v_mad_u64_u32 v[2:3], s[0:1], v10, s16, 0
	v_mov_b32_e32 v4, v3
	v_mad_u64_u32 v[4:5], s[0:1], v10, s17, v[4:5]
	v_mov_b32_e32 v3, v4
	v_lshlrev_b64 v[2:3], 3, v[2:3]
	v_mov_b32_e32 v4, s3
	v_add_co_u32_e32 v14, vcc, s2, v2
	s_cmpk_eq_i32 s28, 0x84
	v_addc_co_u32_e32 v15, vcc, v4, v3, vcc
	s_cselect_b64 s[36:37], -1, 0
	s_ashr_i32 s0, s29, 31
	v_ashrrev_i32_e32 v1, 31, v0
	v_mov_b32_e32 v3, s0
	v_sub_co_u32_e32 v2, vcc, s29, v0
	v_subb_co_u32_e32 v3, vcc, v3, v1, vcc
	v_sub_co_u32_e64 v59, s[10:11], 0, v10
	s_load_dword s6, s[4:5], 0x8c
	v_cmp_gt_i64_e32 vcc, 1, v[2:3]
	v_cmp_gt_i64_e64 s[0:1], 17, v[2:3]
	v_subb_co_u32_e64 v60, s[10:11], 0, 0, s[10:11]
	v_mad_u64_u32 v[2:3], s[10:11], s24, v8, 0
	v_mov_b32_e32 v4, v3
	s_ashr_i32 s31, s30, 31
	s_lshl_b64 s[38:39], s[16:17], 8
	s_lshl_b64 s[42:43], s[24:25], 8
	v_mad_u64_u32 v[4:5], s[10:11], s25, v8, v[4:5]
	s_add_u32 s44, s30, -16
	s_mul_i32 s9, s27, s8
	s_mul_hi_u32 s10, s26, s8
	s_addc_u32 s45, s31, -1
	s_add_i32 s9, s10, s9
	s_mul_i32 s8, s26, s8
	s_waitcnt lgkmcnt(0)
	s_lshl_b32 s48, s6, 5
	s_lshl_b64 s[8:9], s[8:9], 3
	s_lshl_b64 s[10:11], s[22:23], 3
	s_add_u32 s8, s8, s10
	s_addc_u32 s9, s9, s11
	s_add_u32 s8, s20, s8
	v_lshlrev_b64 v[22:23], 3, v[0:1]
	s_addc_u32 s9, s21, s9
	v_cmp_gt_i32_e64 s[2:3], s29, v0
	v_add_u32_e32 v16, 16, v0
	v_mov_b32_e32 v0, s9
	v_add_co_u32_e64 v1, s[8:9], s8, v22
	v_addc_co_u32_e64 v0, s[8:9], v0, v23, s[8:9]
	s_movk_i32 s8, 0x80
	v_add_co_u32_e64 v24, s[8:9], s8, v1
	v_addc_co_u32_e64 v25, s[8:9], 0, v0, s[8:9]
	s_add_u32 s8, s12, s14
	s_addc_u32 s9, s13, s15
	s_add_u32 s8, s8, s18
	v_lshlrev_b32_e32 v6, 3, v10
	v_mov_b32_e32 v3, v4
	s_addc_u32 s9, s9, s19
	v_lshlrev_b64 v[20:21], 3, v[2:3]
	v_add_u32_e32 v2, 0x80, v6
	v_pk_mov_b32 v[0:1], s[8:9], s[8:9] op_sel:[0,1]
	v_mad_u64_u32 v[26:27], s[8:9], s16, v2, v[0:1]
	v_mov_b32_e32 v0, v27
	v_mad_u64_u32 v[0:1], s[8:9], s17, v2, v[0:1]
	v_mov_b32_e32 v27, v0
	v_mov_b32_e32 v0, 0x80
	v_lshl_add_u32 v1, v8, 3, v0
	v_mad_u64_u32 v[28:29], s[8:9], s24, v1, 0
	v_mov_b32_e32 v0, v29
	v_lshlrev_b32_e32 v11, 8, v8
	v_or_b32_e32 v57, 0x2000, v6
	v_mad_u64_u32 v[0:1], s[8:9], s25, v1, v[0:1]
	v_mov_b32_e32 v12, 0
	v_add_u32_e32 v56, v11, v6
	v_add_u32_e32 v58, v57, v11
	v_cmp_gt_i32_e64 s[4:5], s29, v16
	v_ashrrev_i32_e32 v17, 31, v16
	v_lshl_add_u32 v18, s7, 5, v8
	v_mov_b32_e32 v9, v0
	v_mov_b32_e32 v13, 0x3ff00000
	s_branch .LBB57_4
.LBB57_3:                               ;   in Loop: Header=BB57_4 Depth=1
	s_or_b64 exec, exec, s[10:11]
	s_add_i32 s7, s6, s7
	s_cmp_le_i32 s7, s33
	v_add_u32_e32 v18, s48, v18
	s_cbranch_scc0 .LBB57_63
.LBB57_4:                               ; =>This Loop Header: Depth=1
                                        ;     Child Loop BB57_7 Depth 2
	s_lshl_b32 s49, s7, 5
	v_add_u32_e32 v32, s49, v8
	v_pk_mov_b32 v[38:39], 0, 0
	v_ashrrev_i32_e32 v33, 31, v32
	s_cmp_lt_i32 s7, 0
	v_pk_mov_b32 v[36:37], v[38:39], v[38:39] op_sel:[0,1]
	v_pk_mov_b32 v[34:35], v[38:39], v[38:39] op_sel:[0,1]
	;; [unrolled: 1-line block ×3, first 2 shown]
	s_cbranch_scc1 .LBB57_55
; %bb.5:                                ;   in Loop: Header=BB57_4 Depth=1
	v_ashrrev_i32_e32 v19, 31, v18
	v_add_co_u32_e64 v40, s[8:9], v59, v18
	v_addc_co_u32_e64 v41, s[8:9], v60, v19, s[8:9]
	v_add_co_u32_e64 v46, s[10:11], 16, v40
	v_add_co_u32_e64 v44, s[8:9], 16, v32
	v_addc_co_u32_e64 v47, s[10:11], 0, v41, s[10:11]
	v_addc_co_u32_e64 v45, s[8:9], 0, v33, s[8:9]
	v_add_co_u32_e64 v48, s[10:11], -16, v40
	v_pk_mov_b32 v[30:31], 0, 0
	v_lshlrev_b64 v[42:43], 3, v[18:19]
	v_cmp_le_i32_e64 s[16:17], s30, v32
	v_cmp_le_i64_e64 s[8:9], s[30:31], v[44:45]
	v_addc_co_u32_e64 v49, s[10:11], -1, v41, s[10:11]
	s_mov_b64 s[20:21], 0
	v_pk_mov_b32 v[50:51], v[14:15], v[14:15] op_sel:[0,1]
	v_pk_mov_b32 v[52:53], v[26:27], v[26:27] op_sel:[0,1]
	;; [unrolled: 1-line block ×6, first 2 shown]
	s_branch .LBB57_7
.LBB57_6:                               ;   in Loop: Header=BB57_7 Depth=2
	s_or_b64 exec, exec, s[10:11]
	s_waitcnt lgkmcnt(0)
	s_barrier
	ds_read2_b64 v[62:65], v57 offset1:16
	ds_read_b128 v[66:69], v11
	ds_read_b128 v[70:73], v11 offset:16
	ds_read_b128 v[4:7], v11 offset:32
	;; [unrolled: 1-line block ×4, first 2 shown]
	ds_read2_b64 v[78:81], v57 offset0:32 offset1:48
	s_waitcnt lgkmcnt(5)
	v_fmac_f64_e32 v[38:39], v[62:63], v[66:67]
	v_fmac_f64_e32 v[36:37], v[64:65], v[66:67]
	ds_read_b128 v[82:85], v11 offset:4112
	s_waitcnt lgkmcnt(2)
	v_fmac_f64_e32 v[34:35], v[62:63], v[74:75]
	v_fmac_f64_e32 v[30:31], v[64:65], v[74:75]
	ds_read2_b64 v[62:65], v57 offset0:64 offset1:80
	s_waitcnt lgkmcnt(2)
	v_fmac_f64_e32 v[38:39], v[78:79], v[68:69]
	v_fmac_f64_e32 v[36:37], v[80:81], v[68:69]
	ds_read2_b64 v[66:69], v57 offset0:96 offset1:112
	v_fmac_f64_e32 v[34:35], v[78:79], v[76:77]
	v_fmac_f64_e32 v[30:31], v[80:81], v[76:77]
	ds_read_b128 v[74:77], v11 offset:4144
	s_waitcnt lgkmcnt(2)
	v_fmac_f64_e32 v[38:39], v[62:63], v[70:71]
	v_fmac_f64_e32 v[36:37], v[64:65], v[70:71]
	;; [unrolled: 1-line block ×4, first 2 shown]
	s_waitcnt lgkmcnt(1)
	v_fmac_f64_e32 v[38:39], v[66:67], v[72:73]
	ds_read2_b64 v[62:65], v57 offset0:128 offset1:144
	v_fmac_f64_e32 v[36:37], v[68:69], v[72:73]
	v_fmac_f64_e32 v[34:35], v[66:67], v[84:85]
	;; [unrolled: 1-line block ×3, first 2 shown]
	ds_read_b128 v[66:69], v11 offset:4128
	ds_read2_b64 v[70:73], v57 offset0:160 offset1:176
	s_waitcnt lgkmcnt(2)
	v_fmac_f64_e32 v[38:39], v[62:63], v[4:5]
	v_fmac_f64_e32 v[36:37], v[64:65], v[4:5]
	v_add_u32_e32 v19, 0x800, v57
	s_waitcnt lgkmcnt(1)
	v_fmac_f64_e32 v[34:35], v[62:63], v[66:67]
	v_fmac_f64_e32 v[30:31], v[64:65], v[66:67]
	ds_read2_b64 v[62:65], v57 offset0:192 offset1:208
	s_waitcnt lgkmcnt(1)
	v_fmac_f64_e32 v[38:39], v[70:71], v[6:7]
	v_fmac_f64_e32 v[36:37], v[72:73], v[6:7]
	ds_read2_b64 v[4:7], v57 offset0:224 offset1:240
	v_fmac_f64_e32 v[34:35], v[70:71], v[68:69]
	v_fmac_f64_e32 v[30:31], v[72:73], v[68:69]
	s_waitcnt lgkmcnt(1)
	v_fmac_f64_e32 v[38:39], v[62:63], v[0:1]
	v_fmac_f64_e32 v[36:37], v[64:65], v[0:1]
	v_fmac_f64_e32 v[34:35], v[62:63], v[74:75]
	v_fmac_f64_e32 v[30:31], v[64:65], v[74:75]
	s_waitcnt lgkmcnt(0)
	v_fmac_f64_e32 v[38:39], v[4:5], v[2:3]
	v_fmac_f64_e32 v[36:37], v[6:7], v[2:3]
	ds_read2_b64 v[0:3], v19 offset1:16
	ds_read_b128 v[62:65], v11 offset:64
	v_fmac_f64_e32 v[34:35], v[4:5], v[76:77]
	v_fmac_f64_e32 v[30:31], v[6:7], v[76:77]
	ds_read_b128 v[4:7], v11 offset:80
	ds_read_b128 v[66:69], v11 offset:4160
	ds_read2_b64 v[70:73], v19 offset0:32 offset1:48
	s_waitcnt lgkmcnt(3)
	v_fmac_f64_e32 v[38:39], v[0:1], v[62:63]
	v_fmac_f64_e32 v[36:37], v[2:3], v[62:63]
	ds_read_b128 v[74:77], v11 offset:4176
	s_waitcnt lgkmcnt(2)
	v_fmac_f64_e32 v[34:35], v[0:1], v[66:67]
	v_fmac_f64_e32 v[30:31], v[2:3], v[66:67]
	ds_read2_b64 v[0:3], v19 offset0:64 offset1:80
	s_waitcnt lgkmcnt(2)
	v_fmac_f64_e32 v[38:39], v[70:71], v[64:65]
	v_fmac_f64_e32 v[36:37], v[72:73], v[64:65]
	ds_read2_b64 v[62:65], v19 offset0:96 offset1:112
	v_fmac_f64_e32 v[34:35], v[70:71], v[68:69]
	v_fmac_f64_e32 v[30:31], v[72:73], v[68:69]
	s_waitcnt lgkmcnt(1)
	v_fmac_f64_e32 v[38:39], v[0:1], v[4:5]
	v_fmac_f64_e32 v[36:37], v[2:3], v[4:5]
	;; [unrolled: 1-line block ×4, first 2 shown]
	s_waitcnt lgkmcnt(0)
	v_fmac_f64_e32 v[38:39], v[62:63], v[6:7]
	v_fmac_f64_e32 v[36:37], v[64:65], v[6:7]
	ds_read2_b64 v[0:3], v19 offset0:128 offset1:144
	ds_read_b128 v[4:7], v11 offset:96
	v_fmac_f64_e32 v[34:35], v[62:63], v[76:77]
	v_fmac_f64_e32 v[30:31], v[64:65], v[76:77]
	ds_read_b128 v[62:65], v11 offset:112
	ds_read_b128 v[66:69], v11 offset:4192
	ds_read2_b64 v[70:73], v19 offset0:160 offset1:176
	s_waitcnt lgkmcnt(3)
	v_fmac_f64_e32 v[38:39], v[0:1], v[4:5]
	v_fmac_f64_e32 v[36:37], v[2:3], v[4:5]
	ds_read_b128 v[74:77], v11 offset:4208
	s_waitcnt lgkmcnt(2)
	v_fmac_f64_e32 v[34:35], v[0:1], v[66:67]
	v_fmac_f64_e32 v[30:31], v[2:3], v[66:67]
	ds_read2_b64 v[0:3], v19 offset0:192 offset1:208
	s_waitcnt lgkmcnt(2)
	v_fmac_f64_e32 v[38:39], v[70:71], v[6:7]
	v_fmac_f64_e32 v[36:37], v[72:73], v[6:7]
	ds_read2_b64 v[4:7], v19 offset0:224 offset1:240
	v_fmac_f64_e32 v[34:35], v[70:71], v[68:69]
	v_fmac_f64_e32 v[30:31], v[72:73], v[68:69]
	s_waitcnt lgkmcnt(1)
	v_fmac_f64_e32 v[38:39], v[0:1], v[62:63]
	v_fmac_f64_e32 v[36:37], v[2:3], v[62:63]
	;; [unrolled: 1-line block ×4, first 2 shown]
	v_add_u32_e32 v19, 0x1000, v57
	s_waitcnt lgkmcnt(0)
	v_fmac_f64_e32 v[38:39], v[4:5], v[64:65]
	v_fmac_f64_e32 v[36:37], v[6:7], v[64:65]
	ds_read2_b64 v[0:3], v19 offset1:16
	ds_read_b128 v[62:65], v11 offset:128
	v_fmac_f64_e32 v[34:35], v[4:5], v[76:77]
	v_fmac_f64_e32 v[30:31], v[6:7], v[76:77]
	ds_read_b128 v[4:7], v11 offset:144
	ds_read_b128 v[66:69], v11 offset:4224
	ds_read2_b64 v[70:73], v19 offset0:32 offset1:48
	s_waitcnt lgkmcnt(3)
	v_fmac_f64_e32 v[38:39], v[0:1], v[62:63]
	v_fmac_f64_e32 v[36:37], v[2:3], v[62:63]
	ds_read_b128 v[74:77], v11 offset:4240
	s_waitcnt lgkmcnt(2)
	v_fmac_f64_e32 v[34:35], v[0:1], v[66:67]
	v_fmac_f64_e32 v[30:31], v[2:3], v[66:67]
	ds_read2_b64 v[0:3], v19 offset0:64 offset1:80
	s_waitcnt lgkmcnt(2)
	v_fmac_f64_e32 v[38:39], v[70:71], v[64:65]
	v_fmac_f64_e32 v[36:37], v[72:73], v[64:65]
	ds_read2_b64 v[62:65], v19 offset0:96 offset1:112
	v_fmac_f64_e32 v[34:35], v[70:71], v[68:69]
	v_fmac_f64_e32 v[30:31], v[72:73], v[68:69]
	s_waitcnt lgkmcnt(1)
	v_fmac_f64_e32 v[38:39], v[0:1], v[4:5]
	v_fmac_f64_e32 v[36:37], v[2:3], v[4:5]
	v_fmac_f64_e32 v[34:35], v[0:1], v[74:75]
	v_fmac_f64_e32 v[30:31], v[2:3], v[74:75]
	s_waitcnt lgkmcnt(0)
	v_fmac_f64_e32 v[38:39], v[62:63], v[6:7]
	v_fmac_f64_e32 v[36:37], v[64:65], v[6:7]
	ds_read2_b64 v[0:3], v19 offset0:128 offset1:144
	ds_read_b128 v[4:7], v11 offset:160
	v_fmac_f64_e32 v[34:35], v[62:63], v[76:77]
	v_fmac_f64_e32 v[30:31], v[64:65], v[76:77]
	ds_read_b128 v[62:65], v11 offset:176
	ds_read_b128 v[66:69], v11 offset:4256
	ds_read2_b64 v[70:73], v19 offset0:160 offset1:176
	s_waitcnt lgkmcnt(3)
	v_fmac_f64_e32 v[38:39], v[0:1], v[4:5]
	v_fmac_f64_e32 v[36:37], v[2:3], v[4:5]
	ds_read_b128 v[74:77], v11 offset:4272
	s_waitcnt lgkmcnt(2)
	v_fmac_f64_e32 v[34:35], v[0:1], v[66:67]
	v_fmac_f64_e32 v[30:31], v[2:3], v[66:67]
	ds_read2_b64 v[0:3], v19 offset0:192 offset1:208
	s_waitcnt lgkmcnt(2)
	v_fmac_f64_e32 v[38:39], v[70:71], v[6:7]
	v_fmac_f64_e32 v[36:37], v[72:73], v[6:7]
	ds_read2_b64 v[4:7], v19 offset0:224 offset1:240
	v_fmac_f64_e32 v[34:35], v[70:71], v[68:69]
	v_fmac_f64_e32 v[30:31], v[72:73], v[68:69]
	s_waitcnt lgkmcnt(1)
	v_fmac_f64_e32 v[38:39], v[0:1], v[62:63]
	v_fmac_f64_e32 v[36:37], v[2:3], v[62:63]
	;; [unrolled: 1-line block ×4, first 2 shown]
	v_add_u32_e32 v19, 0x1800, v57
	s_waitcnt lgkmcnt(0)
	v_fmac_f64_e32 v[38:39], v[4:5], v[64:65]
	v_fmac_f64_e32 v[36:37], v[6:7], v[64:65]
	ds_read2_b64 v[0:3], v19 offset1:16
	ds_read_b128 v[62:65], v11 offset:192
	v_fmac_f64_e32 v[34:35], v[4:5], v[76:77]
	v_fmac_f64_e32 v[30:31], v[6:7], v[76:77]
	ds_read_b128 v[4:7], v11 offset:208
	ds_read_b128 v[66:69], v11 offset:4288
	ds_read2_b64 v[70:73], v19 offset0:32 offset1:48
	s_waitcnt lgkmcnt(3)
	v_fmac_f64_e32 v[38:39], v[0:1], v[62:63]
	v_fmac_f64_e32 v[36:37], v[2:3], v[62:63]
	ds_read_b128 v[74:77], v11 offset:4304
	s_waitcnt lgkmcnt(2)
	v_fmac_f64_e32 v[34:35], v[0:1], v[66:67]
	v_fmac_f64_e32 v[30:31], v[2:3], v[66:67]
	ds_read2_b64 v[0:3], v19 offset0:64 offset1:80
	s_waitcnt lgkmcnt(2)
	v_fmac_f64_e32 v[38:39], v[70:71], v[64:65]
	v_fmac_f64_e32 v[36:37], v[72:73], v[64:65]
	ds_read2_b64 v[62:65], v19 offset0:96 offset1:112
	v_fmac_f64_e32 v[34:35], v[70:71], v[68:69]
	v_fmac_f64_e32 v[30:31], v[72:73], v[68:69]
	s_waitcnt lgkmcnt(1)
	v_fmac_f64_e32 v[38:39], v[0:1], v[4:5]
	v_fmac_f64_e32 v[36:37], v[2:3], v[4:5]
	;; [unrolled: 1-line block ×4, first 2 shown]
	s_waitcnt lgkmcnt(0)
	v_fmac_f64_e32 v[38:39], v[62:63], v[6:7]
	v_fmac_f64_e32 v[36:37], v[64:65], v[6:7]
	ds_read2_b64 v[0:3], v19 offset0:128 offset1:144
	ds_read_b128 v[4:7], v11 offset:224
	v_fmac_f64_e32 v[34:35], v[62:63], v[76:77]
	v_fmac_f64_e32 v[30:31], v[64:65], v[76:77]
	ds_read_b128 v[62:65], v11 offset:240
	ds_read_b128 v[66:69], v11 offset:4320
	ds_read2_b64 v[70:73], v19 offset0:160 offset1:176
	s_waitcnt lgkmcnt(3)
	v_fmac_f64_e32 v[38:39], v[0:1], v[4:5]
	v_fmac_f64_e32 v[36:37], v[2:3], v[4:5]
	ds_read_b128 v[74:77], v11 offset:4336
	s_waitcnt lgkmcnt(2)
	v_fmac_f64_e32 v[34:35], v[0:1], v[66:67]
	v_fmac_f64_e32 v[30:31], v[2:3], v[66:67]
	ds_read2_b64 v[0:3], v19 offset0:192 offset1:208
	s_waitcnt lgkmcnt(2)
	v_fmac_f64_e32 v[38:39], v[70:71], v[6:7]
	v_fmac_f64_e32 v[34:35], v[70:71], v[68:69]
	;; [unrolled: 1-line block ×3, first 2 shown]
	ds_read2_b64 v[4:7], v19 offset0:224 offset1:240
	s_waitcnt lgkmcnt(1)
	v_fmac_f64_e32 v[38:39], v[0:1], v[62:63]
	v_fmac_f64_e32 v[34:35], v[0:1], v[74:75]
	v_mov_b32_e32 v0, s43
	v_add_co_u32_e64 v54, s[10:11], s42, v54
	v_addc_co_u32_e64 v55, s[10:11], v55, v0, s[10:11]
	v_mov_b32_e32 v0, s39
	v_add_co_u32_e64 v52, s[10:11], s38, v52
	v_fmac_f64_e32 v[30:31], v[72:73], v[68:69]
	s_add_u32 s20, s20, 32
	v_addc_co_u32_e64 v53, s[10:11], v53, v0, s[10:11]
	v_fmac_f64_e32 v[36:37], v[2:3], v[62:63]
	v_fmac_f64_e32 v[30:31], v[2:3], v[74:75]
	s_addc_u32 s21, s21, 0
	s_sub_i32 s12, s20, 32
	v_add_co_u32_e64 v50, s[10:11], s38, v50
	s_waitcnt lgkmcnt(0)
	v_fmac_f64_e32 v[38:39], v[4:5], v[64:65]
	v_fmac_f64_e32 v[36:37], v[6:7], v[64:65]
	;; [unrolled: 1-line block ×4, first 2 shown]
	s_cmp_ge_i32 s12, s49
	v_addc_co_u32_e64 v51, s[10:11], v51, v0, s[10:11]
	s_barrier
	s_cbranch_scc1 .LBB57_55
.LBB57_7:                               ;   Parent Loop BB57_4 Depth=1
                                        ; =>  This Inner Loop Header: Depth=2
	v_mov_b32_e32 v0, s21
	v_add_co_u32_e64 v2, s[10:11], s20, v10
	v_addc_co_u32_e64 v3, s[10:11], 0, v0, s[10:11]
	v_add_co_u32_e64 v0, s[10:11], v50, v42
	v_addc_co_u32_e64 v1, s[10:11], v51, v43, s[10:11]
	v_cmp_eq_u64_e64 s[10:11], s[20:21], v[40:41]
	s_and_b64 s[24:25], s[36:37], s[10:11]
	v_cmp_gt_i64_e64 s[10:11], v[2:3], v[32:33]
	s_or_b64 s[14:15], s[16:17], s[10:11]
	v_cmp_le_i64_e64 s[12:13], s[30:31], v[2:3]
	s_or_b64 s[14:15], s[14:15], s[24:25]
	s_or_b64 s[14:15], s[12:13], s[14:15]
	s_xor_b64 s[14:15], s[14:15], -1
	s_and_saveexec_b64 s[18:19], s[14:15]
	s_xor_b64 s[14:15], exec, s[18:19]
	s_cbranch_execz .LBB57_9
; %bb.8:                                ;   in Loop: Header=BB57_7 Depth=2
	global_load_dwordx2 v[4:5], v[0:1], off
	s_waitcnt vmcnt(0)
	ds_write_b64 v56, v[4:5]
.LBB57_9:                               ;   in Loop: Header=BB57_7 Depth=2
	s_or_saveexec_b64 s[14:15], s[14:15]
	s_xor_b64 s[22:23], s[24:25], -1
	s_xor_b64 exec, exec, s[14:15]
	s_cbranch_execz .LBB57_15
; %bb.10:                               ;   in Loop: Header=BB57_7 Depth=2
	s_and_saveexec_b64 s[18:19], s[22:23]
	s_xor_b64 s[18:19], exec, s[18:19]
	s_cbranch_execz .LBB57_12
; %bb.11:                               ;   in Loop: Header=BB57_7 Depth=2
	v_mov_b32_e32 v4, v12
	v_mov_b32_e32 v5, v12
	ds_write_b64 v56, v[4:5]
.LBB57_12:                              ;   in Loop: Header=BB57_7 Depth=2
	s_andn2_saveexec_b64 s[18:19], s[18:19]
	s_cbranch_execz .LBB57_14
; %bb.13:                               ;   in Loop: Header=BB57_7 Depth=2
	ds_write_b64 v56, v[12:13]
.LBB57_14:                              ;   in Loop: Header=BB57_7 Depth=2
	s_or_b64 exec, exec, s[18:19]
.LBB57_15:                              ;   in Loop: Header=BB57_7 Depth=2
	s_or_b64 exec, exec, s[14:15]
	v_add_co_u32_e64 v4, s[14:15], 16, v2
	v_addc_co_u32_e64 v5, s[14:15], 0, v3, s[14:15]
	v_cmp_eq_u64_e64 s[14:15], s[20:21], v[48:49]
	v_cmp_gt_i64_e64 s[18:19], v[4:5], v[32:33]
	s_and_b64 s[26:27], s[36:37], s[14:15]
	s_or_b64 s[18:19], s[16:17], s[18:19]
	v_cmp_le_i64_e64 s[14:15], s[30:31], v[4:5]
	s_or_b64 s[18:19], s[18:19], s[26:27]
	s_or_b64 s[18:19], s[14:15], s[18:19]
	s_xor_b64 s[18:19], s[18:19], -1
	s_and_saveexec_b64 s[28:29], s[18:19]
	s_xor_b64 s[28:29], exec, s[28:29]
	s_cbranch_execz .LBB57_17
; %bb.16:                               ;   in Loop: Header=BB57_7 Depth=2
	v_add_co_u32_e64 v4, s[18:19], v52, v42
	v_addc_co_u32_e64 v5, s[18:19], v53, v43, s[18:19]
	global_load_dwordx2 v[4:5], v[4:5], off
	s_waitcnt vmcnt(0)
	ds_write_b64 v56, v[4:5] offset:128
.LBB57_17:                              ;   in Loop: Header=BB57_7 Depth=2
	s_andn2_saveexec_b64 s[18:19], s[28:29]
	s_cbranch_execz .LBB57_23
; %bb.18:                               ;   in Loop: Header=BB57_7 Depth=2
	s_xor_b64 s[26:27], s[26:27], -1
	s_and_saveexec_b64 s[28:29], s[26:27]
	s_xor_b64 s[26:27], exec, s[28:29]
	s_cbranch_execz .LBB57_20
; %bb.19:                               ;   in Loop: Header=BB57_7 Depth=2
	v_mov_b32_e32 v4, v12
	v_mov_b32_e32 v5, v12
	ds_write_b64 v56, v[4:5] offset:128
.LBB57_20:                              ;   in Loop: Header=BB57_7 Depth=2
	s_andn2_saveexec_b64 s[26:27], s[26:27]
	s_cbranch_execz .LBB57_22
; %bb.21:                               ;   in Loop: Header=BB57_7 Depth=2
	ds_write_b64 v56, v[12:13] offset:128
.LBB57_22:                              ;   in Loop: Header=BB57_7 Depth=2
	s_or_b64 exec, exec, s[26:27]
.LBB57_23:                              ;   in Loop: Header=BB57_7 Depth=2
	s_or_b64 exec, exec, s[18:19]
	v_cmp_eq_u64_e64 s[18:19], s[20:21], v[46:47]
	s_and_b64 s[26:27], s[36:37], s[18:19]
	v_cmp_gt_i64_e64 s[18:19], v[2:3], v[44:45]
	s_or_b64 s[18:19], s[8:9], s[18:19]
	s_or_b64 s[18:19], s[18:19], s[26:27]
	;; [unrolled: 1-line block ×3, first 2 shown]
	s_xor_b64 s[12:13], s[12:13], -1
	s_and_saveexec_b64 s[18:19], s[12:13]
	s_xor_b64 s[12:13], exec, s[18:19]
	s_cbranch_execz .LBB57_25
; %bb.24:                               ;   in Loop: Header=BB57_7 Depth=2
	global_load_dwordx2 v[0:1], v[0:1], off offset:128
	s_waitcnt vmcnt(0)
	ds_write_b64 v56, v[0:1] offset:4096
.LBB57_25:                              ;   in Loop: Header=BB57_7 Depth=2
	s_andn2_saveexec_b64 s[12:13], s[12:13]
	s_cbranch_execz .LBB57_31
; %bb.26:                               ;   in Loop: Header=BB57_7 Depth=2
	s_xor_b64 s[18:19], s[26:27], -1
	s_and_saveexec_b64 s[26:27], s[18:19]
	s_xor_b64 s[18:19], exec, s[26:27]
	s_cbranch_execz .LBB57_28
; %bb.27:                               ;   in Loop: Header=BB57_7 Depth=2
	v_mov_b32_e32 v0, v12
	v_mov_b32_e32 v1, v12
	ds_write_b64 v56, v[0:1] offset:4096
.LBB57_28:                              ;   in Loop: Header=BB57_7 Depth=2
	s_andn2_saveexec_b64 s[18:19], s[18:19]
	s_cbranch_execz .LBB57_30
; %bb.29:                               ;   in Loop: Header=BB57_7 Depth=2
	ds_write_b64 v56, v[12:13] offset:4096
.LBB57_30:                              ;   in Loop: Header=BB57_7 Depth=2
	s_or_b64 exec, exec, s[18:19]
.LBB57_31:                              ;   in Loop: Header=BB57_7 Depth=2
	s_or_b64 exec, exec, s[12:13]
	s_or_b64 s[10:11], s[8:9], s[10:11]
	s_or_b64 s[10:11], s[10:11], s[24:25]
	s_or_b64 s[10:11], s[14:15], s[10:11]
	s_xor_b64 s[10:11], s[10:11], -1
	s_and_saveexec_b64 s[12:13], s[10:11]
	s_xor_b64 s[12:13], exec, s[12:13]
	s_cbranch_execz .LBB57_33
; %bb.32:                               ;   in Loop: Header=BB57_7 Depth=2
	v_add_co_u32_e64 v0, s[10:11], v52, v42
	v_addc_co_u32_e64 v1, s[10:11], v53, v43, s[10:11]
	global_load_dwordx2 v[0:1], v[0:1], off offset:128
	s_waitcnt vmcnt(0)
	ds_write_b64 v56, v[0:1] offset:4224
.LBB57_33:                              ;   in Loop: Header=BB57_7 Depth=2
	s_andn2_saveexec_b64 s[10:11], s[12:13]
	s_cbranch_execz .LBB57_39
; %bb.34:                               ;   in Loop: Header=BB57_7 Depth=2
	s_and_saveexec_b64 s[12:13], s[22:23]
	s_xor_b64 s[12:13], exec, s[12:13]
	s_cbranch_execz .LBB57_36
; %bb.35:                               ;   in Loop: Header=BB57_7 Depth=2
	v_mov_b32_e32 v0, v12
	v_mov_b32_e32 v1, v12
	ds_write_b64 v56, v[0:1] offset:4224
.LBB57_36:                              ;   in Loop: Header=BB57_7 Depth=2
	s_andn2_saveexec_b64 s[12:13], s[12:13]
	s_cbranch_execz .LBB57_38
; %bb.37:                               ;   in Loop: Header=BB57_7 Depth=2
	ds_write_b64 v56, v[12:13] offset:4224
.LBB57_38:                              ;   in Loop: Header=BB57_7 Depth=2
	s_or_b64 exec, exec, s[12:13]
.LBB57_39:                              ;   in Loop: Header=BB57_7 Depth=2
	s_or_b64 exec, exec, s[10:11]
	v_mov_b32_e32 v1, s21
	v_add_co_u32_e64 v0, s[10:11], s20, v8
	v_addc_co_u32_e64 v1, s[10:11], 0, v1, s[10:11]
	v_add_co_u32_e64 v2, s[10:11], v54, v20
	v_addc_co_u32_e64 v3, s[10:11], v55, v21, s[10:11]
	v_cmp_le_i64_e64 s[10:11], s[30:31], v[0:1]
	s_or_b64 s[12:13], s[10:11], vcc
	s_xor_b64 s[12:13], s[12:13], -1
	s_and_saveexec_b64 s[14:15], s[12:13]
	s_xor_b64 s[12:13], exec, s[14:15]
	s_cbranch_execz .LBB57_41
; %bb.40:                               ;   in Loop: Header=BB57_7 Depth=2
	global_load_dwordx2 v[4:5], v[2:3], off offset:-128
	s_waitcnt vmcnt(0)
	ds_write_b64 v58, v[4:5]
.LBB57_41:                              ;   in Loop: Header=BB57_7 Depth=2
	s_andn2_saveexec_b64 s[12:13], s[12:13]
	s_cbranch_execz .LBB57_43
; %bb.42:                               ;   in Loop: Header=BB57_7 Depth=2
	v_mov_b32_e32 v4, v12
	v_mov_b32_e32 v5, v12
	ds_write_b64 v58, v[4:5]
.LBB57_43:                              ;   in Loop: Header=BB57_7 Depth=2
	s_or_b64 exec, exec, s[12:13]
	s_or_b64 s[10:11], s[10:11], s[0:1]
	s_xor_b64 s[10:11], s[10:11], -1
	s_and_saveexec_b64 s[12:13], s[10:11]
	s_xor_b64 s[10:11], exec, s[12:13]
	s_cbranch_execz .LBB57_45
; %bb.44:                               ;   in Loop: Header=BB57_7 Depth=2
	global_load_dwordx2 v[2:3], v[2:3], off
	s_waitcnt vmcnt(0)
	ds_write_b64 v58, v[2:3] offset:128
.LBB57_45:                              ;   in Loop: Header=BB57_7 Depth=2
	s_andn2_saveexec_b64 s[10:11], s[10:11]
	s_cbranch_execz .LBB57_47
; %bb.46:                               ;   in Loop: Header=BB57_7 Depth=2
	v_mov_b32_e32 v2, v12
	v_mov_b32_e32 v3, v12
	ds_write_b64 v58, v[2:3] offset:128
.LBB57_47:                              ;   in Loop: Header=BB57_7 Depth=2
	s_or_b64 exec, exec, s[10:11]
	v_cmp_le_i64_e64 s[10:11], s[44:45], v[0:1]
	s_or_b64 s[12:13], s[10:11], vcc
	s_xor_b64 s[12:13], s[12:13], -1
	s_and_saveexec_b64 s[14:15], s[12:13]
	s_xor_b64 s[14:15], exec, s[14:15]
	s_cbranch_execz .LBB57_49
; %bb.48:                               ;   in Loop: Header=BB57_7 Depth=2
	v_add_co_u32_e64 v0, s[12:13], v54, v28
	v_addc_co_u32_e64 v1, s[12:13], v55, v9, s[12:13]
	global_load_dwordx2 v[0:1], v[0:1], off offset:-128
	s_waitcnt vmcnt(0)
	ds_write_b64 v58, v[0:1] offset:4096
.LBB57_49:                              ;   in Loop: Header=BB57_7 Depth=2
	s_andn2_saveexec_b64 s[12:13], s[14:15]
	s_cbranch_execz .LBB57_51
; %bb.50:                               ;   in Loop: Header=BB57_7 Depth=2
	v_mov_b32_e32 v0, v12
	v_mov_b32_e32 v1, v12
	ds_write_b64 v58, v[0:1] offset:4096
.LBB57_51:                              ;   in Loop: Header=BB57_7 Depth=2
	s_or_b64 exec, exec, s[12:13]
	s_or_b64 s[10:11], s[10:11], s[0:1]
	s_xor_b64 s[10:11], s[10:11], -1
	s_and_saveexec_b64 s[12:13], s[10:11]
	s_xor_b64 s[12:13], exec, s[12:13]
	s_cbranch_execz .LBB57_53
; %bb.52:                               ;   in Loop: Header=BB57_7 Depth=2
	v_add_co_u32_e64 v0, s[10:11], v54, v28
	v_addc_co_u32_e64 v1, s[10:11], v55, v9, s[10:11]
	global_load_dwordx2 v[0:1], v[0:1], off
	s_waitcnt vmcnt(0)
	ds_write_b64 v58, v[0:1] offset:4224
.LBB57_53:                              ;   in Loop: Header=BB57_7 Depth=2
	s_andn2_saveexec_b64 s[10:11], s[12:13]
	s_cbranch_execz .LBB57_6
; %bb.54:                               ;   in Loop: Header=BB57_7 Depth=2
	v_mov_b32_e32 v0, v12
	v_mov_b32_e32 v1, v12
	ds_write_b64 v58, v[0:1] offset:4224
	s_branch .LBB57_6
.LBB57_55:                              ;   in Loop: Header=BB57_4 Depth=1
	v_mul_lo_u32 v2, v33, s40
	v_mul_lo_u32 v3, v32, s41
	v_mad_u64_u32 v[0:1], s[10:11], v32, s40, 0
	v_add3_u32 v1, v1, v3, v2
	v_lshlrev_b64 v[0:1], 3, v[0:1]
	v_mov_b32_e32 v2, s47
	v_add_co_u32_e64 v0, s[10:11], s46, v0
	v_cmp_gt_i32_e64 s[8:9], s30, v32
	v_addc_co_u32_e64 v1, s[10:11], v2, v1, s[10:11]
	s_and_b64 s[10:11], s[2:3], s[8:9]
	s_and_saveexec_b64 s[12:13], s[10:11]
	s_cbranch_execz .LBB57_57
; %bb.56:                               ;   in Loop: Header=BB57_4 Depth=1
	v_add_co_u32_e64 v2, s[10:11], v0, v22
	v_addc_co_u32_e64 v3, s[10:11], v1, v23, s[10:11]
	global_load_dwordx2 v[4:5], v[2:3], off
	s_waitcnt vmcnt(0)
	v_fmac_f64_e32 v[4:5], s[34:35], v[38:39]
	global_store_dwordx2 v[2:3], v[4:5], off
.LBB57_57:                              ;   in Loop: Header=BB57_4 Depth=1
	s_or_b64 exec, exec, s[12:13]
	s_and_b64 s[8:9], s[4:5], s[8:9]
	s_and_saveexec_b64 s[10:11], s[8:9]
	s_cbranch_execz .LBB57_59
; %bb.58:                               ;   in Loop: Header=BB57_4 Depth=1
	v_lshlrev_b64 v[2:3], 3, v[16:17]
	v_add_co_u32_e64 v0, s[8:9], v0, v2
	v_addc_co_u32_e64 v1, s[8:9], v1, v3, s[8:9]
	global_load_dwordx2 v[2:3], v[0:1], off
	s_waitcnt vmcnt(0)
	v_fmac_f64_e32 v[2:3], s[34:35], v[36:37]
	global_store_dwordx2 v[0:1], v[2:3], off
.LBB57_59:                              ;   in Loop: Header=BB57_4 Depth=1
	s_or_b64 exec, exec, s[10:11]
	v_add_u32_e32 v0, 16, v32
	v_ashrrev_i32_e32 v1, 31, v0
	v_cmp_gt_i32_e64 s[8:9], s30, v0
	v_mul_lo_u32 v2, v1, s40
	v_mul_lo_u32 v3, v0, s41
	v_mad_u64_u32 v[0:1], s[10:11], v0, s40, 0
	v_add3_u32 v1, v1, v3, v2
	v_lshlrev_b64 v[0:1], 3, v[0:1]
	v_mov_b32_e32 v2, s47
	v_add_co_u32_e64 v0, s[10:11], s46, v0
	v_addc_co_u32_e64 v1, s[10:11], v2, v1, s[10:11]
	s_and_b64 s[10:11], s[2:3], s[8:9]
	s_and_saveexec_b64 s[12:13], s[10:11]
	s_cbranch_execz .LBB57_61
; %bb.60:                               ;   in Loop: Header=BB57_4 Depth=1
	v_add_co_u32_e64 v2, s[10:11], v0, v22
	v_addc_co_u32_e64 v3, s[10:11], v1, v23, s[10:11]
	global_load_dwordx2 v[4:5], v[2:3], off
	s_waitcnt vmcnt(0)
	v_fmac_f64_e32 v[4:5], s[34:35], v[34:35]
	global_store_dwordx2 v[2:3], v[4:5], off
.LBB57_61:                              ;   in Loop: Header=BB57_4 Depth=1
	s_or_b64 exec, exec, s[12:13]
	s_and_b64 s[8:9], s[4:5], s[8:9]
	s_and_saveexec_b64 s[10:11], s[8:9]
	s_cbranch_execz .LBB57_3
; %bb.62:                               ;   in Loop: Header=BB57_4 Depth=1
	v_lshlrev_b64 v[2:3], 3, v[16:17]
	v_add_co_u32_e64 v0, s[8:9], v0, v2
	v_addc_co_u32_e64 v1, s[8:9], v1, v3, s[8:9]
	global_load_dwordx2 v[2:3], v[0:1], off
	s_waitcnt vmcnt(0)
	v_fmac_f64_e32 v[2:3], s[34:35], v[30:31]
	global_store_dwordx2 v[0:1], v[2:3], off
	s_branch .LBB57_3
.LBB57_63:
	s_endpgm
	.section	.rodata,"a",@progbits
	.p2align	6, 0x0
	.amdhsa_kernel _ZL30rocblas_trmm_outofplace_kernelIdLi32ELi2ELb0ELb0ELb1ELb1EdKddEv17rocblas_diagonal_iiT6_lPT7_lllS4_lllPT8_llli
		.amdhsa_group_segment_fixed_size 16384
		.amdhsa_private_segment_fixed_size 0
		.amdhsa_kernarg_size 392
		.amdhsa_user_sgpr_count 6
		.amdhsa_user_sgpr_private_segment_buffer 1
		.amdhsa_user_sgpr_dispatch_ptr 0
		.amdhsa_user_sgpr_queue_ptr 0
		.amdhsa_user_sgpr_kernarg_segment_ptr 1
		.amdhsa_user_sgpr_dispatch_id 0
		.amdhsa_user_sgpr_flat_scratch_init 0
		.amdhsa_user_sgpr_kernarg_preload_length 0
		.amdhsa_user_sgpr_kernarg_preload_offset 0
		.amdhsa_user_sgpr_private_segment_size 0
		.amdhsa_uses_dynamic_stack 0
		.amdhsa_system_sgpr_private_segment_wavefront_offset 0
		.amdhsa_system_sgpr_workgroup_id_x 1
		.amdhsa_system_sgpr_workgroup_id_y 1
		.amdhsa_system_sgpr_workgroup_id_z 1
		.amdhsa_system_sgpr_workgroup_info 0
		.amdhsa_system_vgpr_workitem_id 1
		.amdhsa_next_free_vgpr 86
		.amdhsa_next_free_sgpr 50
		.amdhsa_accum_offset 88
		.amdhsa_reserve_vcc 1
		.amdhsa_reserve_flat_scratch 0
		.amdhsa_float_round_mode_32 0
		.amdhsa_float_round_mode_16_64 0
		.amdhsa_float_denorm_mode_32 3
		.amdhsa_float_denorm_mode_16_64 3
		.amdhsa_dx10_clamp 1
		.amdhsa_ieee_mode 1
		.amdhsa_fp16_overflow 0
		.amdhsa_tg_split 0
		.amdhsa_exception_fp_ieee_invalid_op 0
		.amdhsa_exception_fp_denorm_src 0
		.amdhsa_exception_fp_ieee_div_zero 0
		.amdhsa_exception_fp_ieee_overflow 0
		.amdhsa_exception_fp_ieee_underflow 0
		.amdhsa_exception_fp_ieee_inexact 0
		.amdhsa_exception_int_div_zero 0
	.end_amdhsa_kernel
	.section	.text._ZL30rocblas_trmm_outofplace_kernelIdLi32ELi2ELb0ELb0ELb1ELb1EdKddEv17rocblas_diagonal_iiT6_lPT7_lllS4_lllPT8_llli,"axG",@progbits,_ZL30rocblas_trmm_outofplace_kernelIdLi32ELi2ELb0ELb0ELb1ELb1EdKddEv17rocblas_diagonal_iiT6_lPT7_lllS4_lllPT8_llli,comdat
.Lfunc_end57:
	.size	_ZL30rocblas_trmm_outofplace_kernelIdLi32ELi2ELb0ELb0ELb1ELb1EdKddEv17rocblas_diagonal_iiT6_lPT7_lllS4_lllPT8_llli, .Lfunc_end57-_ZL30rocblas_trmm_outofplace_kernelIdLi32ELi2ELb0ELb0ELb1ELb1EdKddEv17rocblas_diagonal_iiT6_lPT7_lllS4_lllPT8_llli
                                        ; -- End function
	.section	.AMDGPU.csdata,"",@progbits
; Kernel info:
; codeLenInByte = 3496
; NumSgprs: 54
; NumVgprs: 86
; NumAgprs: 0
; TotalNumVgprs: 86
; ScratchSize: 0
; MemoryBound: 1
; FloatMode: 240
; IeeeMode: 1
; LDSByteSize: 16384 bytes/workgroup (compile time only)
; SGPRBlocks: 6
; VGPRBlocks: 10
; NumSGPRsForWavesPerEU: 54
; NumVGPRsForWavesPerEU: 86
; AccumOffset: 88
; Occupancy: 5
; WaveLimiterHint : 0
; COMPUTE_PGM_RSRC2:SCRATCH_EN: 0
; COMPUTE_PGM_RSRC2:USER_SGPR: 6
; COMPUTE_PGM_RSRC2:TRAP_HANDLER: 0
; COMPUTE_PGM_RSRC2:TGID_X_EN: 1
; COMPUTE_PGM_RSRC2:TGID_Y_EN: 1
; COMPUTE_PGM_RSRC2:TGID_Z_EN: 1
; COMPUTE_PGM_RSRC2:TIDIG_COMP_CNT: 1
; COMPUTE_PGM_RSRC3_GFX90A:ACCUM_OFFSET: 21
; COMPUTE_PGM_RSRC3_GFX90A:TG_SPLIT: 0
	.section	.text._ZL30rocblas_trmm_outofplace_kernelIdLi32ELi2ELb0ELb1ELb1ELb1EPKdS0_dEv17rocblas_diagonal_iiT6_lPT7_lllS5_lllPT8_llli,"axG",@progbits,_ZL30rocblas_trmm_outofplace_kernelIdLi32ELi2ELb0ELb1ELb1ELb1EPKdS0_dEv17rocblas_diagonal_iiT6_lPT7_lllS5_lllPT8_llli,comdat
	.globl	_ZL30rocblas_trmm_outofplace_kernelIdLi32ELi2ELb0ELb1ELb1ELb1EPKdS0_dEv17rocblas_diagonal_iiT6_lPT7_lllS5_lllPT8_llli ; -- Begin function _ZL30rocblas_trmm_outofplace_kernelIdLi32ELi2ELb0ELb1ELb1ELb1EPKdS0_dEv17rocblas_diagonal_iiT6_lPT7_lllS5_lllPT8_llli
	.p2align	8
	.type	_ZL30rocblas_trmm_outofplace_kernelIdLi32ELi2ELb0ELb1ELb1ELb1EPKdS0_dEv17rocblas_diagonal_iiT6_lPT7_lllS5_lllPT8_llli,@function
_ZL30rocblas_trmm_outofplace_kernelIdLi32ELi2ELb0ELb1ELb1ELb1EPKdS0_dEv17rocblas_diagonal_iiT6_lPT7_lllS5_lllPT8_llli: ; @_ZL30rocblas_trmm_outofplace_kernelIdLi32ELi2ELb0ELb1ELb1ELb1EPKdS0_dEv17rocblas_diagonal_iiT6_lPT7_lllS5_lllPT8_llli
; %bb.0:
	s_load_dwordx16 s[16:31], s[4:5], 0x10
	s_waitcnt lgkmcnt(0)
	s_mul_i32 s0, s8, s19
	s_mul_hi_u32 s1, s8, s18
	s_add_i32 s1, s1, s0
	s_mul_i32 s0, s8, s18
	s_lshl_b64 s[0:1], s[0:1], 3
	s_add_u32 s0, s16, s0
	s_addc_u32 s1, s17, s1
	s_load_dwordx2 s[34:35], s[0:1], 0x0
	s_waitcnt lgkmcnt(0)
	v_cmp_eq_f64_e64 s[0:1], s[34:35], 0
	s_and_b64 vcc, exec, s[0:1]
	s_cbranch_vccnz .LBB58_63
; %bb.1:
	s_load_dwordx4 s[44:47], s[4:5], 0x0
	s_waitcnt lgkmcnt(0)
	s_add_i32 s0, s46, -1
	s_ashr_i32 s1, s0, 31
	s_lshr_b32 s1, s1, 27
	s_add_i32 s0, s0, s1
	s_ashr_i32 s33, s0, 5
	s_cmp_gt_i32 s7, s33
	s_cbranch_scc1 .LBB58_63
; %bb.2:
	s_load_dwordx8 s[36:43], s[4:5], 0x50
	s_load_dwordx4 s[48:51], s[4:5], 0x70
	s_load_dword s56, s[4:5], 0x8c
	v_and_b32_e32 v4, 0x3ff, v0
	v_bfe_u32 v50, v0, 10, 10
	s_waitcnt lgkmcnt(0)
	s_mul_i32 s1, s8, s39
	s_mul_hi_u32 s2, s8, s38
	s_mul_i32 s0, s8, s38
	s_add_i32 s1, s2, s1
	s_lshl_b64 s[0:1], s[0:1], 3
	s_add_u32 s2, s28, s0
	s_addc_u32 s3, s29, s1
	s_lshl_b64 s[0:1], s[30:31], 3
	s_add_u32 s2, s2, s0
	s_addc_u32 s3, s3, s1
	s_mul_i32 s0, s8, s51
	s_mul_hi_u32 s1, s8, s50
	s_add_i32 s1, s1, s0
	s_mul_i32 s0, s8, s50
	s_lshl_b64 s[0:1], s[0:1], 3
	s_add_u32 s4, s40, s0
	s_addc_u32 s5, s41, s1
	s_lshl_b64 s[0:1], s[42:43], 3
	s_add_u32 s57, s4, s0
	s_addc_u32 s58, s5, s1
	s_cmpk_eq_i32 s44, 0x84
	s_cselect_b64 s[28:29], -1, 0
	s_ashr_i32 s47, s46, 31
	s_ashr_i32 s0, s45, 31
	s_lshl_b64 s[30:31], s[24:25], 8
	s_lshl_b64 s[38:39], s[36:37], 8
	v_lshl_add_u32 v0, s6, 5, v4
	s_add_u32 s40, s46, -16
	v_ashrrev_i32_e32 v1, 31, v0
	s_addc_u32 s41, s47, -1
	s_lshl_b32 s9, s7, 5
	v_lshlrev_b64 v[8:9], 3, v[0:1]
	v_add_u32_e32 v14, s9, v4
	v_add_u32_e32 v16, s9, v50
	s_mul_i32 s9, s27, s8
	s_mul_hi_u32 s10, s26, s8
	v_mov_b32_e32 v2, s3
	v_add_co_u32_e32 v10, vcc, s2, v8
	s_add_i32 s9, s10, s9
	s_mul_i32 s8, s26, s8
	v_addc_co_u32_e32 v11, vcc, v2, v9, vcc
	s_lshl_b32 s6, s56, 5
	s_lshl_b64 s[42:43], s[36:37], 3
	s_lshl_b64 s[8:9], s[8:9], 3
	s_lshl_b64 s[10:11], s[22:23], 3
	v_mov_b32_e32 v3, s0
	v_sub_co_u32_e32 v2, vcc, s45, v0
	s_add_u32 s8, s8, s10
	v_subb_co_u32_e32 v3, vcc, v3, v1, vcc
	v_lshlrev_b32_e32 v1, 3, v4
	s_addc_u32 s9, s9, s11
	v_lshlrev_b32_e32 v51, 8, v50
	v_or_b32_e32 v53, 0x2000, v1
	v_add_u32_e32 v12, 16, v0
	s_add_u32 s20, s20, s8
	v_add_u32_e32 v52, v51, v1
	v_cmp_gt_i64_e64 s[0:1], 1, v[2:3]
	v_add_u32_e32 v54, v53, v51
	v_cmp_gt_i64_e64 s[2:3], 17, v[2:3]
	v_cmp_gt_i32_e64 s[4:5], s45, v0
	v_cmp_gt_i32_e64 s[16:17], s45, v12
	v_ashrrev_i32_e32 v13, 31, v12
	s_addc_u32 s21, s21, s9
	s_lshl_b64 s[22:23], s[24:25], 3
	s_movk_i32 s59, 0x80
	v_mov_b32_e32 v18, 0
	v_mov_b32_e32 v19, 0x3ff00000
	s_branch .LBB58_4
.LBB58_3:                               ;   in Loop: Header=BB58_4 Depth=1
	s_or_b64 exec, exec, s[8:9]
	s_add_i32 s7, s56, s7
	v_add_u32_e32 v14, s6, v14
	s_cmp_le_i32 s7, s33
	v_add_u32_e32 v16, s6, v16
	s_cbranch_scc0 .LBB58_63
.LBB58_4:                               ; =>This Loop Header: Depth=1
                                        ;     Child Loop BB58_7 Depth 2
	s_lshl_b32 s8, s7, 5
	v_add_u32_e32 v20, s8, v50
	s_sub_i32 s60, s46, s8
	v_pk_mov_b32 v[34:35], 0, 0
	v_ashrrev_i32_e32 v15, 31, v14
	v_ashrrev_i32_e32 v17, 31, v16
	;; [unrolled: 1-line block ×3, first 2 shown]
	s_cmp_lt_i32 s60, 1
	v_pk_mov_b32 v[28:29], v[34:35], v[34:35] op_sel:[0,1]
	v_pk_mov_b32 v[24:25], v[34:35], v[34:35] op_sel:[0,1]
	;; [unrolled: 1-line block ×3, first 2 shown]
	s_cbranch_scc1 .LBB58_55
; %bb.5:                                ;   in Loop: Header=BB58_4 Depth=1
	v_mov_b32_e32 v0, 0x80
	v_mov_b32_e32 v1, 0
	v_sub_co_u32_e32 v26, vcc, v16, v14
	v_mad_u64_u32 v[30:31], s[8:9], s42, v16, v[0:1]
	v_mul_lo_u32 v2, s42, v17
	v_mul_lo_u32 v3, s43, v16
	v_subb_co_u32_e32 v27, vcc, v17, v15, vcc
	v_add3_u32 v31, v3, v31, v2
	v_lshlrev_b64 v[2:3], 3, v[14:15]
	v_add_co_u32_e32 v4, vcc, 0x80, v2
	v_addc_co_u32_e32 v2, vcc, 0, v3, vcc
	v_mul_lo_u32 v5, s24, v2
	v_pk_mov_b32 v[2:3], s[20:21], s[20:21] op_sel:[0,1]
	v_lshlrev_b64 v[32:33], 3, v[16:17]
	v_mad_u64_u32 v[36:37], s[8:9], s24, v4, v[2:3]
	v_mad_u64_u32 v[38:39], s[8:9], s22, v14, v[2:3]
	v_mul_lo_u32 v2, s22, v15
	v_mul_lo_u32 v3, s23, v14
	v_add3_u32 v39, v3, v39, v2
	v_add_co_u32_e32 v2, vcc, s59, v32
	v_mad_u64_u32 v[40:41], s[8:9], s36, v2, v[0:1]
	v_add_co_u32_e64 v44, s[10:11], 16, v26
	v_addc_co_u32_e32 v3, vcc, 0, v33, vcc
	v_add_co_u32_e64 v42, s[8:9], 16, v20
	v_addc_co_u32_e64 v45, s[10:11], 0, v27, s[10:11]
	v_mul_lo_u32 v6, s25, v4
	v_mul_lo_u32 v3, s36, v3
	;; [unrolled: 1-line block ×3, first 2 shown]
	v_addc_co_u32_e64 v43, s[8:9], 0, v21, s[8:9]
	v_add_co_u32_e64 v46, s[10:11], -16, v26
	v_pk_mov_b32 v[22:23], 0, 0
	v_add3_u32 v37, v6, v37, v5
	v_add3_u32 v41, v4, v41, v3
	v_cmp_le_i32_e32 vcc, s46, v20
	v_cmp_le_i64_e64 s[8:9], s[46:47], v[42:43]
	v_addc_co_u32_e64 v47, s[10:11], -1, v27, s[10:11]
	s_mov_b64 s[26:27], 0
	v_pk_mov_b32 v[48:49], v[10:11], v[10:11] op_sel:[0,1]
	v_pk_mov_b32 v[24:25], v[22:23], v[22:23] op_sel:[0,1]
	;; [unrolled: 1-line block ×4, first 2 shown]
	s_branch .LBB58_7
.LBB58_6:                               ;   in Loop: Header=BB58_7 Depth=2
	s_or_b64 exec, exec, s[10:11]
	s_waitcnt lgkmcnt(0)
	s_barrier
	ds_read2_b64 v[56:59], v53 offset1:16
	ds_read_b128 v[60:63], v51
	ds_read_b128 v[64:67], v51 offset:16
	ds_read_b128 v[4:7], v51 offset:32
	;; [unrolled: 1-line block ×4, first 2 shown]
	ds_read2_b64 v[72:75], v53 offset0:32 offset1:48
	s_waitcnt lgkmcnt(5)
	v_fmac_f64_e32 v[34:35], v[56:57], v[60:61]
	v_fmac_f64_e32 v[28:29], v[58:59], v[60:61]
	ds_read_b128 v[76:79], v51 offset:4112
	s_waitcnt lgkmcnt(2)
	v_fmac_f64_e32 v[24:25], v[56:57], v[68:69]
	v_fmac_f64_e32 v[22:23], v[58:59], v[68:69]
	ds_read2_b64 v[56:59], v53 offset0:64 offset1:80
	s_waitcnt lgkmcnt(2)
	v_fmac_f64_e32 v[34:35], v[72:73], v[62:63]
	v_fmac_f64_e32 v[28:29], v[74:75], v[62:63]
	ds_read2_b64 v[60:63], v53 offset0:96 offset1:112
	v_fmac_f64_e32 v[24:25], v[72:73], v[70:71]
	v_fmac_f64_e32 v[22:23], v[74:75], v[70:71]
	ds_read_b128 v[68:71], v51 offset:4144
	s_waitcnt lgkmcnt(2)
	v_fmac_f64_e32 v[34:35], v[56:57], v[64:65]
	v_fmac_f64_e32 v[28:29], v[58:59], v[64:65]
	;; [unrolled: 1-line block ×4, first 2 shown]
	s_waitcnt lgkmcnt(1)
	v_fmac_f64_e32 v[34:35], v[60:61], v[66:67]
	ds_read2_b64 v[56:59], v53 offset0:128 offset1:144
	v_fmac_f64_e32 v[28:29], v[62:63], v[66:67]
	v_fmac_f64_e32 v[24:25], v[60:61], v[78:79]
	;; [unrolled: 1-line block ×3, first 2 shown]
	ds_read_b128 v[60:63], v51 offset:4128
	ds_read2_b64 v[64:67], v53 offset0:160 offset1:176
	s_waitcnt lgkmcnt(2)
	v_fmac_f64_e32 v[34:35], v[56:57], v[4:5]
	v_fmac_f64_e32 v[28:29], v[58:59], v[4:5]
	v_add_u32_e32 v55, 0x800, v53
	s_waitcnt lgkmcnt(1)
	v_fmac_f64_e32 v[24:25], v[56:57], v[60:61]
	v_fmac_f64_e32 v[22:23], v[58:59], v[60:61]
	ds_read2_b64 v[56:59], v53 offset0:192 offset1:208
	s_waitcnt lgkmcnt(1)
	v_fmac_f64_e32 v[34:35], v[64:65], v[6:7]
	v_fmac_f64_e32 v[28:29], v[66:67], v[6:7]
	ds_read2_b64 v[4:7], v53 offset0:224 offset1:240
	v_fmac_f64_e32 v[24:25], v[64:65], v[62:63]
	v_fmac_f64_e32 v[22:23], v[66:67], v[62:63]
	s_waitcnt lgkmcnt(1)
	v_fmac_f64_e32 v[34:35], v[56:57], v[0:1]
	v_fmac_f64_e32 v[28:29], v[58:59], v[0:1]
	;; [unrolled: 1-line block ×4, first 2 shown]
	s_waitcnt lgkmcnt(0)
	v_fmac_f64_e32 v[34:35], v[4:5], v[2:3]
	v_fmac_f64_e32 v[28:29], v[6:7], v[2:3]
	ds_read2_b64 v[0:3], v55 offset1:16
	ds_read_b128 v[56:59], v51 offset:64
	v_fmac_f64_e32 v[24:25], v[4:5], v[70:71]
	v_fmac_f64_e32 v[22:23], v[6:7], v[70:71]
	ds_read_b128 v[4:7], v51 offset:80
	ds_read_b128 v[60:63], v51 offset:4160
	ds_read2_b64 v[64:67], v55 offset0:32 offset1:48
	s_waitcnt lgkmcnt(3)
	v_fmac_f64_e32 v[34:35], v[0:1], v[56:57]
	v_fmac_f64_e32 v[28:29], v[2:3], v[56:57]
	ds_read_b128 v[68:71], v51 offset:4176
	s_waitcnt lgkmcnt(2)
	v_fmac_f64_e32 v[24:25], v[0:1], v[60:61]
	v_fmac_f64_e32 v[22:23], v[2:3], v[60:61]
	ds_read2_b64 v[0:3], v55 offset0:64 offset1:80
	s_waitcnt lgkmcnt(2)
	v_fmac_f64_e32 v[34:35], v[64:65], v[58:59]
	v_fmac_f64_e32 v[28:29], v[66:67], v[58:59]
	ds_read2_b64 v[56:59], v55 offset0:96 offset1:112
	v_fmac_f64_e32 v[24:25], v[64:65], v[62:63]
	v_fmac_f64_e32 v[22:23], v[66:67], v[62:63]
	s_waitcnt lgkmcnt(1)
	v_fmac_f64_e32 v[34:35], v[0:1], v[4:5]
	v_fmac_f64_e32 v[28:29], v[2:3], v[4:5]
	;; [unrolled: 1-line block ×4, first 2 shown]
	s_waitcnt lgkmcnt(0)
	v_fmac_f64_e32 v[34:35], v[56:57], v[6:7]
	v_fmac_f64_e32 v[28:29], v[58:59], v[6:7]
	ds_read2_b64 v[0:3], v55 offset0:128 offset1:144
	ds_read_b128 v[4:7], v51 offset:96
	v_fmac_f64_e32 v[24:25], v[56:57], v[70:71]
	v_fmac_f64_e32 v[22:23], v[58:59], v[70:71]
	ds_read_b128 v[56:59], v51 offset:112
	ds_read_b128 v[60:63], v51 offset:4192
	ds_read2_b64 v[64:67], v55 offset0:160 offset1:176
	s_waitcnt lgkmcnt(3)
	v_fmac_f64_e32 v[34:35], v[0:1], v[4:5]
	v_fmac_f64_e32 v[28:29], v[2:3], v[4:5]
	ds_read_b128 v[68:71], v51 offset:4208
	s_waitcnt lgkmcnt(2)
	v_fmac_f64_e32 v[24:25], v[0:1], v[60:61]
	v_fmac_f64_e32 v[22:23], v[2:3], v[60:61]
	ds_read2_b64 v[0:3], v55 offset0:192 offset1:208
	s_waitcnt lgkmcnt(2)
	v_fmac_f64_e32 v[34:35], v[64:65], v[6:7]
	v_fmac_f64_e32 v[28:29], v[66:67], v[6:7]
	ds_read2_b64 v[4:7], v55 offset0:224 offset1:240
	v_fmac_f64_e32 v[24:25], v[64:65], v[62:63]
	v_fmac_f64_e32 v[22:23], v[66:67], v[62:63]
	s_waitcnt lgkmcnt(1)
	v_fmac_f64_e32 v[34:35], v[0:1], v[56:57]
	v_fmac_f64_e32 v[28:29], v[2:3], v[56:57]
	;; [unrolled: 1-line block ×4, first 2 shown]
	v_add_u32_e32 v55, 0x1000, v53
	s_waitcnt lgkmcnt(0)
	v_fmac_f64_e32 v[34:35], v[4:5], v[58:59]
	v_fmac_f64_e32 v[28:29], v[6:7], v[58:59]
	ds_read2_b64 v[0:3], v55 offset1:16
	ds_read_b128 v[56:59], v51 offset:128
	v_fmac_f64_e32 v[24:25], v[4:5], v[70:71]
	v_fmac_f64_e32 v[22:23], v[6:7], v[70:71]
	ds_read_b128 v[4:7], v51 offset:144
	ds_read_b128 v[60:63], v51 offset:4224
	ds_read2_b64 v[64:67], v55 offset0:32 offset1:48
	s_waitcnt lgkmcnt(3)
	v_fmac_f64_e32 v[34:35], v[0:1], v[56:57]
	v_fmac_f64_e32 v[28:29], v[2:3], v[56:57]
	ds_read_b128 v[68:71], v51 offset:4240
	s_waitcnt lgkmcnt(2)
	v_fmac_f64_e32 v[24:25], v[0:1], v[60:61]
	v_fmac_f64_e32 v[22:23], v[2:3], v[60:61]
	ds_read2_b64 v[0:3], v55 offset0:64 offset1:80
	s_waitcnt lgkmcnt(2)
	v_fmac_f64_e32 v[34:35], v[64:65], v[58:59]
	v_fmac_f64_e32 v[28:29], v[66:67], v[58:59]
	ds_read2_b64 v[56:59], v55 offset0:96 offset1:112
	v_fmac_f64_e32 v[24:25], v[64:65], v[62:63]
	v_fmac_f64_e32 v[22:23], v[66:67], v[62:63]
	s_waitcnt lgkmcnt(1)
	v_fmac_f64_e32 v[34:35], v[0:1], v[4:5]
	v_fmac_f64_e32 v[28:29], v[2:3], v[4:5]
	;; [unrolled: 1-line block ×4, first 2 shown]
	s_waitcnt lgkmcnt(0)
	v_fmac_f64_e32 v[34:35], v[56:57], v[6:7]
	v_fmac_f64_e32 v[28:29], v[58:59], v[6:7]
	ds_read2_b64 v[0:3], v55 offset0:128 offset1:144
	ds_read_b128 v[4:7], v51 offset:160
	v_fmac_f64_e32 v[24:25], v[56:57], v[70:71]
	v_fmac_f64_e32 v[22:23], v[58:59], v[70:71]
	ds_read_b128 v[56:59], v51 offset:176
	ds_read_b128 v[60:63], v51 offset:4256
	ds_read2_b64 v[64:67], v55 offset0:160 offset1:176
	s_waitcnt lgkmcnt(3)
	v_fmac_f64_e32 v[34:35], v[0:1], v[4:5]
	v_fmac_f64_e32 v[28:29], v[2:3], v[4:5]
	ds_read_b128 v[68:71], v51 offset:4272
	s_waitcnt lgkmcnt(2)
	v_fmac_f64_e32 v[24:25], v[0:1], v[60:61]
	v_fmac_f64_e32 v[22:23], v[2:3], v[60:61]
	ds_read2_b64 v[0:3], v55 offset0:192 offset1:208
	s_waitcnt lgkmcnt(2)
	v_fmac_f64_e32 v[34:35], v[64:65], v[6:7]
	v_fmac_f64_e32 v[28:29], v[66:67], v[6:7]
	ds_read2_b64 v[4:7], v55 offset0:224 offset1:240
	v_fmac_f64_e32 v[24:25], v[64:65], v[62:63]
	v_fmac_f64_e32 v[22:23], v[66:67], v[62:63]
	s_waitcnt lgkmcnt(1)
	v_fmac_f64_e32 v[34:35], v[0:1], v[56:57]
	v_fmac_f64_e32 v[28:29], v[2:3], v[56:57]
	;; [unrolled: 1-line block ×4, first 2 shown]
	v_add_u32_e32 v55, 0x1800, v53
	s_waitcnt lgkmcnt(0)
	v_fmac_f64_e32 v[34:35], v[4:5], v[58:59]
	v_fmac_f64_e32 v[28:29], v[6:7], v[58:59]
	ds_read2_b64 v[0:3], v55 offset1:16
	ds_read_b128 v[56:59], v51 offset:192
	v_fmac_f64_e32 v[24:25], v[4:5], v[70:71]
	v_fmac_f64_e32 v[22:23], v[6:7], v[70:71]
	ds_read_b128 v[4:7], v51 offset:208
	ds_read_b128 v[60:63], v51 offset:4288
	ds_read2_b64 v[64:67], v55 offset0:32 offset1:48
	s_waitcnt lgkmcnt(3)
	v_fmac_f64_e32 v[34:35], v[0:1], v[56:57]
	v_fmac_f64_e32 v[28:29], v[2:3], v[56:57]
	ds_read_b128 v[68:71], v51 offset:4304
	s_waitcnt lgkmcnt(2)
	v_fmac_f64_e32 v[24:25], v[0:1], v[60:61]
	v_fmac_f64_e32 v[22:23], v[2:3], v[60:61]
	ds_read2_b64 v[0:3], v55 offset0:64 offset1:80
	s_waitcnt lgkmcnt(2)
	v_fmac_f64_e32 v[34:35], v[64:65], v[58:59]
	v_fmac_f64_e32 v[28:29], v[66:67], v[58:59]
	ds_read2_b64 v[56:59], v55 offset0:96 offset1:112
	v_fmac_f64_e32 v[24:25], v[64:65], v[62:63]
	v_fmac_f64_e32 v[22:23], v[66:67], v[62:63]
	s_waitcnt lgkmcnt(1)
	v_fmac_f64_e32 v[34:35], v[0:1], v[4:5]
	v_fmac_f64_e32 v[28:29], v[2:3], v[4:5]
	;; [unrolled: 1-line block ×4, first 2 shown]
	s_waitcnt lgkmcnt(0)
	v_fmac_f64_e32 v[34:35], v[56:57], v[6:7]
	v_fmac_f64_e32 v[28:29], v[58:59], v[6:7]
	ds_read2_b64 v[0:3], v55 offset0:128 offset1:144
	ds_read_b128 v[4:7], v51 offset:224
	v_fmac_f64_e32 v[24:25], v[56:57], v[70:71]
	v_fmac_f64_e32 v[22:23], v[58:59], v[70:71]
	ds_read_b128 v[56:59], v51 offset:240
	ds_read_b128 v[60:63], v51 offset:4320
	ds_read2_b64 v[64:67], v55 offset0:160 offset1:176
	s_waitcnt lgkmcnt(3)
	v_fmac_f64_e32 v[34:35], v[0:1], v[4:5]
	v_fmac_f64_e32 v[28:29], v[2:3], v[4:5]
	ds_read_b128 v[68:71], v51 offset:4336
	s_waitcnt lgkmcnt(2)
	v_fmac_f64_e32 v[24:25], v[0:1], v[60:61]
	v_fmac_f64_e32 v[22:23], v[2:3], v[60:61]
	ds_read2_b64 v[0:3], v55 offset0:192 offset1:208
	s_waitcnt lgkmcnt(2)
	v_fmac_f64_e32 v[34:35], v[64:65], v[6:7]
	v_fmac_f64_e32 v[24:25], v[64:65], v[62:63]
	v_fmac_f64_e32 v[28:29], v[66:67], v[6:7]
	ds_read2_b64 v[4:7], v55 offset0:224 offset1:240
	s_waitcnt lgkmcnt(1)
	v_fmac_f64_e32 v[34:35], v[0:1], v[56:57]
	v_fmac_f64_e32 v[24:25], v[0:1], v[68:69]
	v_mov_b32_e32 v0, s39
	v_add_co_u32_e64 v48, s[10:11], s38, v48
	v_addc_co_u32_e64 v49, s[10:11], v49, v0, s[10:11]
	v_mov_b32_e32 v0, s31
	v_add_co_u32_e64 v36, s[10:11], s30, v36
	v_fmac_f64_e32 v[22:23], v[66:67], v[62:63]
	s_add_u32 s26, s26, 32
	v_addc_co_u32_e64 v37, s[10:11], v37, v0, s[10:11]
	v_fmac_f64_e32 v[28:29], v[2:3], v[56:57]
	v_fmac_f64_e32 v[22:23], v[2:3], v[68:69]
	s_addc_u32 s27, s27, 0
	v_add_co_u32_e64 v38, s[10:11], s30, v38
	s_waitcnt lgkmcnt(0)
	v_fmac_f64_e32 v[34:35], v[4:5], v[58:59]
	v_fmac_f64_e32 v[28:29], v[6:7], v[58:59]
	;; [unrolled: 1-line block ×4, first 2 shown]
	s_cmp_ge_i32 s26, s60
	v_addc_co_u32_e64 v39, s[10:11], v39, v0, s[10:11]
	s_barrier
	s_cbranch_scc1 .LBB58_55
.LBB58_7:                               ;   Parent Loop BB58_4 Depth=1
                                        ; =>  This Inner Loop Header: Depth=2
	v_mov_b32_e32 v0, s27
	v_add_co_u32_e64 v2, s[10:11], s26, v14
	v_addc_co_u32_e64 v3, s[10:11], v15, v0, s[10:11]
	v_add_co_u32_e64 v0, s[10:11], v38, v32
	v_addc_co_u32_e64 v1, s[10:11], v39, v33, s[10:11]
	v_cmp_eq_u64_e64 s[10:11], s[26:27], v[26:27]
	s_and_b64 s[50:51], s[28:29], s[10:11]
	v_cmp_lt_i64_e64 s[10:11], v[2:3], v[20:21]
	v_cmp_le_i64_e64 s[12:13], s[46:47], v[2:3]
	s_or_b64 s[14:15], vcc, s[10:11]
	s_or_b64 s[14:15], s[12:13], s[14:15]
	s_or_b64 s[14:15], s[14:15], s[50:51]
	s_xor_b64 s[14:15], s[14:15], -1
	s_and_saveexec_b64 s[18:19], s[14:15]
	s_xor_b64 s[14:15], exec, s[18:19]
	s_cbranch_execz .LBB58_9
; %bb.8:                                ;   in Loop: Header=BB58_7 Depth=2
	global_load_dwordx2 v[4:5], v[0:1], off
	s_waitcnt vmcnt(0)
	ds_write_b64 v52, v[4:5]
.LBB58_9:                               ;   in Loop: Header=BB58_7 Depth=2
	s_or_saveexec_b64 s[14:15], s[14:15]
	s_xor_b64 s[44:45], s[50:51], -1
	s_xor_b64 exec, exec, s[14:15]
	s_cbranch_execz .LBB58_15
; %bb.10:                               ;   in Loop: Header=BB58_7 Depth=2
	s_and_saveexec_b64 s[18:19], s[44:45]
	s_xor_b64 s[18:19], exec, s[18:19]
	s_cbranch_execz .LBB58_12
; %bb.11:                               ;   in Loop: Header=BB58_7 Depth=2
	v_mov_b32_e32 v4, v18
	v_mov_b32_e32 v5, v18
	ds_write_b64 v52, v[4:5]
.LBB58_12:                              ;   in Loop: Header=BB58_7 Depth=2
	s_andn2_saveexec_b64 s[18:19], s[18:19]
	s_cbranch_execz .LBB58_14
; %bb.13:                               ;   in Loop: Header=BB58_7 Depth=2
	ds_write_b64 v52, v[18:19]
.LBB58_14:                              ;   in Loop: Header=BB58_7 Depth=2
	s_or_b64 exec, exec, s[18:19]
.LBB58_15:                              ;   in Loop: Header=BB58_7 Depth=2
	s_or_b64 exec, exec, s[14:15]
	v_add_co_u32_e64 v4, s[14:15], 16, v2
	v_addc_co_u32_e64 v5, s[14:15], 0, v3, s[14:15]
	v_cmp_eq_u64_e64 s[14:15], s[26:27], v[46:47]
	v_cmp_lt_i64_e64 s[18:19], v[4:5], v[20:21]
	s_and_b64 s[52:53], s[28:29], s[14:15]
	v_cmp_le_i64_e64 s[14:15], s[46:47], v[4:5]
	s_or_b64 s[18:19], vcc, s[18:19]
	s_or_b64 s[18:19], s[14:15], s[18:19]
	s_or_b64 s[18:19], s[18:19], s[52:53]
	s_xor_b64 s[18:19], s[18:19], -1
	s_and_saveexec_b64 s[54:55], s[18:19]
	s_xor_b64 s[54:55], exec, s[54:55]
	s_cbranch_execz .LBB58_17
; %bb.16:                               ;   in Loop: Header=BB58_7 Depth=2
	v_add_co_u32_e64 v4, s[18:19], v36, v32
	v_addc_co_u32_e64 v5, s[18:19], v37, v33, s[18:19]
	global_load_dwordx2 v[4:5], v[4:5], off
	s_waitcnt vmcnt(0)
	ds_write_b64 v52, v[4:5] offset:128
.LBB58_17:                              ;   in Loop: Header=BB58_7 Depth=2
	s_andn2_saveexec_b64 s[18:19], s[54:55]
	s_cbranch_execz .LBB58_23
; %bb.18:                               ;   in Loop: Header=BB58_7 Depth=2
	s_xor_b64 s[52:53], s[52:53], -1
	s_and_saveexec_b64 s[54:55], s[52:53]
	s_xor_b64 s[52:53], exec, s[54:55]
	s_cbranch_execz .LBB58_20
; %bb.19:                               ;   in Loop: Header=BB58_7 Depth=2
	v_mov_b32_e32 v4, v18
	v_mov_b32_e32 v5, v18
	ds_write_b64 v52, v[4:5] offset:128
.LBB58_20:                              ;   in Loop: Header=BB58_7 Depth=2
	s_andn2_saveexec_b64 s[52:53], s[52:53]
	s_cbranch_execz .LBB58_22
; %bb.21:                               ;   in Loop: Header=BB58_7 Depth=2
	ds_write_b64 v52, v[18:19] offset:128
.LBB58_22:                              ;   in Loop: Header=BB58_7 Depth=2
	s_or_b64 exec, exec, s[52:53]
.LBB58_23:                              ;   in Loop: Header=BB58_7 Depth=2
	s_or_b64 exec, exec, s[18:19]
	v_cmp_eq_u64_e64 s[18:19], s[26:27], v[44:45]
	s_and_b64 s[52:53], s[28:29], s[18:19]
	v_cmp_lt_i64_e64 s[18:19], v[2:3], v[42:43]
	s_or_b64 s[18:19], s[8:9], s[18:19]
	s_or_b64 s[18:19], s[18:19], s[52:53]
	;; [unrolled: 1-line block ×3, first 2 shown]
	s_xor_b64 s[12:13], s[12:13], -1
	s_and_saveexec_b64 s[18:19], s[12:13]
	s_xor_b64 s[12:13], exec, s[18:19]
	s_cbranch_execz .LBB58_25
; %bb.24:                               ;   in Loop: Header=BB58_7 Depth=2
	global_load_dwordx2 v[0:1], v[0:1], off offset:128
	s_waitcnt vmcnt(0)
	ds_write_b64 v52, v[0:1] offset:4096
.LBB58_25:                              ;   in Loop: Header=BB58_7 Depth=2
	s_andn2_saveexec_b64 s[12:13], s[12:13]
	s_cbranch_execz .LBB58_31
; %bb.26:                               ;   in Loop: Header=BB58_7 Depth=2
	s_xor_b64 s[18:19], s[52:53], -1
	s_and_saveexec_b64 s[52:53], s[18:19]
	s_xor_b64 s[18:19], exec, s[52:53]
	s_cbranch_execz .LBB58_28
; %bb.27:                               ;   in Loop: Header=BB58_7 Depth=2
	v_mov_b32_e32 v0, v18
	v_mov_b32_e32 v1, v18
	ds_write_b64 v52, v[0:1] offset:4096
.LBB58_28:                              ;   in Loop: Header=BB58_7 Depth=2
	s_andn2_saveexec_b64 s[18:19], s[18:19]
	s_cbranch_execz .LBB58_30
; %bb.29:                               ;   in Loop: Header=BB58_7 Depth=2
	ds_write_b64 v52, v[18:19] offset:4096
.LBB58_30:                              ;   in Loop: Header=BB58_7 Depth=2
	s_or_b64 exec, exec, s[18:19]
.LBB58_31:                              ;   in Loop: Header=BB58_7 Depth=2
	s_or_b64 exec, exec, s[12:13]
	s_or_b64 s[10:11], s[8:9], s[10:11]
	s_or_b64 s[10:11], s[14:15], s[10:11]
	;; [unrolled: 1-line block ×3, first 2 shown]
	s_xor_b64 s[10:11], s[10:11], -1
	s_and_saveexec_b64 s[12:13], s[10:11]
	s_xor_b64 s[12:13], exec, s[12:13]
	s_cbranch_execz .LBB58_33
; %bb.32:                               ;   in Loop: Header=BB58_7 Depth=2
	v_add_co_u32_e64 v0, s[10:11], v36, v32
	v_addc_co_u32_e64 v1, s[10:11], v37, v33, s[10:11]
	global_load_dwordx2 v[0:1], v[0:1], off offset:128
	s_waitcnt vmcnt(0)
	ds_write_b64 v52, v[0:1] offset:4224
.LBB58_33:                              ;   in Loop: Header=BB58_7 Depth=2
	s_andn2_saveexec_b64 s[10:11], s[12:13]
	s_cbranch_execz .LBB58_39
; %bb.34:                               ;   in Loop: Header=BB58_7 Depth=2
	s_and_saveexec_b64 s[12:13], s[44:45]
	s_xor_b64 s[12:13], exec, s[12:13]
	s_cbranch_execz .LBB58_36
; %bb.35:                               ;   in Loop: Header=BB58_7 Depth=2
	v_mov_b32_e32 v0, v18
	v_mov_b32_e32 v1, v18
	ds_write_b64 v52, v[0:1] offset:4224
.LBB58_36:                              ;   in Loop: Header=BB58_7 Depth=2
	s_andn2_saveexec_b64 s[12:13], s[12:13]
	s_cbranch_execz .LBB58_38
; %bb.37:                               ;   in Loop: Header=BB58_7 Depth=2
	ds_write_b64 v52, v[18:19] offset:4224
.LBB58_38:                              ;   in Loop: Header=BB58_7 Depth=2
	s_or_b64 exec, exec, s[12:13]
.LBB58_39:                              ;   in Loop: Header=BB58_7 Depth=2
	s_or_b64 exec, exec, s[10:11]
	v_mov_b32_e32 v1, s27
	v_add_co_u32_e64 v0, s[10:11], s26, v16
	v_addc_co_u32_e64 v1, s[10:11], v17, v1, s[10:11]
	v_add_co_u32_e64 v2, s[10:11], v48, v30
	v_addc_co_u32_e64 v3, s[10:11], v49, v31, s[10:11]
	v_cmp_le_i64_e64 s[10:11], s[46:47], v[0:1]
	s_or_b64 s[12:13], s[10:11], s[0:1]
	s_xor_b64 s[12:13], s[12:13], -1
	s_and_saveexec_b64 s[14:15], s[12:13]
	s_xor_b64 s[12:13], exec, s[14:15]
	s_cbranch_execz .LBB58_41
; %bb.40:                               ;   in Loop: Header=BB58_7 Depth=2
	global_load_dwordx2 v[4:5], v[2:3], off offset:-128
	s_waitcnt vmcnt(0)
	ds_write_b64 v54, v[4:5]
.LBB58_41:                              ;   in Loop: Header=BB58_7 Depth=2
	s_andn2_saveexec_b64 s[12:13], s[12:13]
	s_cbranch_execz .LBB58_43
; %bb.42:                               ;   in Loop: Header=BB58_7 Depth=2
	v_mov_b32_e32 v4, v18
	v_mov_b32_e32 v5, v18
	ds_write_b64 v54, v[4:5]
.LBB58_43:                              ;   in Loop: Header=BB58_7 Depth=2
	s_or_b64 exec, exec, s[12:13]
	s_or_b64 s[10:11], s[10:11], s[2:3]
	s_xor_b64 s[10:11], s[10:11], -1
	s_and_saveexec_b64 s[12:13], s[10:11]
	s_xor_b64 s[10:11], exec, s[12:13]
	s_cbranch_execz .LBB58_45
; %bb.44:                               ;   in Loop: Header=BB58_7 Depth=2
	global_load_dwordx2 v[2:3], v[2:3], off
	s_waitcnt vmcnt(0)
	ds_write_b64 v54, v[2:3] offset:128
.LBB58_45:                              ;   in Loop: Header=BB58_7 Depth=2
	s_andn2_saveexec_b64 s[10:11], s[10:11]
	s_cbranch_execz .LBB58_47
; %bb.46:                               ;   in Loop: Header=BB58_7 Depth=2
	v_mov_b32_e32 v2, v18
	v_mov_b32_e32 v3, v18
	ds_write_b64 v54, v[2:3] offset:128
.LBB58_47:                              ;   in Loop: Header=BB58_7 Depth=2
	s_or_b64 exec, exec, s[10:11]
	v_cmp_le_i64_e64 s[10:11], s[40:41], v[0:1]
	s_or_b64 s[12:13], s[10:11], s[0:1]
	s_xor_b64 s[12:13], s[12:13], -1
	s_and_saveexec_b64 s[14:15], s[12:13]
	s_xor_b64 s[14:15], exec, s[14:15]
	s_cbranch_execz .LBB58_49
; %bb.48:                               ;   in Loop: Header=BB58_7 Depth=2
	v_add_co_u32_e64 v0, s[12:13], v48, v40
	v_addc_co_u32_e64 v1, s[12:13], v49, v41, s[12:13]
	global_load_dwordx2 v[0:1], v[0:1], off offset:-128
	s_waitcnt vmcnt(0)
	ds_write_b64 v54, v[0:1] offset:4096
.LBB58_49:                              ;   in Loop: Header=BB58_7 Depth=2
	s_andn2_saveexec_b64 s[12:13], s[14:15]
	s_cbranch_execz .LBB58_51
; %bb.50:                               ;   in Loop: Header=BB58_7 Depth=2
	v_mov_b32_e32 v0, v18
	v_mov_b32_e32 v1, v18
	ds_write_b64 v54, v[0:1] offset:4096
.LBB58_51:                              ;   in Loop: Header=BB58_7 Depth=2
	s_or_b64 exec, exec, s[12:13]
	s_or_b64 s[10:11], s[10:11], s[2:3]
	s_xor_b64 s[10:11], s[10:11], -1
	s_and_saveexec_b64 s[12:13], s[10:11]
	s_xor_b64 s[12:13], exec, s[12:13]
	s_cbranch_execz .LBB58_53
; %bb.52:                               ;   in Loop: Header=BB58_7 Depth=2
	v_add_co_u32_e64 v0, s[10:11], v48, v40
	v_addc_co_u32_e64 v1, s[10:11], v49, v41, s[10:11]
	global_load_dwordx2 v[0:1], v[0:1], off
	s_waitcnt vmcnt(0)
	ds_write_b64 v54, v[0:1] offset:4224
.LBB58_53:                              ;   in Loop: Header=BB58_7 Depth=2
	s_andn2_saveexec_b64 s[10:11], s[12:13]
	s_cbranch_execz .LBB58_6
; %bb.54:                               ;   in Loop: Header=BB58_7 Depth=2
	v_mov_b32_e32 v0, v18
	v_mov_b32_e32 v1, v18
	ds_write_b64 v54, v[0:1] offset:4224
	s_branch .LBB58_6
.LBB58_55:                              ;   in Loop: Header=BB58_4 Depth=1
	v_mul_lo_u32 v2, v21, s48
	v_mul_lo_u32 v3, v20, s49
	v_mad_u64_u32 v[0:1], s[8:9], v20, s48, 0
	v_add3_u32 v1, v1, v3, v2
	v_lshlrev_b64 v[0:1], 3, v[0:1]
	v_mov_b32_e32 v2, s58
	v_add_co_u32_e64 v0, s[8:9], s57, v0
	v_cmp_gt_i32_e32 vcc, s46, v20
	v_addc_co_u32_e64 v1, s[8:9], v2, v1, s[8:9]
	s_and_b64 s[8:9], s[4:5], vcc
	s_and_saveexec_b64 s[10:11], s[8:9]
	s_cbranch_execz .LBB58_57
; %bb.56:                               ;   in Loop: Header=BB58_4 Depth=1
	v_add_co_u32_e64 v2, s[8:9], v0, v8
	v_addc_co_u32_e64 v3, s[8:9], v1, v9, s[8:9]
	global_load_dwordx2 v[4:5], v[2:3], off
	s_waitcnt vmcnt(0)
	v_fmac_f64_e32 v[4:5], s[34:35], v[34:35]
	global_store_dwordx2 v[2:3], v[4:5], off
.LBB58_57:                              ;   in Loop: Header=BB58_4 Depth=1
	s_or_b64 exec, exec, s[10:11]
	s_and_b64 s[10:11], s[16:17], vcc
	s_and_saveexec_b64 s[8:9], s[10:11]
	s_cbranch_execz .LBB58_59
; %bb.58:                               ;   in Loop: Header=BB58_4 Depth=1
	v_lshlrev_b64 v[2:3], 3, v[12:13]
	v_add_co_u32_e32 v0, vcc, v0, v2
	v_addc_co_u32_e32 v1, vcc, v1, v3, vcc
	global_load_dwordx2 v[2:3], v[0:1], off
	s_waitcnt vmcnt(0)
	v_fmac_f64_e32 v[2:3], s[34:35], v[28:29]
	global_store_dwordx2 v[0:1], v[2:3], off
.LBB58_59:                              ;   in Loop: Header=BB58_4 Depth=1
	s_or_b64 exec, exec, s[8:9]
	v_add_u32_e32 v0, 16, v20
	v_ashrrev_i32_e32 v1, 31, v0
	v_cmp_gt_i32_e32 vcc, s46, v0
	v_mul_lo_u32 v2, v1, s48
	v_mul_lo_u32 v3, v0, s49
	v_mad_u64_u32 v[0:1], s[8:9], v0, s48, 0
	v_add3_u32 v1, v1, v3, v2
	v_lshlrev_b64 v[0:1], 3, v[0:1]
	v_mov_b32_e32 v2, s58
	v_add_co_u32_e64 v0, s[8:9], s57, v0
	v_addc_co_u32_e64 v1, s[8:9], v2, v1, s[8:9]
	s_and_b64 s[8:9], s[4:5], vcc
	s_and_saveexec_b64 s[10:11], s[8:9]
	s_cbranch_execz .LBB58_61
; %bb.60:                               ;   in Loop: Header=BB58_4 Depth=1
	v_add_co_u32_e64 v2, s[8:9], v0, v8
	v_addc_co_u32_e64 v3, s[8:9], v1, v9, s[8:9]
	global_load_dwordx2 v[4:5], v[2:3], off
	s_waitcnt vmcnt(0)
	v_fmac_f64_e32 v[4:5], s[34:35], v[24:25]
	global_store_dwordx2 v[2:3], v[4:5], off
.LBB58_61:                              ;   in Loop: Header=BB58_4 Depth=1
	s_or_b64 exec, exec, s[10:11]
	s_and_b64 s[10:11], s[16:17], vcc
	s_and_saveexec_b64 s[8:9], s[10:11]
	s_cbranch_execz .LBB58_3
; %bb.62:                               ;   in Loop: Header=BB58_4 Depth=1
	v_lshlrev_b64 v[2:3], 3, v[12:13]
	v_add_co_u32_e32 v0, vcc, v0, v2
	v_addc_co_u32_e32 v1, vcc, v1, v3, vcc
	global_load_dwordx2 v[2:3], v[0:1], off
	s_waitcnt vmcnt(0)
	v_fmac_f64_e32 v[2:3], s[34:35], v[22:23]
	global_store_dwordx2 v[0:1], v[2:3], off
	s_branch .LBB58_3
.LBB58_63:
	s_endpgm
	.section	.rodata,"a",@progbits
	.p2align	6, 0x0
	.amdhsa_kernel _ZL30rocblas_trmm_outofplace_kernelIdLi32ELi2ELb0ELb1ELb1ELb1EPKdS0_dEv17rocblas_diagonal_iiT6_lPT7_lllS5_lllPT8_llli
		.amdhsa_group_segment_fixed_size 16384
		.amdhsa_private_segment_fixed_size 0
		.amdhsa_kernarg_size 392
		.amdhsa_user_sgpr_count 6
		.amdhsa_user_sgpr_private_segment_buffer 1
		.amdhsa_user_sgpr_dispatch_ptr 0
		.amdhsa_user_sgpr_queue_ptr 0
		.amdhsa_user_sgpr_kernarg_segment_ptr 1
		.amdhsa_user_sgpr_dispatch_id 0
		.amdhsa_user_sgpr_flat_scratch_init 0
		.amdhsa_user_sgpr_kernarg_preload_length 0
		.amdhsa_user_sgpr_kernarg_preload_offset 0
		.amdhsa_user_sgpr_private_segment_size 0
		.amdhsa_uses_dynamic_stack 0
		.amdhsa_system_sgpr_private_segment_wavefront_offset 0
		.amdhsa_system_sgpr_workgroup_id_x 1
		.amdhsa_system_sgpr_workgroup_id_y 1
		.amdhsa_system_sgpr_workgroup_id_z 1
		.amdhsa_system_sgpr_workgroup_info 0
		.amdhsa_system_vgpr_workitem_id 1
		.amdhsa_next_free_vgpr 80
		.amdhsa_next_free_sgpr 61
		.amdhsa_accum_offset 80
		.amdhsa_reserve_vcc 1
		.amdhsa_reserve_flat_scratch 0
		.amdhsa_float_round_mode_32 0
		.amdhsa_float_round_mode_16_64 0
		.amdhsa_float_denorm_mode_32 3
		.amdhsa_float_denorm_mode_16_64 3
		.amdhsa_dx10_clamp 1
		.amdhsa_ieee_mode 1
		.amdhsa_fp16_overflow 0
		.amdhsa_tg_split 0
		.amdhsa_exception_fp_ieee_invalid_op 0
		.amdhsa_exception_fp_denorm_src 0
		.amdhsa_exception_fp_ieee_div_zero 0
		.amdhsa_exception_fp_ieee_overflow 0
		.amdhsa_exception_fp_ieee_underflow 0
		.amdhsa_exception_fp_ieee_inexact 0
		.amdhsa_exception_int_div_zero 0
	.end_amdhsa_kernel
	.section	.text._ZL30rocblas_trmm_outofplace_kernelIdLi32ELi2ELb0ELb1ELb1ELb1EPKdS0_dEv17rocblas_diagonal_iiT6_lPT7_lllS5_lllPT8_llli,"axG",@progbits,_ZL30rocblas_trmm_outofplace_kernelIdLi32ELi2ELb0ELb1ELb1ELb1EPKdS0_dEv17rocblas_diagonal_iiT6_lPT7_lllS5_lllPT8_llli,comdat
.Lfunc_end58:
	.size	_ZL30rocblas_trmm_outofplace_kernelIdLi32ELi2ELb0ELb1ELb1ELb1EPKdS0_dEv17rocblas_diagonal_iiT6_lPT7_lllS5_lllPT8_llli, .Lfunc_end58-_ZL30rocblas_trmm_outofplace_kernelIdLi32ELi2ELb0ELb1ELb1ELb1EPKdS0_dEv17rocblas_diagonal_iiT6_lPT7_lllS5_lllPT8_llli
                                        ; -- End function
	.section	.AMDGPU.csdata,"",@progbits
; Kernel info:
; codeLenInByte = 3468
; NumSgprs: 65
; NumVgprs: 80
; NumAgprs: 0
; TotalNumVgprs: 80
; ScratchSize: 0
; MemoryBound: 1
; FloatMode: 240
; IeeeMode: 1
; LDSByteSize: 16384 bytes/workgroup (compile time only)
; SGPRBlocks: 8
; VGPRBlocks: 9
; NumSGPRsForWavesPerEU: 65
; NumVGPRsForWavesPerEU: 80
; AccumOffset: 80
; Occupancy: 6
; WaveLimiterHint : 0
; COMPUTE_PGM_RSRC2:SCRATCH_EN: 0
; COMPUTE_PGM_RSRC2:USER_SGPR: 6
; COMPUTE_PGM_RSRC2:TRAP_HANDLER: 0
; COMPUTE_PGM_RSRC2:TGID_X_EN: 1
; COMPUTE_PGM_RSRC2:TGID_Y_EN: 1
; COMPUTE_PGM_RSRC2:TGID_Z_EN: 1
; COMPUTE_PGM_RSRC2:TIDIG_COMP_CNT: 1
; COMPUTE_PGM_RSRC3_GFX90A:ACCUM_OFFSET: 19
; COMPUTE_PGM_RSRC3_GFX90A:TG_SPLIT: 0
	.section	.text._ZL30rocblas_trmm_outofplace_kernelIdLi32ELi2ELb0ELb1ELb1ELb1EdKddEv17rocblas_diagonal_iiT6_lPT7_lllS4_lllPT8_llli,"axG",@progbits,_ZL30rocblas_trmm_outofplace_kernelIdLi32ELi2ELb0ELb1ELb1ELb1EdKddEv17rocblas_diagonal_iiT6_lPT7_lllS4_lllPT8_llli,comdat
	.globl	_ZL30rocblas_trmm_outofplace_kernelIdLi32ELi2ELb0ELb1ELb1ELb1EdKddEv17rocblas_diagonal_iiT6_lPT7_lllS4_lllPT8_llli ; -- Begin function _ZL30rocblas_trmm_outofplace_kernelIdLi32ELi2ELb0ELb1ELb1ELb1EdKddEv17rocblas_diagonal_iiT6_lPT7_lllS4_lllPT8_llli
	.p2align	8
	.type	_ZL30rocblas_trmm_outofplace_kernelIdLi32ELi2ELb0ELb1ELb1ELb1EdKddEv17rocblas_diagonal_iiT6_lPT7_lllS4_lllPT8_llli,@function
_ZL30rocblas_trmm_outofplace_kernelIdLi32ELi2ELb0ELb1ELb1ELb1EdKddEv17rocblas_diagonal_iiT6_lPT7_lllS4_lllPT8_llli: ; @_ZL30rocblas_trmm_outofplace_kernelIdLi32ELi2ELb0ELb1ELb1ELb1EdKddEv17rocblas_diagonal_iiT6_lPT7_lllS4_lllPT8_llli
; %bb.0:
	s_load_dwordx2 s[28:29], s[4:5], 0x10
	s_waitcnt lgkmcnt(0)
	v_cmp_eq_f64_e64 s[0:1], s[28:29], 0
	s_and_b64 vcc, exec, s[0:1]
	s_cbranch_vccnz .LBB59_63
; %bb.1:
	s_load_dwordx4 s[24:27], s[4:5], 0x0
	s_waitcnt lgkmcnt(0)
	s_add_i32 s0, s26, -1
	s_ashr_i32 s1, s0, 31
	s_lshr_b32 s1, s1, 27
	s_add_i32 s0, s0, s1
	s_ashr_i32 s33, s0, 5
	s_cmp_gt_i32 s7, s33
	s_cbranch_scc1 .LBB59_63
; %bb.2:
	s_load_dwordx16 s[36:51], s[4:5], 0x20
	s_load_dwordx8 s[16:23], s[4:5], 0x60
	v_and_b32_e32 v4, 0x3ff, v0
	v_bfe_u32 v50, v0, 10, 10
	v_lshl_add_u32 v0, s6, 5, v4
	s_waitcnt lgkmcnt(0)
	s_mul_i32 s1, s8, s51
	s_mul_hi_u32 s2, s8, s50
	s_mul_i32 s0, s8, s50
	s_add_i32 s1, s2, s1
	s_lshl_b64 s[0:1], s[0:1], 3
	s_add_u32 s2, s44, s0
	s_addc_u32 s3, s45, s1
	s_lshl_b64 s[0:1], s[46:47], 3
	s_add_u32 s2, s2, s0
	s_addc_u32 s3, s3, s1
	s_mul_i32 s0, s8, s23
	s_mul_hi_u32 s1, s8, s22
	s_add_i32 s1, s1, s0
	s_mul_i32 s0, s8, s22
	s_lshl_b64 s[0:1], s[0:1], 3
	s_add_u32 s9, s16, s0
	s_addc_u32 s10, s17, s1
	s_lshl_b64 s[0:1], s[18:19], 3
	s_add_u32 s56, s9, s0
	s_addc_u32 s57, s10, s1
	s_cmpk_eq_i32 s24, 0x84
	s_cselect_b64 s[22:23], -1, 0
	s_ashr_i32 s27, s26, 31
	s_ashr_i32 s0, s25, 31
	s_lshl_b64 s[30:31], s[40:41], 8
	s_lshl_b64 s[34:35], s[48:49], 8
	s_load_dword s6, s[4:5], 0x8c
	v_ashrrev_i32_e32 v1, 31, v0
	s_add_u32 s44, s26, -16
	v_lshlrev_b64 v[8:9], 3, v[0:1]
	s_addc_u32 s45, s27, -1
	s_lshl_b32 s9, s7, 5
	v_mov_b32_e32 v2, s3
	v_add_co_u32_e32 v10, vcc, s2, v8
	v_add_u32_e32 v14, s9, v4
	v_add_u32_e32 v16, s9, v50
	s_mul_i32 s9, s43, s8
	s_mul_hi_u32 s10, s42, s8
	v_addc_co_u32_e32 v11, vcc, v2, v9, vcc
	v_add_u32_e32 v12, 16, v0
	s_add_i32 s9, s10, s9
	s_mul_i32 s8, s42, s8
	v_sub_co_u32_e32 v2, vcc, s25, v0
	v_cmp_gt_i32_e64 s[4:5], s25, v0
	v_cmp_gt_i32_e64 s[16:17], s25, v12
	s_waitcnt lgkmcnt(0)
	s_lshl_b32 s58, s6, 5
	s_lshl_b64 s[24:25], s[48:49], 3
	s_lshl_b64 s[8:9], s[8:9], 3
	;; [unrolled: 1-line block ×3, first 2 shown]
	v_mov_b32_e32 v3, s0
	s_add_u32 s8, s8, s10
	v_subb_co_u32_e32 v3, vcc, v3, v1, vcc
	v_lshlrev_b32_e32 v1, 3, v4
	s_addc_u32 s9, s9, s11
	v_lshlrev_b32_e32 v51, 8, v50
	v_or_b32_e32 v53, 0x2000, v1
	s_add_u32 s36, s36, s8
	v_add_u32_e32 v52, v51, v1
	v_cmp_gt_i64_e64 s[0:1], 1, v[2:3]
	v_add_u32_e32 v54, v53, v51
	v_cmp_gt_i64_e64 s[2:3], 17, v[2:3]
	v_ashrrev_i32_e32 v13, 31, v12
	s_addc_u32 s37, s37, s9
	s_lshl_b64 s[38:39], s[40:41], 3
	s_movk_i32 s59, 0x80
	v_mov_b32_e32 v18, 0
	v_mov_b32_e32 v19, 0x3ff00000
	s_branch .LBB59_4
.LBB59_3:                               ;   in Loop: Header=BB59_4 Depth=1
	s_or_b64 exec, exec, s[8:9]
	s_add_i32 s7, s6, s7
	v_add_u32_e32 v14, s58, v14
	s_cmp_le_i32 s7, s33
	v_add_u32_e32 v16, s58, v16
	s_cbranch_scc0 .LBB59_63
.LBB59_4:                               ; =>This Loop Header: Depth=1
                                        ;     Child Loop BB59_7 Depth 2
	s_lshl_b32 s8, s7, 5
	v_add_u32_e32 v20, s8, v50
	s_sub_i32 s60, s26, s8
	v_pk_mov_b32 v[34:35], 0, 0
	v_ashrrev_i32_e32 v15, 31, v14
	v_ashrrev_i32_e32 v17, 31, v16
	;; [unrolled: 1-line block ×3, first 2 shown]
	s_cmp_lt_i32 s60, 1
	v_pk_mov_b32 v[28:29], v[34:35], v[34:35] op_sel:[0,1]
	v_pk_mov_b32 v[24:25], v[34:35], v[34:35] op_sel:[0,1]
	;; [unrolled: 1-line block ×3, first 2 shown]
	s_cbranch_scc1 .LBB59_55
; %bb.5:                                ;   in Loop: Header=BB59_4 Depth=1
	v_mov_b32_e32 v0, 0x80
	v_mov_b32_e32 v1, 0
	v_sub_co_u32_e32 v26, vcc, v16, v14
	v_mad_u64_u32 v[30:31], s[8:9], s24, v16, v[0:1]
	v_mul_lo_u32 v2, s24, v17
	v_mul_lo_u32 v3, s25, v16
	v_subb_co_u32_e32 v27, vcc, v17, v15, vcc
	v_add3_u32 v31, v3, v31, v2
	v_lshlrev_b64 v[2:3], 3, v[14:15]
	v_add_co_u32_e32 v4, vcc, 0x80, v2
	v_addc_co_u32_e32 v2, vcc, 0, v3, vcc
	v_mul_lo_u32 v5, s40, v2
	v_pk_mov_b32 v[2:3], s[36:37], s[36:37] op_sel:[0,1]
	v_lshlrev_b64 v[32:33], 3, v[16:17]
	v_mad_u64_u32 v[36:37], s[8:9], s40, v4, v[2:3]
	v_mad_u64_u32 v[38:39], s[8:9], s38, v14, v[2:3]
	v_mul_lo_u32 v2, s38, v15
	v_mul_lo_u32 v3, s39, v14
	v_add3_u32 v39, v3, v39, v2
	v_add_co_u32_e32 v2, vcc, s59, v32
	v_mad_u64_u32 v[40:41], s[8:9], s48, v2, v[0:1]
	v_add_co_u32_e64 v44, s[10:11], 16, v26
	v_addc_co_u32_e32 v3, vcc, 0, v33, vcc
	v_add_co_u32_e64 v42, s[8:9], 16, v20
	v_addc_co_u32_e64 v45, s[10:11], 0, v27, s[10:11]
	v_mul_lo_u32 v6, s41, v4
	v_mul_lo_u32 v3, s48, v3
	;; [unrolled: 1-line block ×3, first 2 shown]
	v_addc_co_u32_e64 v43, s[8:9], 0, v21, s[8:9]
	v_add_co_u32_e64 v46, s[10:11], -16, v26
	v_pk_mov_b32 v[22:23], 0, 0
	v_add3_u32 v37, v6, v37, v5
	v_add3_u32 v41, v4, v41, v3
	v_cmp_le_i32_e32 vcc, s26, v20
	v_cmp_le_i64_e64 s[8:9], s[26:27], v[42:43]
	v_addc_co_u32_e64 v47, s[10:11], -1, v27, s[10:11]
	s_mov_b64 s[42:43], 0
	v_pk_mov_b32 v[48:49], v[10:11], v[10:11] op_sel:[0,1]
	v_pk_mov_b32 v[24:25], v[22:23], v[22:23] op_sel:[0,1]
	;; [unrolled: 1-line block ×4, first 2 shown]
	s_branch .LBB59_7
.LBB59_6:                               ;   in Loop: Header=BB59_7 Depth=2
	s_or_b64 exec, exec, s[10:11]
	s_waitcnt lgkmcnt(0)
	s_barrier
	ds_read2_b64 v[56:59], v53 offset1:16
	ds_read_b128 v[60:63], v51
	ds_read_b128 v[64:67], v51 offset:16
	ds_read_b128 v[4:7], v51 offset:32
	;; [unrolled: 1-line block ×4, first 2 shown]
	ds_read2_b64 v[72:75], v53 offset0:32 offset1:48
	s_waitcnt lgkmcnt(5)
	v_fmac_f64_e32 v[34:35], v[56:57], v[60:61]
	v_fmac_f64_e32 v[28:29], v[58:59], v[60:61]
	ds_read_b128 v[76:79], v51 offset:4112
	s_waitcnt lgkmcnt(2)
	v_fmac_f64_e32 v[24:25], v[56:57], v[68:69]
	v_fmac_f64_e32 v[22:23], v[58:59], v[68:69]
	ds_read2_b64 v[56:59], v53 offset0:64 offset1:80
	s_waitcnt lgkmcnt(2)
	v_fmac_f64_e32 v[34:35], v[72:73], v[62:63]
	v_fmac_f64_e32 v[28:29], v[74:75], v[62:63]
	ds_read2_b64 v[60:63], v53 offset0:96 offset1:112
	v_fmac_f64_e32 v[24:25], v[72:73], v[70:71]
	v_fmac_f64_e32 v[22:23], v[74:75], v[70:71]
	ds_read_b128 v[68:71], v51 offset:4144
	s_waitcnt lgkmcnt(2)
	v_fmac_f64_e32 v[34:35], v[56:57], v[64:65]
	v_fmac_f64_e32 v[28:29], v[58:59], v[64:65]
	;; [unrolled: 1-line block ×4, first 2 shown]
	s_waitcnt lgkmcnt(1)
	v_fmac_f64_e32 v[34:35], v[60:61], v[66:67]
	ds_read2_b64 v[56:59], v53 offset0:128 offset1:144
	v_fmac_f64_e32 v[28:29], v[62:63], v[66:67]
	v_fmac_f64_e32 v[24:25], v[60:61], v[78:79]
	;; [unrolled: 1-line block ×3, first 2 shown]
	ds_read_b128 v[60:63], v51 offset:4128
	ds_read2_b64 v[64:67], v53 offset0:160 offset1:176
	s_waitcnt lgkmcnt(2)
	v_fmac_f64_e32 v[34:35], v[56:57], v[4:5]
	v_fmac_f64_e32 v[28:29], v[58:59], v[4:5]
	v_add_u32_e32 v55, 0x800, v53
	s_waitcnt lgkmcnt(1)
	v_fmac_f64_e32 v[24:25], v[56:57], v[60:61]
	v_fmac_f64_e32 v[22:23], v[58:59], v[60:61]
	ds_read2_b64 v[56:59], v53 offset0:192 offset1:208
	s_waitcnt lgkmcnt(1)
	v_fmac_f64_e32 v[34:35], v[64:65], v[6:7]
	v_fmac_f64_e32 v[28:29], v[66:67], v[6:7]
	ds_read2_b64 v[4:7], v53 offset0:224 offset1:240
	v_fmac_f64_e32 v[24:25], v[64:65], v[62:63]
	v_fmac_f64_e32 v[22:23], v[66:67], v[62:63]
	s_waitcnt lgkmcnt(1)
	v_fmac_f64_e32 v[34:35], v[56:57], v[0:1]
	v_fmac_f64_e32 v[28:29], v[58:59], v[0:1]
	;; [unrolled: 1-line block ×4, first 2 shown]
	s_waitcnt lgkmcnt(0)
	v_fmac_f64_e32 v[34:35], v[4:5], v[2:3]
	v_fmac_f64_e32 v[28:29], v[6:7], v[2:3]
	ds_read2_b64 v[0:3], v55 offset1:16
	ds_read_b128 v[56:59], v51 offset:64
	v_fmac_f64_e32 v[24:25], v[4:5], v[70:71]
	v_fmac_f64_e32 v[22:23], v[6:7], v[70:71]
	ds_read_b128 v[4:7], v51 offset:80
	ds_read_b128 v[60:63], v51 offset:4160
	ds_read2_b64 v[64:67], v55 offset0:32 offset1:48
	s_waitcnt lgkmcnt(3)
	v_fmac_f64_e32 v[34:35], v[0:1], v[56:57]
	v_fmac_f64_e32 v[28:29], v[2:3], v[56:57]
	ds_read_b128 v[68:71], v51 offset:4176
	s_waitcnt lgkmcnt(2)
	v_fmac_f64_e32 v[24:25], v[0:1], v[60:61]
	v_fmac_f64_e32 v[22:23], v[2:3], v[60:61]
	ds_read2_b64 v[0:3], v55 offset0:64 offset1:80
	s_waitcnt lgkmcnt(2)
	v_fmac_f64_e32 v[34:35], v[64:65], v[58:59]
	v_fmac_f64_e32 v[28:29], v[66:67], v[58:59]
	ds_read2_b64 v[56:59], v55 offset0:96 offset1:112
	v_fmac_f64_e32 v[24:25], v[64:65], v[62:63]
	v_fmac_f64_e32 v[22:23], v[66:67], v[62:63]
	s_waitcnt lgkmcnt(1)
	v_fmac_f64_e32 v[34:35], v[0:1], v[4:5]
	v_fmac_f64_e32 v[28:29], v[2:3], v[4:5]
	;; [unrolled: 1-line block ×4, first 2 shown]
	s_waitcnt lgkmcnt(0)
	v_fmac_f64_e32 v[34:35], v[56:57], v[6:7]
	v_fmac_f64_e32 v[28:29], v[58:59], v[6:7]
	ds_read2_b64 v[0:3], v55 offset0:128 offset1:144
	ds_read_b128 v[4:7], v51 offset:96
	v_fmac_f64_e32 v[24:25], v[56:57], v[70:71]
	v_fmac_f64_e32 v[22:23], v[58:59], v[70:71]
	ds_read_b128 v[56:59], v51 offset:112
	ds_read_b128 v[60:63], v51 offset:4192
	ds_read2_b64 v[64:67], v55 offset0:160 offset1:176
	s_waitcnt lgkmcnt(3)
	v_fmac_f64_e32 v[34:35], v[0:1], v[4:5]
	v_fmac_f64_e32 v[28:29], v[2:3], v[4:5]
	ds_read_b128 v[68:71], v51 offset:4208
	s_waitcnt lgkmcnt(2)
	v_fmac_f64_e32 v[24:25], v[0:1], v[60:61]
	v_fmac_f64_e32 v[22:23], v[2:3], v[60:61]
	ds_read2_b64 v[0:3], v55 offset0:192 offset1:208
	s_waitcnt lgkmcnt(2)
	v_fmac_f64_e32 v[34:35], v[64:65], v[6:7]
	v_fmac_f64_e32 v[28:29], v[66:67], v[6:7]
	ds_read2_b64 v[4:7], v55 offset0:224 offset1:240
	v_fmac_f64_e32 v[24:25], v[64:65], v[62:63]
	v_fmac_f64_e32 v[22:23], v[66:67], v[62:63]
	s_waitcnt lgkmcnt(1)
	v_fmac_f64_e32 v[34:35], v[0:1], v[56:57]
	v_fmac_f64_e32 v[28:29], v[2:3], v[56:57]
	;; [unrolled: 1-line block ×4, first 2 shown]
	v_add_u32_e32 v55, 0x1000, v53
	s_waitcnt lgkmcnt(0)
	v_fmac_f64_e32 v[34:35], v[4:5], v[58:59]
	v_fmac_f64_e32 v[28:29], v[6:7], v[58:59]
	ds_read2_b64 v[0:3], v55 offset1:16
	ds_read_b128 v[56:59], v51 offset:128
	v_fmac_f64_e32 v[24:25], v[4:5], v[70:71]
	v_fmac_f64_e32 v[22:23], v[6:7], v[70:71]
	ds_read_b128 v[4:7], v51 offset:144
	ds_read_b128 v[60:63], v51 offset:4224
	ds_read2_b64 v[64:67], v55 offset0:32 offset1:48
	s_waitcnt lgkmcnt(3)
	v_fmac_f64_e32 v[34:35], v[0:1], v[56:57]
	v_fmac_f64_e32 v[28:29], v[2:3], v[56:57]
	ds_read_b128 v[68:71], v51 offset:4240
	s_waitcnt lgkmcnt(2)
	v_fmac_f64_e32 v[24:25], v[0:1], v[60:61]
	v_fmac_f64_e32 v[22:23], v[2:3], v[60:61]
	ds_read2_b64 v[0:3], v55 offset0:64 offset1:80
	s_waitcnt lgkmcnt(2)
	v_fmac_f64_e32 v[34:35], v[64:65], v[58:59]
	v_fmac_f64_e32 v[28:29], v[66:67], v[58:59]
	ds_read2_b64 v[56:59], v55 offset0:96 offset1:112
	v_fmac_f64_e32 v[24:25], v[64:65], v[62:63]
	v_fmac_f64_e32 v[22:23], v[66:67], v[62:63]
	s_waitcnt lgkmcnt(1)
	v_fmac_f64_e32 v[34:35], v[0:1], v[4:5]
	v_fmac_f64_e32 v[28:29], v[2:3], v[4:5]
	;; [unrolled: 1-line block ×4, first 2 shown]
	s_waitcnt lgkmcnt(0)
	v_fmac_f64_e32 v[34:35], v[56:57], v[6:7]
	v_fmac_f64_e32 v[28:29], v[58:59], v[6:7]
	ds_read2_b64 v[0:3], v55 offset0:128 offset1:144
	ds_read_b128 v[4:7], v51 offset:160
	v_fmac_f64_e32 v[24:25], v[56:57], v[70:71]
	v_fmac_f64_e32 v[22:23], v[58:59], v[70:71]
	ds_read_b128 v[56:59], v51 offset:176
	ds_read_b128 v[60:63], v51 offset:4256
	ds_read2_b64 v[64:67], v55 offset0:160 offset1:176
	s_waitcnt lgkmcnt(3)
	v_fmac_f64_e32 v[34:35], v[0:1], v[4:5]
	v_fmac_f64_e32 v[28:29], v[2:3], v[4:5]
	ds_read_b128 v[68:71], v51 offset:4272
	s_waitcnt lgkmcnt(2)
	v_fmac_f64_e32 v[24:25], v[0:1], v[60:61]
	v_fmac_f64_e32 v[22:23], v[2:3], v[60:61]
	ds_read2_b64 v[0:3], v55 offset0:192 offset1:208
	s_waitcnt lgkmcnt(2)
	v_fmac_f64_e32 v[34:35], v[64:65], v[6:7]
	v_fmac_f64_e32 v[28:29], v[66:67], v[6:7]
	ds_read2_b64 v[4:7], v55 offset0:224 offset1:240
	v_fmac_f64_e32 v[24:25], v[64:65], v[62:63]
	v_fmac_f64_e32 v[22:23], v[66:67], v[62:63]
	s_waitcnt lgkmcnt(1)
	v_fmac_f64_e32 v[34:35], v[0:1], v[56:57]
	v_fmac_f64_e32 v[28:29], v[2:3], v[56:57]
	;; [unrolled: 1-line block ×4, first 2 shown]
	v_add_u32_e32 v55, 0x1800, v53
	s_waitcnt lgkmcnt(0)
	v_fmac_f64_e32 v[34:35], v[4:5], v[58:59]
	v_fmac_f64_e32 v[28:29], v[6:7], v[58:59]
	ds_read2_b64 v[0:3], v55 offset1:16
	ds_read_b128 v[56:59], v51 offset:192
	v_fmac_f64_e32 v[24:25], v[4:5], v[70:71]
	v_fmac_f64_e32 v[22:23], v[6:7], v[70:71]
	ds_read_b128 v[4:7], v51 offset:208
	ds_read_b128 v[60:63], v51 offset:4288
	ds_read2_b64 v[64:67], v55 offset0:32 offset1:48
	s_waitcnt lgkmcnt(3)
	v_fmac_f64_e32 v[34:35], v[0:1], v[56:57]
	v_fmac_f64_e32 v[28:29], v[2:3], v[56:57]
	ds_read_b128 v[68:71], v51 offset:4304
	s_waitcnt lgkmcnt(2)
	v_fmac_f64_e32 v[24:25], v[0:1], v[60:61]
	v_fmac_f64_e32 v[22:23], v[2:3], v[60:61]
	ds_read2_b64 v[0:3], v55 offset0:64 offset1:80
	s_waitcnt lgkmcnt(2)
	v_fmac_f64_e32 v[34:35], v[64:65], v[58:59]
	v_fmac_f64_e32 v[28:29], v[66:67], v[58:59]
	ds_read2_b64 v[56:59], v55 offset0:96 offset1:112
	v_fmac_f64_e32 v[24:25], v[64:65], v[62:63]
	v_fmac_f64_e32 v[22:23], v[66:67], v[62:63]
	s_waitcnt lgkmcnt(1)
	v_fmac_f64_e32 v[34:35], v[0:1], v[4:5]
	v_fmac_f64_e32 v[28:29], v[2:3], v[4:5]
	;; [unrolled: 1-line block ×4, first 2 shown]
	s_waitcnt lgkmcnt(0)
	v_fmac_f64_e32 v[34:35], v[56:57], v[6:7]
	v_fmac_f64_e32 v[28:29], v[58:59], v[6:7]
	ds_read2_b64 v[0:3], v55 offset0:128 offset1:144
	ds_read_b128 v[4:7], v51 offset:224
	v_fmac_f64_e32 v[24:25], v[56:57], v[70:71]
	v_fmac_f64_e32 v[22:23], v[58:59], v[70:71]
	ds_read_b128 v[56:59], v51 offset:240
	ds_read_b128 v[60:63], v51 offset:4320
	ds_read2_b64 v[64:67], v55 offset0:160 offset1:176
	s_waitcnt lgkmcnt(3)
	v_fmac_f64_e32 v[34:35], v[0:1], v[4:5]
	v_fmac_f64_e32 v[28:29], v[2:3], v[4:5]
	ds_read_b128 v[68:71], v51 offset:4336
	s_waitcnt lgkmcnt(2)
	v_fmac_f64_e32 v[24:25], v[0:1], v[60:61]
	v_fmac_f64_e32 v[22:23], v[2:3], v[60:61]
	ds_read2_b64 v[0:3], v55 offset0:192 offset1:208
	s_waitcnt lgkmcnt(2)
	v_fmac_f64_e32 v[34:35], v[64:65], v[6:7]
	v_fmac_f64_e32 v[24:25], v[64:65], v[62:63]
	;; [unrolled: 1-line block ×3, first 2 shown]
	ds_read2_b64 v[4:7], v55 offset0:224 offset1:240
	s_waitcnt lgkmcnt(1)
	v_fmac_f64_e32 v[34:35], v[0:1], v[56:57]
	v_fmac_f64_e32 v[24:25], v[0:1], v[68:69]
	v_mov_b32_e32 v0, s35
	v_add_co_u32_e64 v48, s[10:11], s34, v48
	v_addc_co_u32_e64 v49, s[10:11], v49, v0, s[10:11]
	v_mov_b32_e32 v0, s31
	v_add_co_u32_e64 v36, s[10:11], s30, v36
	v_fmac_f64_e32 v[22:23], v[66:67], v[62:63]
	s_add_u32 s42, s42, 32
	v_addc_co_u32_e64 v37, s[10:11], v37, v0, s[10:11]
	v_fmac_f64_e32 v[28:29], v[2:3], v[56:57]
	v_fmac_f64_e32 v[22:23], v[2:3], v[68:69]
	s_addc_u32 s43, s43, 0
	v_add_co_u32_e64 v38, s[10:11], s30, v38
	s_waitcnt lgkmcnt(0)
	v_fmac_f64_e32 v[34:35], v[4:5], v[58:59]
	v_fmac_f64_e32 v[28:29], v[6:7], v[58:59]
	;; [unrolled: 1-line block ×4, first 2 shown]
	s_cmp_ge_i32 s42, s60
	v_addc_co_u32_e64 v39, s[10:11], v39, v0, s[10:11]
	s_barrier
	s_cbranch_scc1 .LBB59_55
.LBB59_7:                               ;   Parent Loop BB59_4 Depth=1
                                        ; =>  This Inner Loop Header: Depth=2
	v_mov_b32_e32 v0, s43
	v_add_co_u32_e64 v2, s[10:11], s42, v14
	v_addc_co_u32_e64 v3, s[10:11], v15, v0, s[10:11]
	v_add_co_u32_e64 v0, s[10:11], v38, v32
	v_addc_co_u32_e64 v1, s[10:11], v39, v33, s[10:11]
	v_cmp_eq_u64_e64 s[10:11], s[42:43], v[26:27]
	s_and_b64 s[50:51], s[22:23], s[10:11]
	v_cmp_lt_i64_e64 s[10:11], v[2:3], v[20:21]
	v_cmp_le_i64_e64 s[12:13], s[26:27], v[2:3]
	s_or_b64 s[14:15], vcc, s[10:11]
	s_or_b64 s[14:15], s[12:13], s[14:15]
	s_or_b64 s[14:15], s[14:15], s[50:51]
	s_xor_b64 s[14:15], s[14:15], -1
	s_and_saveexec_b64 s[18:19], s[14:15]
	s_xor_b64 s[14:15], exec, s[18:19]
	s_cbranch_execz .LBB59_9
; %bb.8:                                ;   in Loop: Header=BB59_7 Depth=2
	global_load_dwordx2 v[4:5], v[0:1], off
	s_waitcnt vmcnt(0)
	ds_write_b64 v52, v[4:5]
.LBB59_9:                               ;   in Loop: Header=BB59_7 Depth=2
	s_or_saveexec_b64 s[14:15], s[14:15]
	s_xor_b64 s[46:47], s[50:51], -1
	s_xor_b64 exec, exec, s[14:15]
	s_cbranch_execz .LBB59_15
; %bb.10:                               ;   in Loop: Header=BB59_7 Depth=2
	s_and_saveexec_b64 s[18:19], s[46:47]
	s_xor_b64 s[18:19], exec, s[18:19]
	s_cbranch_execz .LBB59_12
; %bb.11:                               ;   in Loop: Header=BB59_7 Depth=2
	v_mov_b32_e32 v4, v18
	v_mov_b32_e32 v5, v18
	ds_write_b64 v52, v[4:5]
.LBB59_12:                              ;   in Loop: Header=BB59_7 Depth=2
	s_andn2_saveexec_b64 s[18:19], s[18:19]
	s_cbranch_execz .LBB59_14
; %bb.13:                               ;   in Loop: Header=BB59_7 Depth=2
	ds_write_b64 v52, v[18:19]
.LBB59_14:                              ;   in Loop: Header=BB59_7 Depth=2
	s_or_b64 exec, exec, s[18:19]
.LBB59_15:                              ;   in Loop: Header=BB59_7 Depth=2
	s_or_b64 exec, exec, s[14:15]
	v_add_co_u32_e64 v4, s[14:15], 16, v2
	v_addc_co_u32_e64 v5, s[14:15], 0, v3, s[14:15]
	v_cmp_eq_u64_e64 s[14:15], s[42:43], v[46:47]
	v_cmp_lt_i64_e64 s[18:19], v[4:5], v[20:21]
	s_and_b64 s[52:53], s[22:23], s[14:15]
	v_cmp_le_i64_e64 s[14:15], s[26:27], v[4:5]
	s_or_b64 s[18:19], vcc, s[18:19]
	s_or_b64 s[18:19], s[14:15], s[18:19]
	s_or_b64 s[18:19], s[18:19], s[52:53]
	s_xor_b64 s[18:19], s[18:19], -1
	s_and_saveexec_b64 s[54:55], s[18:19]
	s_xor_b64 s[54:55], exec, s[54:55]
	s_cbranch_execz .LBB59_17
; %bb.16:                               ;   in Loop: Header=BB59_7 Depth=2
	v_add_co_u32_e64 v4, s[18:19], v36, v32
	v_addc_co_u32_e64 v5, s[18:19], v37, v33, s[18:19]
	global_load_dwordx2 v[4:5], v[4:5], off
	s_waitcnt vmcnt(0)
	ds_write_b64 v52, v[4:5] offset:128
.LBB59_17:                              ;   in Loop: Header=BB59_7 Depth=2
	s_andn2_saveexec_b64 s[18:19], s[54:55]
	s_cbranch_execz .LBB59_23
; %bb.18:                               ;   in Loop: Header=BB59_7 Depth=2
	s_xor_b64 s[52:53], s[52:53], -1
	s_and_saveexec_b64 s[54:55], s[52:53]
	s_xor_b64 s[52:53], exec, s[54:55]
	s_cbranch_execz .LBB59_20
; %bb.19:                               ;   in Loop: Header=BB59_7 Depth=2
	v_mov_b32_e32 v4, v18
	v_mov_b32_e32 v5, v18
	ds_write_b64 v52, v[4:5] offset:128
.LBB59_20:                              ;   in Loop: Header=BB59_7 Depth=2
	s_andn2_saveexec_b64 s[52:53], s[52:53]
	s_cbranch_execz .LBB59_22
; %bb.21:                               ;   in Loop: Header=BB59_7 Depth=2
	ds_write_b64 v52, v[18:19] offset:128
.LBB59_22:                              ;   in Loop: Header=BB59_7 Depth=2
	s_or_b64 exec, exec, s[52:53]
.LBB59_23:                              ;   in Loop: Header=BB59_7 Depth=2
	s_or_b64 exec, exec, s[18:19]
	v_cmp_eq_u64_e64 s[18:19], s[42:43], v[44:45]
	s_and_b64 s[52:53], s[22:23], s[18:19]
	v_cmp_lt_i64_e64 s[18:19], v[2:3], v[42:43]
	s_or_b64 s[18:19], s[8:9], s[18:19]
	s_or_b64 s[18:19], s[18:19], s[52:53]
	;; [unrolled: 1-line block ×3, first 2 shown]
	s_xor_b64 s[12:13], s[12:13], -1
	s_and_saveexec_b64 s[18:19], s[12:13]
	s_xor_b64 s[12:13], exec, s[18:19]
	s_cbranch_execz .LBB59_25
; %bb.24:                               ;   in Loop: Header=BB59_7 Depth=2
	global_load_dwordx2 v[0:1], v[0:1], off offset:128
	s_waitcnt vmcnt(0)
	ds_write_b64 v52, v[0:1] offset:4096
.LBB59_25:                              ;   in Loop: Header=BB59_7 Depth=2
	s_andn2_saveexec_b64 s[12:13], s[12:13]
	s_cbranch_execz .LBB59_31
; %bb.26:                               ;   in Loop: Header=BB59_7 Depth=2
	s_xor_b64 s[18:19], s[52:53], -1
	s_and_saveexec_b64 s[52:53], s[18:19]
	s_xor_b64 s[18:19], exec, s[52:53]
	s_cbranch_execz .LBB59_28
; %bb.27:                               ;   in Loop: Header=BB59_7 Depth=2
	v_mov_b32_e32 v0, v18
	v_mov_b32_e32 v1, v18
	ds_write_b64 v52, v[0:1] offset:4096
.LBB59_28:                              ;   in Loop: Header=BB59_7 Depth=2
	s_andn2_saveexec_b64 s[18:19], s[18:19]
	s_cbranch_execz .LBB59_30
; %bb.29:                               ;   in Loop: Header=BB59_7 Depth=2
	ds_write_b64 v52, v[18:19] offset:4096
.LBB59_30:                              ;   in Loop: Header=BB59_7 Depth=2
	s_or_b64 exec, exec, s[18:19]
.LBB59_31:                              ;   in Loop: Header=BB59_7 Depth=2
	s_or_b64 exec, exec, s[12:13]
	s_or_b64 s[10:11], s[8:9], s[10:11]
	s_or_b64 s[10:11], s[14:15], s[10:11]
	;; [unrolled: 1-line block ×3, first 2 shown]
	s_xor_b64 s[10:11], s[10:11], -1
	s_and_saveexec_b64 s[12:13], s[10:11]
	s_xor_b64 s[12:13], exec, s[12:13]
	s_cbranch_execz .LBB59_33
; %bb.32:                               ;   in Loop: Header=BB59_7 Depth=2
	v_add_co_u32_e64 v0, s[10:11], v36, v32
	v_addc_co_u32_e64 v1, s[10:11], v37, v33, s[10:11]
	global_load_dwordx2 v[0:1], v[0:1], off offset:128
	s_waitcnt vmcnt(0)
	ds_write_b64 v52, v[0:1] offset:4224
.LBB59_33:                              ;   in Loop: Header=BB59_7 Depth=2
	s_andn2_saveexec_b64 s[10:11], s[12:13]
	s_cbranch_execz .LBB59_39
; %bb.34:                               ;   in Loop: Header=BB59_7 Depth=2
	s_and_saveexec_b64 s[12:13], s[46:47]
	s_xor_b64 s[12:13], exec, s[12:13]
	s_cbranch_execz .LBB59_36
; %bb.35:                               ;   in Loop: Header=BB59_7 Depth=2
	v_mov_b32_e32 v0, v18
	v_mov_b32_e32 v1, v18
	ds_write_b64 v52, v[0:1] offset:4224
.LBB59_36:                              ;   in Loop: Header=BB59_7 Depth=2
	s_andn2_saveexec_b64 s[12:13], s[12:13]
	s_cbranch_execz .LBB59_38
; %bb.37:                               ;   in Loop: Header=BB59_7 Depth=2
	ds_write_b64 v52, v[18:19] offset:4224
.LBB59_38:                              ;   in Loop: Header=BB59_7 Depth=2
	s_or_b64 exec, exec, s[12:13]
.LBB59_39:                              ;   in Loop: Header=BB59_7 Depth=2
	s_or_b64 exec, exec, s[10:11]
	v_mov_b32_e32 v1, s43
	v_add_co_u32_e64 v0, s[10:11], s42, v16
	v_addc_co_u32_e64 v1, s[10:11], v17, v1, s[10:11]
	v_add_co_u32_e64 v2, s[10:11], v48, v30
	v_addc_co_u32_e64 v3, s[10:11], v49, v31, s[10:11]
	v_cmp_le_i64_e64 s[10:11], s[26:27], v[0:1]
	s_or_b64 s[12:13], s[10:11], s[0:1]
	s_xor_b64 s[12:13], s[12:13], -1
	s_and_saveexec_b64 s[14:15], s[12:13]
	s_xor_b64 s[12:13], exec, s[14:15]
	s_cbranch_execz .LBB59_41
; %bb.40:                               ;   in Loop: Header=BB59_7 Depth=2
	global_load_dwordx2 v[4:5], v[2:3], off offset:-128
	s_waitcnt vmcnt(0)
	ds_write_b64 v54, v[4:5]
.LBB59_41:                              ;   in Loop: Header=BB59_7 Depth=2
	s_andn2_saveexec_b64 s[12:13], s[12:13]
	s_cbranch_execz .LBB59_43
; %bb.42:                               ;   in Loop: Header=BB59_7 Depth=2
	v_mov_b32_e32 v4, v18
	v_mov_b32_e32 v5, v18
	ds_write_b64 v54, v[4:5]
.LBB59_43:                              ;   in Loop: Header=BB59_7 Depth=2
	s_or_b64 exec, exec, s[12:13]
	s_or_b64 s[10:11], s[10:11], s[2:3]
	s_xor_b64 s[10:11], s[10:11], -1
	s_and_saveexec_b64 s[12:13], s[10:11]
	s_xor_b64 s[10:11], exec, s[12:13]
	s_cbranch_execz .LBB59_45
; %bb.44:                               ;   in Loop: Header=BB59_7 Depth=2
	global_load_dwordx2 v[2:3], v[2:3], off
	s_waitcnt vmcnt(0)
	ds_write_b64 v54, v[2:3] offset:128
.LBB59_45:                              ;   in Loop: Header=BB59_7 Depth=2
	s_andn2_saveexec_b64 s[10:11], s[10:11]
	s_cbranch_execz .LBB59_47
; %bb.46:                               ;   in Loop: Header=BB59_7 Depth=2
	v_mov_b32_e32 v2, v18
	v_mov_b32_e32 v3, v18
	ds_write_b64 v54, v[2:3] offset:128
.LBB59_47:                              ;   in Loop: Header=BB59_7 Depth=2
	s_or_b64 exec, exec, s[10:11]
	v_cmp_le_i64_e64 s[10:11], s[44:45], v[0:1]
	s_or_b64 s[12:13], s[10:11], s[0:1]
	s_xor_b64 s[12:13], s[12:13], -1
	s_and_saveexec_b64 s[14:15], s[12:13]
	s_xor_b64 s[14:15], exec, s[14:15]
	s_cbranch_execz .LBB59_49
; %bb.48:                               ;   in Loop: Header=BB59_7 Depth=2
	v_add_co_u32_e64 v0, s[12:13], v48, v40
	v_addc_co_u32_e64 v1, s[12:13], v49, v41, s[12:13]
	global_load_dwordx2 v[0:1], v[0:1], off offset:-128
	s_waitcnt vmcnt(0)
	ds_write_b64 v54, v[0:1] offset:4096
.LBB59_49:                              ;   in Loop: Header=BB59_7 Depth=2
	s_andn2_saveexec_b64 s[12:13], s[14:15]
	s_cbranch_execz .LBB59_51
; %bb.50:                               ;   in Loop: Header=BB59_7 Depth=2
	v_mov_b32_e32 v0, v18
	v_mov_b32_e32 v1, v18
	ds_write_b64 v54, v[0:1] offset:4096
.LBB59_51:                              ;   in Loop: Header=BB59_7 Depth=2
	s_or_b64 exec, exec, s[12:13]
	s_or_b64 s[10:11], s[10:11], s[2:3]
	s_xor_b64 s[10:11], s[10:11], -1
	s_and_saveexec_b64 s[12:13], s[10:11]
	s_xor_b64 s[12:13], exec, s[12:13]
	s_cbranch_execz .LBB59_53
; %bb.52:                               ;   in Loop: Header=BB59_7 Depth=2
	v_add_co_u32_e64 v0, s[10:11], v48, v40
	v_addc_co_u32_e64 v1, s[10:11], v49, v41, s[10:11]
	global_load_dwordx2 v[0:1], v[0:1], off
	s_waitcnt vmcnt(0)
	ds_write_b64 v54, v[0:1] offset:4224
.LBB59_53:                              ;   in Loop: Header=BB59_7 Depth=2
	s_andn2_saveexec_b64 s[10:11], s[12:13]
	s_cbranch_execz .LBB59_6
; %bb.54:                               ;   in Loop: Header=BB59_7 Depth=2
	v_mov_b32_e32 v0, v18
	v_mov_b32_e32 v1, v18
	ds_write_b64 v54, v[0:1] offset:4224
	s_branch .LBB59_6
.LBB59_55:                              ;   in Loop: Header=BB59_4 Depth=1
	v_mul_lo_u32 v2, v21, s20
	v_mul_lo_u32 v3, v20, s21
	v_mad_u64_u32 v[0:1], s[8:9], v20, s20, 0
	v_add3_u32 v1, v1, v3, v2
	v_lshlrev_b64 v[0:1], 3, v[0:1]
	v_mov_b32_e32 v2, s57
	v_add_co_u32_e64 v0, s[8:9], s56, v0
	v_cmp_gt_i32_e32 vcc, s26, v20
	v_addc_co_u32_e64 v1, s[8:9], v2, v1, s[8:9]
	s_and_b64 s[8:9], s[4:5], vcc
	s_and_saveexec_b64 s[10:11], s[8:9]
	s_cbranch_execz .LBB59_57
; %bb.56:                               ;   in Loop: Header=BB59_4 Depth=1
	v_add_co_u32_e64 v2, s[8:9], v0, v8
	v_addc_co_u32_e64 v3, s[8:9], v1, v9, s[8:9]
	global_load_dwordx2 v[4:5], v[2:3], off
	s_waitcnt vmcnt(0)
	v_fmac_f64_e32 v[4:5], s[28:29], v[34:35]
	global_store_dwordx2 v[2:3], v[4:5], off
.LBB59_57:                              ;   in Loop: Header=BB59_4 Depth=1
	s_or_b64 exec, exec, s[10:11]
	s_and_b64 s[10:11], s[16:17], vcc
	s_and_saveexec_b64 s[8:9], s[10:11]
	s_cbranch_execz .LBB59_59
; %bb.58:                               ;   in Loop: Header=BB59_4 Depth=1
	v_lshlrev_b64 v[2:3], 3, v[12:13]
	v_add_co_u32_e32 v0, vcc, v0, v2
	v_addc_co_u32_e32 v1, vcc, v1, v3, vcc
	global_load_dwordx2 v[2:3], v[0:1], off
	s_waitcnt vmcnt(0)
	v_fmac_f64_e32 v[2:3], s[28:29], v[28:29]
	global_store_dwordx2 v[0:1], v[2:3], off
.LBB59_59:                              ;   in Loop: Header=BB59_4 Depth=1
	s_or_b64 exec, exec, s[8:9]
	v_add_u32_e32 v0, 16, v20
	v_ashrrev_i32_e32 v1, 31, v0
	v_cmp_gt_i32_e32 vcc, s26, v0
	v_mul_lo_u32 v2, v1, s20
	v_mul_lo_u32 v3, v0, s21
	v_mad_u64_u32 v[0:1], s[8:9], v0, s20, 0
	v_add3_u32 v1, v1, v3, v2
	v_lshlrev_b64 v[0:1], 3, v[0:1]
	v_mov_b32_e32 v2, s57
	v_add_co_u32_e64 v0, s[8:9], s56, v0
	v_addc_co_u32_e64 v1, s[8:9], v2, v1, s[8:9]
	s_and_b64 s[8:9], s[4:5], vcc
	s_and_saveexec_b64 s[10:11], s[8:9]
	s_cbranch_execz .LBB59_61
; %bb.60:                               ;   in Loop: Header=BB59_4 Depth=1
	v_add_co_u32_e64 v2, s[8:9], v0, v8
	v_addc_co_u32_e64 v3, s[8:9], v1, v9, s[8:9]
	global_load_dwordx2 v[4:5], v[2:3], off
	s_waitcnt vmcnt(0)
	v_fmac_f64_e32 v[4:5], s[28:29], v[24:25]
	global_store_dwordx2 v[2:3], v[4:5], off
.LBB59_61:                              ;   in Loop: Header=BB59_4 Depth=1
	s_or_b64 exec, exec, s[10:11]
	s_and_b64 s[10:11], s[16:17], vcc
	s_and_saveexec_b64 s[8:9], s[10:11]
	s_cbranch_execz .LBB59_3
; %bb.62:                               ;   in Loop: Header=BB59_4 Depth=1
	v_lshlrev_b64 v[2:3], 3, v[12:13]
	v_add_co_u32_e32 v0, vcc, v0, v2
	v_addc_co_u32_e32 v1, vcc, v1, v3, vcc
	global_load_dwordx2 v[2:3], v[0:1], off
	s_waitcnt vmcnt(0)
	v_fmac_f64_e32 v[2:3], s[28:29], v[22:23]
	global_store_dwordx2 v[0:1], v[2:3], off
	s_branch .LBB59_3
.LBB59_63:
	s_endpgm
	.section	.rodata,"a",@progbits
	.p2align	6, 0x0
	.amdhsa_kernel _ZL30rocblas_trmm_outofplace_kernelIdLi32ELi2ELb0ELb1ELb1ELb1EdKddEv17rocblas_diagonal_iiT6_lPT7_lllS4_lllPT8_llli
		.amdhsa_group_segment_fixed_size 16384
		.amdhsa_private_segment_fixed_size 0
		.amdhsa_kernarg_size 392
		.amdhsa_user_sgpr_count 6
		.amdhsa_user_sgpr_private_segment_buffer 1
		.amdhsa_user_sgpr_dispatch_ptr 0
		.amdhsa_user_sgpr_queue_ptr 0
		.amdhsa_user_sgpr_kernarg_segment_ptr 1
		.amdhsa_user_sgpr_dispatch_id 0
		.amdhsa_user_sgpr_flat_scratch_init 0
		.amdhsa_user_sgpr_kernarg_preload_length 0
		.amdhsa_user_sgpr_kernarg_preload_offset 0
		.amdhsa_user_sgpr_private_segment_size 0
		.amdhsa_uses_dynamic_stack 0
		.amdhsa_system_sgpr_private_segment_wavefront_offset 0
		.amdhsa_system_sgpr_workgroup_id_x 1
		.amdhsa_system_sgpr_workgroup_id_y 1
		.amdhsa_system_sgpr_workgroup_id_z 1
		.amdhsa_system_sgpr_workgroup_info 0
		.amdhsa_system_vgpr_workitem_id 1
		.amdhsa_next_free_vgpr 80
		.amdhsa_next_free_sgpr 61
		.amdhsa_accum_offset 80
		.amdhsa_reserve_vcc 1
		.amdhsa_reserve_flat_scratch 0
		.amdhsa_float_round_mode_32 0
		.amdhsa_float_round_mode_16_64 0
		.amdhsa_float_denorm_mode_32 3
		.amdhsa_float_denorm_mode_16_64 3
		.amdhsa_dx10_clamp 1
		.amdhsa_ieee_mode 1
		.amdhsa_fp16_overflow 0
		.amdhsa_tg_split 0
		.amdhsa_exception_fp_ieee_invalid_op 0
		.amdhsa_exception_fp_denorm_src 0
		.amdhsa_exception_fp_ieee_div_zero 0
		.amdhsa_exception_fp_ieee_overflow 0
		.amdhsa_exception_fp_ieee_underflow 0
		.amdhsa_exception_fp_ieee_inexact 0
		.amdhsa_exception_int_div_zero 0
	.end_amdhsa_kernel
	.section	.text._ZL30rocblas_trmm_outofplace_kernelIdLi32ELi2ELb0ELb1ELb1ELb1EdKddEv17rocblas_diagonal_iiT6_lPT7_lllS4_lllPT8_llli,"axG",@progbits,_ZL30rocblas_trmm_outofplace_kernelIdLi32ELi2ELb0ELb1ELb1ELb1EdKddEv17rocblas_diagonal_iiT6_lPT7_lllS4_lllPT8_llli,comdat
.Lfunc_end59:
	.size	_ZL30rocblas_trmm_outofplace_kernelIdLi32ELi2ELb0ELb1ELb1ELb1EdKddEv17rocblas_diagonal_iiT6_lPT7_lllS4_lllPT8_llli, .Lfunc_end59-_ZL30rocblas_trmm_outofplace_kernelIdLi32ELi2ELb0ELb1ELb1ELb1EdKddEv17rocblas_diagonal_iiT6_lPT7_lllS4_lllPT8_llli
                                        ; -- End function
	.section	.AMDGPU.csdata,"",@progbits
; Kernel info:
; codeLenInByte = 3432
; NumSgprs: 65
; NumVgprs: 80
; NumAgprs: 0
; TotalNumVgprs: 80
; ScratchSize: 0
; MemoryBound: 1
; FloatMode: 240
; IeeeMode: 1
; LDSByteSize: 16384 bytes/workgroup (compile time only)
; SGPRBlocks: 8
; VGPRBlocks: 9
; NumSGPRsForWavesPerEU: 65
; NumVGPRsForWavesPerEU: 80
; AccumOffset: 80
; Occupancy: 6
; WaveLimiterHint : 0
; COMPUTE_PGM_RSRC2:SCRATCH_EN: 0
; COMPUTE_PGM_RSRC2:USER_SGPR: 6
; COMPUTE_PGM_RSRC2:TRAP_HANDLER: 0
; COMPUTE_PGM_RSRC2:TGID_X_EN: 1
; COMPUTE_PGM_RSRC2:TGID_Y_EN: 1
; COMPUTE_PGM_RSRC2:TGID_Z_EN: 1
; COMPUTE_PGM_RSRC2:TIDIG_COMP_CNT: 1
; COMPUTE_PGM_RSRC3_GFX90A:ACCUM_OFFSET: 19
; COMPUTE_PGM_RSRC3_GFX90A:TG_SPLIT: 0
	.section	.text._ZL23rocblas_trmm_lNx_kernelILi32EdPKdS0_dEv13rocblas_fill_17rocblas_diagonal_iiT1_lPT2_llS6_llPT3_lli,"axG",@progbits,_ZL23rocblas_trmm_lNx_kernelILi32EdPKdS0_dEv13rocblas_fill_17rocblas_diagonal_iiT1_lPT2_llS6_llPT3_lli,comdat
	.globl	_ZL23rocblas_trmm_lNx_kernelILi32EdPKdS0_dEv13rocblas_fill_17rocblas_diagonal_iiT1_lPT2_llS6_llPT3_lli ; -- Begin function _ZL23rocblas_trmm_lNx_kernelILi32EdPKdS0_dEv13rocblas_fill_17rocblas_diagonal_iiT1_lPT2_llS6_llPT3_lli
	.p2align	8
	.type	_ZL23rocblas_trmm_lNx_kernelILi32EdPKdS0_dEv13rocblas_fill_17rocblas_diagonal_iiT1_lPT2_llS6_llPT3_lli,@function
_ZL23rocblas_trmm_lNx_kernelILi32EdPKdS0_dEv13rocblas_fill_17rocblas_diagonal_iiT1_lPT2_llS6_llPT3_lli: ; @_ZL23rocblas_trmm_lNx_kernelILi32EdPKdS0_dEv13rocblas_fill_17rocblas_diagonal_iiT1_lPT2_llS6_llPT3_lli
; %bb.0:
	s_load_dwordx16 s[8:23], s[4:5], 0x10
	s_waitcnt lgkmcnt(0)
	s_mul_i32 s0, s7, s11
	s_mul_hi_u32 s1, s7, s10
	s_add_i32 s1, s1, s0
	s_mul_i32 s0, s7, s10
	s_lshl_b64 s[0:1], s[0:1], 3
	s_add_u32 s0, s8, s0
	s_addc_u32 s1, s9, s1
	s_load_dwordx2 s[24:25], s[0:1], 0x0
	s_waitcnt lgkmcnt(0)
	v_cmp_eq_f64_e64 s[0:1], s[24:25], 0
	s_and_b64 vcc, exec, s[0:1]
	s_cbranch_vccnz .LBB60_15
; %bb.1:
	s_load_dwordx4 s[8:11], s[4:5], 0x0
	s_mov_b32 s0, 0
	v_and_b32_e32 v4, 0x3ff, v0
	v_bfe_u32 v2, v0, 10, 10
	s_mov_b32 s1, s0
	v_lshlrev_b32_e32 v0, 5, v2
	v_pk_mov_b32 v[6:7], s[0:1], s[0:1] op_sel:[0,1]
	s_waitcnt lgkmcnt(0)
	v_cmp_gt_i32_e64 s[0:1], s10, v2
	v_cmp_gt_i32_e32 vcc, s10, v4
	v_add_lshl_u32 v1, v0, v4, 3
	s_and_b64 s[0:1], s[0:1], vcc
	v_lshlrev_b32_e32 v3, 3, v4
	ds_write2st64_b64 v1, v[6:7], v[6:7] offset1:16
	s_and_saveexec_b64 s[2:3], s[0:1]
	s_cbranch_execz .LBB60_3
; %bb.2:
	s_mul_i32 s0, s7, s17
	s_mul_hi_u32 s1, s7, s16
	s_add_i32 s1, s1, s0
	s_mul_i32 s0, s7, s16
	s_lshl_b64 s[0:1], s[0:1], 3
	s_add_u32 s10, s12, s0
	s_addc_u32 s12, s13, s1
	v_mad_u64_u32 v[6:7], s[0:1], v2, s14, 0
	v_mov_b32_e32 v8, v7
	v_mad_u64_u32 v[8:9], s[0:1], v2, s15, v[8:9]
	v_mov_b32_e32 v7, v8
	v_lshlrev_b64 v[6:7], 3, v[6:7]
	v_mov_b32_e32 v5, s12
	v_add_co_u32_e64 v6, s[0:1], s10, v6
	v_addc_co_u32_e64 v5, s[0:1], v5, v7, s[0:1]
	v_add_co_u32_e64 v6, s[0:1], v6, v3
	v_addc_co_u32_e64 v7, s[0:1], 0, v5, s[0:1]
	global_load_dwordx2 v[6:7], v[6:7], off
	s_waitcnt vmcnt(0)
	ds_write_b64 v1, v[6:7]
.LBB60_3:
	s_or_b64 exec, exec, s[2:3]
	s_add_i32 s0, s11, -1
	s_ashr_i32 s1, s0, 31
	s_lshr_b32 s1, s1, 27
	s_add_i32 s0, s0, s1
	s_ashr_i32 s1, s0, 5
	s_andn2_b32 s0, s0, 31
	s_sub_i32 s0, s11, s0
	s_cmp_ge_i32 s6, s1
	s_cselect_b32 s0, s0, 32
	s_lshl_b32 s6, s6, 5
	v_cmp_gt_i32_e64 s[0:1], s0, v2
	s_ashr_i32 s10, s6, 31
	s_and_b64 s[0:1], vcc, s[0:1]
	s_and_saveexec_b64 s[2:3], s[0:1]
	s_cbranch_execz .LBB60_5
; %bb.4:
	s_mul_i32 s11, s7, s23
	s_mul_hi_u32 s12, s7, s22
	s_add_i32 s13, s12, s11
	s_mul_i32 s12, s7, s22
	s_lshl_b64 s[12:13], s[12:13], 3
	s_add_u32 s11, s18, s12
	s_addc_u32 s14, s19, s13
	s_mul_i32 s12, s6, s21
	s_mul_hi_u32 s13, s6, s20
	s_add_i32 s12, s13, s12
	s_mul_i32 s13, s10, s20
	s_add_i32 s13, s12, s13
	s_mul_i32 s12, s6, s20
	s_lshl_b64 s[12:13], s[12:13], 3
	s_add_u32 s11, s11, s12
	s_addc_u32 s14, s14, s13
	v_mad_u64_u32 v[6:7], s[12:13], v2, s20, 0
	v_mov_b32_e32 v8, v7
	v_mad_u64_u32 v[8:9], s[12:13], v2, s21, v[8:9]
	v_mov_b32_e32 v7, v8
	v_lshlrev_b64 v[6:7], 3, v[6:7]
	v_mov_b32_e32 v5, s14
	v_add_co_u32_e32 v6, vcc, s11, v6
	v_addc_co_u32_e32 v5, vcc, v5, v7, vcc
	v_add_co_u32_e32 v6, vcc, v6, v3
	v_addc_co_u32_e32 v7, vcc, 0, v5, vcc
	global_load_dwordx2 v[6:7], v[6:7], off
	v_add_u32_e32 v5, 0x2000, v1
	s_waitcnt vmcnt(0)
	ds_write_b64 v5, v[6:7]
.LBB60_5:
	s_or_b64 exec, exec, s[2:3]
	s_cmpk_eq_i32 s9, 0x84
	s_cselect_b64 s[2:3], -1, 0
	v_cmp_eq_u32_e32 vcc, v2, v4
	s_and_b64 s[12:13], vcc, s[2:3]
	s_and_saveexec_b64 s[2:3], s[12:13]
	s_cbranch_execz .LBB60_7
; %bb.6:
	v_mov_b32_e32 v6, 0
	v_mov_b32_e32 v7, 0x3ff00000
	ds_write_b64 v1, v[6:7]
.LBB60_7:
	s_or_b64 exec, exec, s[2:3]
	s_cmpk_lg_i32 s8, 0x79
	s_cbranch_scc0 .LBB60_9
; %bb.8:
	v_cmp_lt_u32_e32 vcc, v4, v2
	s_and_b64 s[2:3], vcc, exec
	s_cbranch_execz .LBB60_10
	s_branch .LBB60_11
.LBB60_9:
	s_mov_b64 s[2:3], 0
.LBB60_10:
	v_cmp_gt_u32_e32 vcc, v4, v2
	s_andn2_b64 s[2:3], s[2:3], exec
	s_and_b64 s[8:9], vcc, exec
	s_or_b64 s[2:3], s[2:3], s[8:9]
.LBB60_11:
	s_and_saveexec_b64 s[8:9], s[2:3]
	s_cbranch_execz .LBB60_13
; %bb.12:
	v_mov_b32_e32 v4, 0
	v_mov_b32_e32 v5, v4
	ds_write_b64 v1, v[4:5]
.LBB60_13:
	s_or_b64 exec, exec, s[8:9]
	s_waitcnt lgkmcnt(0)
	s_barrier
	s_and_saveexec_b64 s[2:3], s[0:1]
	s_cbranch_execz .LBB60_15
; %bb.14:
	s_load_dwordx2 s[8:9], s[4:5], 0x60
	s_load_dwordx4 s[0:3], s[4:5], 0x50
	ds_read2_b64 v[4:7], v3 offset1:32
	v_lshlrev_b32_e32 v32, 3, v0
	ds_read_b128 v[8:11], v32 offset:8192
	ds_read_b128 v[12:15], v32 offset:8208
	ds_read2_b64 v[16:19], v3 offset0:64 offset1:96
	ds_read_b128 v[20:23], v32 offset:8224
	ds_read_b128 v[24:27], v32 offset:8240
	ds_read2_b64 v[28:31], v3 offset0:128 offset1:160
	s_waitcnt lgkmcnt(0)
	s_mul_i32 s5, s7, s9
	s_mul_hi_u32 s9, s7, s8
	v_fma_f64 v[0:1], v[4:5], v[8:9], 0
	v_fmac_f64_e32 v[0:1], v[6:7], v[10:11]
	ds_read2_b64 v[4:7], v3 offset0:192 offset1:224
	v_fmac_f64_e32 v[0:1], v[16:17], v[12:13]
	v_fmac_f64_e32 v[0:1], v[18:19], v[14:15]
	;; [unrolled: 1-line block ×3, first 2 shown]
	v_add_u32_e32 v28, 0x800, v3
	v_fmac_f64_e32 v[0:1], v[30:31], v[22:23]
	ds_read2_b64 v[8:11], v28 offset1:32
	ds_read_b128 v[12:15], v32 offset:8256
	s_waitcnt lgkmcnt(2)
	v_fmac_f64_e32 v[0:1], v[4:5], v[24:25]
	v_fmac_f64_e32 v[0:1], v[6:7], v[26:27]
	ds_read2_b64 v[4:7], v28 offset0:64 offset1:96
	ds_read_b128 v[16:19], v32 offset:8272
	ds_read2_b64 v[20:23], v28 offset0:128 offset1:160
	ds_read_b128 v[24:27], v32 offset:8288
	s_waitcnt lgkmcnt(4)
	v_fmac_f64_e32 v[0:1], v[8:9], v[12:13]
	v_fmac_f64_e32 v[0:1], v[10:11], v[14:15]
	ds_read2_b64 v[8:11], v28 offset0:192 offset1:224
	s_waitcnt lgkmcnt(3)
	v_fmac_f64_e32 v[0:1], v[4:5], v[16:17]
	v_fmac_f64_e32 v[0:1], v[6:7], v[18:19]
	ds_read_b128 v[4:7], v32 offset:8304
	s_waitcnt lgkmcnt(2)
	v_fmac_f64_e32 v[0:1], v[20:21], v[24:25]
	v_add_u32_e32 v28, 0x1000, v3
	v_fmac_f64_e32 v[0:1], v[22:23], v[26:27]
	ds_read2_b64 v[12:15], v28 offset1:32
	ds_read_b128 v[16:19], v32 offset:8320
	s_waitcnt lgkmcnt(2)
	v_fmac_f64_e32 v[0:1], v[8:9], v[4:5]
	v_fmac_f64_e32 v[0:1], v[10:11], v[6:7]
	ds_read2_b64 v[4:7], v28 offset0:64 offset1:96
	ds_read_b128 v[8:11], v32 offset:8336
	ds_read2_b64 v[20:23], v28 offset0:128 offset1:160
	ds_read_b128 v[24:27], v32 offset:8352
	s_waitcnt lgkmcnt(4)
	v_fmac_f64_e32 v[0:1], v[12:13], v[16:17]
	v_fmac_f64_e32 v[0:1], v[14:15], v[18:19]
	s_mul_i32 s4, s7, s8
	s_waitcnt lgkmcnt(2)
	v_fmac_f64_e32 v[0:1], v[4:5], v[8:9]
	v_fmac_f64_e32 v[0:1], v[6:7], v[10:11]
	ds_read_b128 v[4:7], v32 offset:8368
	ds_read2_b64 v[8:11], v28 offset0:192 offset1:224
	s_waitcnt lgkmcnt(2)
	v_fmac_f64_e32 v[0:1], v[20:21], v[24:25]
	v_add_u32_e32 v20, 0x1800, v3
	s_add_i32 s5, s9, s5
	ds_read2_b64 v[12:15], v20 offset1:32
	ds_read_b128 v[16:19], v32 offset:8384
	v_fmac_f64_e32 v[0:1], v[22:23], v[26:27]
	s_lshl_b64 s[4:5], s[4:5], 3
	s_waitcnt lgkmcnt(2)
	v_fmac_f64_e32 v[0:1], v[8:9], v[4:5]
	s_mul_i32 s7, s6, s3
	s_add_u32 s4, s0, s4
	s_mul_hi_u32 s0, s6, s2
	v_fmac_f64_e32 v[0:1], v[10:11], v[6:7]
	ds_read_b128 v[4:7], v32 offset:8400
	s_addc_u32 s5, s1, s5
	s_add_i32 s0, s0, s7
	s_mul_i32 s10, s10, s2
	s_add_i32 s1, s0, s10
	s_mul_i32 s0, s6, s2
	s_lshl_b64 s[0:1], s[0:1], 3
	s_waitcnt lgkmcnt(1)
	v_fmac_f64_e32 v[0:1], v[12:13], v[16:17]
	s_add_u32 s0, s4, s0
	v_fmac_f64_e32 v[0:1], v[14:15], v[18:19]
	ds_read2_b64 v[8:11], v20 offset0:64 offset1:96
	ds_read2_b64 v[12:15], v20 offset0:128 offset1:160
	ds_read_b128 v[16:19], v32 offset:8416
	ds_read2_b64 v[20:23], v20 offset0:192 offset1:224
	ds_read_b128 v[24:27], v32 offset:8432
	s_addc_u32 s1, s5, s1
	s_waitcnt lgkmcnt(4)
	v_fmac_f64_e32 v[0:1], v[8:9], v[4:5]
	v_mad_u64_u32 v[4:5], s[4:5], v2, s2, 0
	v_fmac_f64_e32 v[0:1], v[10:11], v[6:7]
	v_mov_b32_e32 v6, v5
	v_mad_u64_u32 v[6:7], s[2:3], v2, s3, v[6:7]
	v_mov_b32_e32 v5, v6
	s_waitcnt lgkmcnt(2)
	v_fmac_f64_e32 v[0:1], v[12:13], v[16:17]
	v_lshlrev_b64 v[4:5], 3, v[4:5]
	v_fmac_f64_e32 v[0:1], v[14:15], v[18:19]
	v_mov_b32_e32 v2, s1
	v_add_co_u32_e32 v4, vcc, s0, v4
	s_waitcnt lgkmcnt(0)
	v_fmac_f64_e32 v[0:1], v[20:21], v[24:25]
	v_addc_co_u32_e32 v5, vcc, v2, v5, vcc
	v_fmac_f64_e32 v[0:1], v[22:23], v[26:27]
	v_add_co_u32_e32 v2, vcc, v4, v3
	v_mul_f64 v[0:1], s[24:25], v[0:1]
	v_addc_co_u32_e32 v3, vcc, 0, v5, vcc
	global_store_dwordx2 v[2:3], v[0:1], off
.LBB60_15:
	s_endpgm
	.section	.rodata,"a",@progbits
	.p2align	6, 0x0
	.amdhsa_kernel _ZL23rocblas_trmm_lNx_kernelILi32EdPKdS0_dEv13rocblas_fill_17rocblas_diagonal_iiT1_lPT2_llS6_llPT3_lli
		.amdhsa_group_segment_fixed_size 16384
		.amdhsa_private_segment_fixed_size 0
		.amdhsa_kernarg_size 108
		.amdhsa_user_sgpr_count 6
		.amdhsa_user_sgpr_private_segment_buffer 1
		.amdhsa_user_sgpr_dispatch_ptr 0
		.amdhsa_user_sgpr_queue_ptr 0
		.amdhsa_user_sgpr_kernarg_segment_ptr 1
		.amdhsa_user_sgpr_dispatch_id 0
		.amdhsa_user_sgpr_flat_scratch_init 0
		.amdhsa_user_sgpr_kernarg_preload_length 0
		.amdhsa_user_sgpr_kernarg_preload_offset 0
		.amdhsa_user_sgpr_private_segment_size 0
		.amdhsa_uses_dynamic_stack 0
		.amdhsa_system_sgpr_private_segment_wavefront_offset 0
		.amdhsa_system_sgpr_workgroup_id_x 1
		.amdhsa_system_sgpr_workgroup_id_y 0
		.amdhsa_system_sgpr_workgroup_id_z 1
		.amdhsa_system_sgpr_workgroup_info 0
		.amdhsa_system_vgpr_workitem_id 1
		.amdhsa_next_free_vgpr 33
		.amdhsa_next_free_sgpr 26
		.amdhsa_accum_offset 36
		.amdhsa_reserve_vcc 1
		.amdhsa_reserve_flat_scratch 0
		.amdhsa_float_round_mode_32 0
		.amdhsa_float_round_mode_16_64 0
		.amdhsa_float_denorm_mode_32 3
		.amdhsa_float_denorm_mode_16_64 3
		.amdhsa_dx10_clamp 1
		.amdhsa_ieee_mode 1
		.amdhsa_fp16_overflow 0
		.amdhsa_tg_split 0
		.amdhsa_exception_fp_ieee_invalid_op 0
		.amdhsa_exception_fp_denorm_src 0
		.amdhsa_exception_fp_ieee_div_zero 0
		.amdhsa_exception_fp_ieee_overflow 0
		.amdhsa_exception_fp_ieee_underflow 0
		.amdhsa_exception_fp_ieee_inexact 0
		.amdhsa_exception_int_div_zero 0
	.end_amdhsa_kernel
	.section	.text._ZL23rocblas_trmm_lNx_kernelILi32EdPKdS0_dEv13rocblas_fill_17rocblas_diagonal_iiT1_lPT2_llS6_llPT3_lli,"axG",@progbits,_ZL23rocblas_trmm_lNx_kernelILi32EdPKdS0_dEv13rocblas_fill_17rocblas_diagonal_iiT1_lPT2_llS6_llPT3_lli,comdat
.Lfunc_end60:
	.size	_ZL23rocblas_trmm_lNx_kernelILi32EdPKdS0_dEv13rocblas_fill_17rocblas_diagonal_iiT1_lPT2_llS6_llPT3_lli, .Lfunc_end60-_ZL23rocblas_trmm_lNx_kernelILi32EdPKdS0_dEv13rocblas_fill_17rocblas_diagonal_iiT1_lPT2_llS6_llPT3_lli
                                        ; -- End function
	.section	.AMDGPU.csdata,"",@progbits
; Kernel info:
; codeLenInByte = 1252
; NumSgprs: 30
; NumVgprs: 33
; NumAgprs: 0
; TotalNumVgprs: 33
; ScratchSize: 0
; MemoryBound: 0
; FloatMode: 240
; IeeeMode: 1
; LDSByteSize: 16384 bytes/workgroup (compile time only)
; SGPRBlocks: 3
; VGPRBlocks: 4
; NumSGPRsForWavesPerEU: 30
; NumVGPRsForWavesPerEU: 33
; AccumOffset: 36
; Occupancy: 8
; WaveLimiterHint : 0
; COMPUTE_PGM_RSRC2:SCRATCH_EN: 0
; COMPUTE_PGM_RSRC2:USER_SGPR: 6
; COMPUTE_PGM_RSRC2:TRAP_HANDLER: 0
; COMPUTE_PGM_RSRC2:TGID_X_EN: 1
; COMPUTE_PGM_RSRC2:TGID_Y_EN: 0
; COMPUTE_PGM_RSRC2:TGID_Z_EN: 1
; COMPUTE_PGM_RSRC2:TIDIG_COMP_CNT: 1
; COMPUTE_PGM_RSRC3_GFX90A:ACCUM_OFFSET: 8
; COMPUTE_PGM_RSRC3_GFX90A:TG_SPLIT: 0
	.section	.text._ZL23rocblas_trmm_lNx_kernelILi32EddKddEv13rocblas_fill_17rocblas_diagonal_iiT1_lPT2_llS5_llPT3_lli,"axG",@progbits,_ZL23rocblas_trmm_lNx_kernelILi32EddKddEv13rocblas_fill_17rocblas_diagonal_iiT1_lPT2_llS5_llPT3_lli,comdat
	.globl	_ZL23rocblas_trmm_lNx_kernelILi32EddKddEv13rocblas_fill_17rocblas_diagonal_iiT1_lPT2_llS5_llPT3_lli ; -- Begin function _ZL23rocblas_trmm_lNx_kernelILi32EddKddEv13rocblas_fill_17rocblas_diagonal_iiT1_lPT2_llS5_llPT3_lli
	.p2align	8
	.type	_ZL23rocblas_trmm_lNx_kernelILi32EddKddEv13rocblas_fill_17rocblas_diagonal_iiT1_lPT2_llS5_llPT3_lli,@function
_ZL23rocblas_trmm_lNx_kernelILi32EddKddEv13rocblas_fill_17rocblas_diagonal_iiT1_lPT2_llS5_llPT3_lli: ; @_ZL23rocblas_trmm_lNx_kernelILi32EddKddEv13rocblas_fill_17rocblas_diagonal_iiT1_lPT2_llS5_llPT3_lli
; %bb.0:
	s_load_dwordx2 s[2:3], s[4:5], 0x10
	s_waitcnt lgkmcnt(0)
	v_cmp_eq_f64_e64 s[0:1], s[2:3], 0
	s_and_b64 vcc, exec, s[0:1]
	s_cbranch_vccnz .LBB61_15
; %bb.1:
	s_load_dwordx4 s[24:27], s[4:5], 0x0
	s_load_dwordx16 s[8:23], s[4:5], 0x20
	s_mov_b32 s0, 0
	v_and_b32_e32 v4, 0x3ff, v0
	v_bfe_u32 v2, v0, 10, 10
	s_mov_b32 s1, s0
	v_lshlrev_b32_e32 v0, 5, v2
	v_pk_mov_b32 v[6:7], s[0:1], s[0:1] op_sel:[0,1]
	s_waitcnt lgkmcnt(0)
	v_cmp_gt_i32_e64 s[0:1], s26, v2
	v_cmp_gt_i32_e32 vcc, s26, v4
	v_add_lshl_u32 v1, v0, v4, 3
	s_and_b64 s[0:1], s[0:1], vcc
	v_lshlrev_b32_e32 v3, 3, v4
	ds_write2st64_b64 v1, v[6:7], v[6:7] offset1:16
	s_and_saveexec_b64 s[28:29], s[0:1]
	s_cbranch_execz .LBB61_3
; %bb.2:
	s_mul_i32 s0, s7, s13
	s_mul_hi_u32 s1, s7, s12
	s_add_i32 s1, s1, s0
	s_mul_i32 s0, s7, s12
	s_lshl_b64 s[0:1], s[0:1], 3
	s_add_u32 s8, s8, s0
	s_addc_u32 s9, s9, s1
	v_mad_u64_u32 v[6:7], s[0:1], v2, s10, 0
	v_mov_b32_e32 v8, v7
	v_mad_u64_u32 v[8:9], s[0:1], v2, s11, v[8:9]
	v_mov_b32_e32 v7, v8
	v_lshlrev_b64 v[6:7], 3, v[6:7]
	v_mov_b32_e32 v5, s9
	v_add_co_u32_e64 v6, s[0:1], s8, v6
	v_addc_co_u32_e64 v5, s[0:1], v5, v7, s[0:1]
	v_add_co_u32_e64 v6, s[0:1], v6, v3
	v_addc_co_u32_e64 v7, s[0:1], 0, v5, s[0:1]
	global_load_dwordx2 v[6:7], v[6:7], off
	s_waitcnt vmcnt(0)
	ds_write_b64 v1, v[6:7]
.LBB61_3:
	s_or_b64 exec, exec, s[28:29]
	s_add_i32 s0, s27, -1
	s_ashr_i32 s1, s0, 31
	s_lshr_b32 s1, s1, 27
	s_add_i32 s0, s0, s1
	s_ashr_i32 s1, s0, 5
	s_andn2_b32 s0, s0, 31
	s_sub_i32 s0, s27, s0
	s_cmp_ge_i32 s6, s1
	s_cselect_b32 s0, s0, 32
	s_lshl_b32 s6, s6, 5
	v_cmp_gt_i32_e64 s[0:1], s0, v2
	s_ashr_i32 s12, s6, 31
	s_and_b64 s[0:1], vcc, s[0:1]
	s_and_saveexec_b64 s[8:9], s[0:1]
	s_cbranch_execz .LBB61_5
; %bb.4:
	s_mul_i32 s10, s7, s19
	s_mul_hi_u32 s11, s7, s18
	s_add_i32 s11, s11, s10
	s_mul_i32 s10, s7, s18
	s_lshl_b64 s[10:11], s[10:11], 3
	s_add_u32 s13, s14, s10
	s_addc_u32 s14, s15, s11
	s_mul_i32 s10, s6, s17
	s_mul_hi_u32 s11, s6, s16
	s_add_i32 s10, s11, s10
	s_mul_i32 s11, s12, s16
	s_add_i32 s11, s10, s11
	s_mul_i32 s10, s6, s16
	s_lshl_b64 s[10:11], s[10:11], 3
	s_add_u32 s13, s13, s10
	s_addc_u32 s14, s14, s11
	v_mad_u64_u32 v[6:7], s[10:11], v2, s16, 0
	v_mov_b32_e32 v8, v7
	v_mad_u64_u32 v[8:9], s[10:11], v2, s17, v[8:9]
	v_mov_b32_e32 v7, v8
	v_lshlrev_b64 v[6:7], 3, v[6:7]
	v_mov_b32_e32 v5, s14
	v_add_co_u32_e32 v6, vcc, s13, v6
	v_addc_co_u32_e32 v5, vcc, v5, v7, vcc
	v_add_co_u32_e32 v6, vcc, v6, v3
	v_addc_co_u32_e32 v7, vcc, 0, v5, vcc
	global_load_dwordx2 v[6:7], v[6:7], off
	v_add_u32_e32 v5, 0x2000, v1
	s_waitcnt vmcnt(0)
	ds_write_b64 v5, v[6:7]
.LBB61_5:
	s_or_b64 exec, exec, s[8:9]
	s_cmpk_eq_i32 s25, 0x84
	s_cselect_b64 s[8:9], -1, 0
	v_cmp_eq_u32_e32 vcc, v2, v4
	s_and_b64 s[10:11], vcc, s[8:9]
	s_and_saveexec_b64 s[8:9], s[10:11]
	s_cbranch_execz .LBB61_7
; %bb.6:
	v_mov_b32_e32 v6, 0
	v_mov_b32_e32 v7, 0x3ff00000
	ds_write_b64 v1, v[6:7]
.LBB61_7:
	s_or_b64 exec, exec, s[8:9]
	s_cmpk_lg_i32 s24, 0x79
	s_cbranch_scc0 .LBB61_9
; %bb.8:
	v_cmp_lt_u32_e32 vcc, v4, v2
	s_and_b64 s[8:9], vcc, exec
	s_cbranch_execz .LBB61_10
	s_branch .LBB61_11
.LBB61_9:
	s_mov_b64 s[8:9], 0
.LBB61_10:
	v_cmp_gt_u32_e32 vcc, v4, v2
	s_andn2_b64 s[8:9], s[8:9], exec
	s_and_b64 s[10:11], vcc, exec
	s_or_b64 s[8:9], s[8:9], s[10:11]
.LBB61_11:
	s_and_saveexec_b64 s[10:11], s[8:9]
	s_cbranch_execz .LBB61_13
; %bb.12:
	v_mov_b32_e32 v4, 0
	v_mov_b32_e32 v5, v4
	ds_write_b64 v1, v[4:5]
.LBB61_13:
	s_or_b64 exec, exec, s[10:11]
	s_waitcnt lgkmcnt(0)
	s_barrier
	s_and_saveexec_b64 s[8:9], s[0:1]
	s_cbranch_execz .LBB61_15
; %bb.14:
	ds_read2_b64 v[4:7], v3 offset1:32
	v_lshlrev_b32_e32 v32, 3, v0
	ds_read_b128 v[8:11], v32 offset:8192
	ds_read_b128 v[12:15], v32 offset:8208
	ds_read2_b64 v[16:19], v3 offset0:64 offset1:96
	ds_read_b128 v[20:23], v32 offset:8224
	ds_read_b128 v[24:27], v32 offset:8240
	ds_read2_b64 v[28:31], v3 offset0:128 offset1:160
	s_load_dwordx2 s[0:1], s[4:5], 0x60
	s_mul_i32 s4, s6, s23
	s_waitcnt lgkmcnt(0)
	v_fma_f64 v[0:1], v[4:5], v[8:9], 0
	v_fmac_f64_e32 v[0:1], v[6:7], v[10:11]
	ds_read2_b64 v[4:7], v3 offset0:192 offset1:224
	v_fmac_f64_e32 v[0:1], v[16:17], v[12:13]
	v_fmac_f64_e32 v[0:1], v[18:19], v[14:15]
	;; [unrolled: 1-line block ×3, first 2 shown]
	v_add_u32_e32 v28, 0x800, v3
	v_fmac_f64_e32 v[0:1], v[30:31], v[22:23]
	ds_read2_b64 v[8:11], v28 offset1:32
	ds_read_b128 v[12:15], v32 offset:8256
	s_waitcnt lgkmcnt(2)
	v_fmac_f64_e32 v[0:1], v[4:5], v[24:25]
	v_fmac_f64_e32 v[0:1], v[6:7], v[26:27]
	ds_read2_b64 v[4:7], v28 offset0:64 offset1:96
	ds_read_b128 v[16:19], v32 offset:8272
	ds_read2_b64 v[20:23], v28 offset0:128 offset1:160
	ds_read_b128 v[24:27], v32 offset:8288
	s_waitcnt lgkmcnt(4)
	v_fmac_f64_e32 v[0:1], v[8:9], v[12:13]
	v_fmac_f64_e32 v[0:1], v[10:11], v[14:15]
	ds_read2_b64 v[8:11], v28 offset0:192 offset1:224
	s_waitcnt lgkmcnt(3)
	v_fmac_f64_e32 v[0:1], v[4:5], v[16:17]
	v_fmac_f64_e32 v[0:1], v[6:7], v[18:19]
	ds_read_b128 v[4:7], v32 offset:8304
	s_waitcnt lgkmcnt(2)
	v_fmac_f64_e32 v[0:1], v[20:21], v[24:25]
	v_add_u32_e32 v28, 0x1000, v3
	v_fmac_f64_e32 v[0:1], v[22:23], v[26:27]
	ds_read2_b64 v[12:15], v28 offset1:32
	ds_read_b128 v[16:19], v32 offset:8320
	s_waitcnt lgkmcnt(2)
	v_fmac_f64_e32 v[0:1], v[8:9], v[4:5]
	v_fmac_f64_e32 v[0:1], v[10:11], v[6:7]
	ds_read2_b64 v[4:7], v28 offset0:64 offset1:96
	ds_read_b128 v[8:11], v32 offset:8336
	ds_read2_b64 v[20:23], v28 offset0:128 offset1:160
	ds_read_b128 v[24:27], v32 offset:8352
	s_waitcnt lgkmcnt(4)
	v_fmac_f64_e32 v[0:1], v[12:13], v[16:17]
	v_fmac_f64_e32 v[0:1], v[14:15], v[18:19]
	s_mul_i32 s1, s7, s1
	s_waitcnt lgkmcnt(2)
	v_fmac_f64_e32 v[0:1], v[4:5], v[8:9]
	v_fmac_f64_e32 v[0:1], v[6:7], v[10:11]
	ds_read_b128 v[4:7], v32 offset:8368
	ds_read2_b64 v[8:11], v28 offset0:192 offset1:224
	s_waitcnt lgkmcnt(2)
	v_fmac_f64_e32 v[0:1], v[20:21], v[24:25]
	v_add_u32_e32 v20, 0x1800, v3
	ds_read2_b64 v[12:15], v20 offset1:32
	ds_read_b128 v[16:19], v32 offset:8384
	v_fmac_f64_e32 v[0:1], v[22:23], v[26:27]
	s_waitcnt lgkmcnt(2)
	v_fmac_f64_e32 v[0:1], v[8:9], v[4:5]
	v_fmac_f64_e32 v[0:1], v[10:11], v[6:7]
	ds_read_b128 v[4:7], v32 offset:8400
	s_waitcnt lgkmcnt(1)
	v_fmac_f64_e32 v[0:1], v[12:13], v[16:17]
	v_fmac_f64_e32 v[0:1], v[14:15], v[18:19]
	ds_read2_b64 v[8:11], v20 offset0:64 offset1:96
	ds_read2_b64 v[12:15], v20 offset0:128 offset1:160
	ds_read_b128 v[16:19], v32 offset:8416
	ds_read2_b64 v[20:23], v20 offset0:192 offset1:224
	ds_read_b128 v[24:27], v32 offset:8432
	s_mul_hi_u32 s8, s7, s0
	s_waitcnt lgkmcnt(4)
	v_fmac_f64_e32 v[0:1], v[8:9], v[4:5]
	v_fmac_f64_e32 v[0:1], v[10:11], v[6:7]
	s_waitcnt lgkmcnt(2)
	v_fmac_f64_e32 v[0:1], v[12:13], v[16:17]
	s_mul_i32 s0, s7, s0
	s_add_i32 s1, s8, s1
	v_fmac_f64_e32 v[0:1], v[14:15], v[18:19]
	s_lshl_b64 s[0:1], s[0:1], 3
	s_waitcnt lgkmcnt(0)
	v_fmac_f64_e32 v[0:1], v[20:21], v[24:25]
	s_mul_hi_u32 s5, s6, s22
	s_add_u32 s7, s20, s0
	v_fmac_f64_e32 v[0:1], v[22:23], v[26:27]
	s_addc_u32 s8, s21, s1
	s_add_i32 s0, s5, s4
	s_mul_i32 s12, s12, s22
	v_mul_f64 v[0:1], v[0:1], s[2:3]
	v_mad_u64_u32 v[4:5], s[2:3], v2, s22, 0
	s_add_i32 s1, s0, s12
	s_mul_i32 s0, s6, s22
	v_mov_b32_e32 v6, v5
	s_lshl_b64 s[0:1], s[0:1], 3
	v_mad_u64_u32 v[6:7], s[2:3], v2, s23, v[6:7]
	s_add_u32 s0, s7, s0
	v_mov_b32_e32 v5, v6
	s_addc_u32 s1, s8, s1
	v_lshlrev_b64 v[4:5], 3, v[4:5]
	v_mov_b32_e32 v2, s1
	v_add_co_u32_e32 v4, vcc, s0, v4
	v_addc_co_u32_e32 v5, vcc, v2, v5, vcc
	v_add_co_u32_e32 v2, vcc, v4, v3
	v_addc_co_u32_e32 v3, vcc, 0, v5, vcc
	global_store_dwordx2 v[2:3], v[0:1], off
.LBB61_15:
	s_endpgm
	.section	.rodata,"a",@progbits
	.p2align	6, 0x0
	.amdhsa_kernel _ZL23rocblas_trmm_lNx_kernelILi32EddKddEv13rocblas_fill_17rocblas_diagonal_iiT1_lPT2_llS5_llPT3_lli
		.amdhsa_group_segment_fixed_size 16384
		.amdhsa_private_segment_fixed_size 0
		.amdhsa_kernarg_size 108
		.amdhsa_user_sgpr_count 6
		.amdhsa_user_sgpr_private_segment_buffer 1
		.amdhsa_user_sgpr_dispatch_ptr 0
		.amdhsa_user_sgpr_queue_ptr 0
		.amdhsa_user_sgpr_kernarg_segment_ptr 1
		.amdhsa_user_sgpr_dispatch_id 0
		.amdhsa_user_sgpr_flat_scratch_init 0
		.amdhsa_user_sgpr_kernarg_preload_length 0
		.amdhsa_user_sgpr_kernarg_preload_offset 0
		.amdhsa_user_sgpr_private_segment_size 0
		.amdhsa_uses_dynamic_stack 0
		.amdhsa_system_sgpr_private_segment_wavefront_offset 0
		.amdhsa_system_sgpr_workgroup_id_x 1
		.amdhsa_system_sgpr_workgroup_id_y 0
		.amdhsa_system_sgpr_workgroup_id_z 1
		.amdhsa_system_sgpr_workgroup_info 0
		.amdhsa_system_vgpr_workitem_id 1
		.amdhsa_next_free_vgpr 33
		.amdhsa_next_free_sgpr 30
		.amdhsa_accum_offset 36
		.amdhsa_reserve_vcc 1
		.amdhsa_reserve_flat_scratch 0
		.amdhsa_float_round_mode_32 0
		.amdhsa_float_round_mode_16_64 0
		.amdhsa_float_denorm_mode_32 3
		.amdhsa_float_denorm_mode_16_64 3
		.amdhsa_dx10_clamp 1
		.amdhsa_ieee_mode 1
		.amdhsa_fp16_overflow 0
		.amdhsa_tg_split 0
		.amdhsa_exception_fp_ieee_invalid_op 0
		.amdhsa_exception_fp_denorm_src 0
		.amdhsa_exception_fp_ieee_div_zero 0
		.amdhsa_exception_fp_ieee_overflow 0
		.amdhsa_exception_fp_ieee_underflow 0
		.amdhsa_exception_fp_ieee_inexact 0
		.amdhsa_exception_int_div_zero 0
	.end_amdhsa_kernel
	.section	.text._ZL23rocblas_trmm_lNx_kernelILi32EddKddEv13rocblas_fill_17rocblas_diagonal_iiT1_lPT2_llS5_llPT3_lli,"axG",@progbits,_ZL23rocblas_trmm_lNx_kernelILi32EddKddEv13rocblas_fill_17rocblas_diagonal_iiT1_lPT2_llS5_llPT3_lli,comdat
.Lfunc_end61:
	.size	_ZL23rocblas_trmm_lNx_kernelILi32EddKddEv13rocblas_fill_17rocblas_diagonal_iiT1_lPT2_llS5_llPT3_lli, .Lfunc_end61-_ZL23rocblas_trmm_lNx_kernelILi32EddKddEv13rocblas_fill_17rocblas_diagonal_iiT1_lPT2_llS5_llPT3_lli
                                        ; -- End function
	.section	.AMDGPU.csdata,"",@progbits
; Kernel info:
; codeLenInByte = 1212
; NumSgprs: 34
; NumVgprs: 33
; NumAgprs: 0
; TotalNumVgprs: 33
; ScratchSize: 0
; MemoryBound: 0
; FloatMode: 240
; IeeeMode: 1
; LDSByteSize: 16384 bytes/workgroup (compile time only)
; SGPRBlocks: 4
; VGPRBlocks: 4
; NumSGPRsForWavesPerEU: 34
; NumVGPRsForWavesPerEU: 33
; AccumOffset: 36
; Occupancy: 8
; WaveLimiterHint : 0
; COMPUTE_PGM_RSRC2:SCRATCH_EN: 0
; COMPUTE_PGM_RSRC2:USER_SGPR: 6
; COMPUTE_PGM_RSRC2:TRAP_HANDLER: 0
; COMPUTE_PGM_RSRC2:TGID_X_EN: 1
; COMPUTE_PGM_RSRC2:TGID_Y_EN: 0
; COMPUTE_PGM_RSRC2:TGID_Z_EN: 1
; COMPUTE_PGM_RSRC2:TIDIG_COMP_CNT: 1
; COMPUTE_PGM_RSRC3_GFX90A:ACCUM_OFFSET: 8
; COMPUTE_PGM_RSRC3_GFX90A:TG_SPLIT: 0
	.section	.text._ZL23rocblas_trmm_lTx_kernelILi32ELb0EdPKdS0_dEv13rocblas_fill_17rocblas_diagonal_iiT2_lPT3_llS6_llPT4_lli,"axG",@progbits,_ZL23rocblas_trmm_lTx_kernelILi32ELb0EdPKdS0_dEv13rocblas_fill_17rocblas_diagonal_iiT2_lPT3_llS6_llPT4_lli,comdat
	.globl	_ZL23rocblas_trmm_lTx_kernelILi32ELb0EdPKdS0_dEv13rocblas_fill_17rocblas_diagonal_iiT2_lPT3_llS6_llPT4_lli ; -- Begin function _ZL23rocblas_trmm_lTx_kernelILi32ELb0EdPKdS0_dEv13rocblas_fill_17rocblas_diagonal_iiT2_lPT3_llS6_llPT4_lli
	.p2align	8
	.type	_ZL23rocblas_trmm_lTx_kernelILi32ELb0EdPKdS0_dEv13rocblas_fill_17rocblas_diagonal_iiT2_lPT3_llS6_llPT4_lli,@function
_ZL23rocblas_trmm_lTx_kernelILi32ELb0EdPKdS0_dEv13rocblas_fill_17rocblas_diagonal_iiT2_lPT3_llS6_llPT4_lli: ; @_ZL23rocblas_trmm_lTx_kernelILi32ELb0EdPKdS0_dEv13rocblas_fill_17rocblas_diagonal_iiT2_lPT3_llS6_llPT4_lli
; %bb.0:
	s_load_dwordx16 s[8:23], s[4:5], 0x10
	s_waitcnt lgkmcnt(0)
	s_mul_i32 s0, s7, s11
	s_mul_hi_u32 s1, s7, s10
	s_add_i32 s1, s1, s0
	s_mul_i32 s0, s7, s10
	s_lshl_b64 s[0:1], s[0:1], 3
	s_add_u32 s0, s8, s0
	s_addc_u32 s1, s9, s1
	s_load_dwordx2 s[24:25], s[0:1], 0x0
	s_waitcnt lgkmcnt(0)
	v_cmp_eq_f64_e64 s[0:1], s[24:25], 0
	s_and_b64 vcc, exec, s[0:1]
	s_cbranch_vccnz .LBB62_15
; %bb.1:
	s_load_dwordx4 s[8:11], s[4:5], 0x0
	s_mov_b32 s0, 0
	v_and_b32_e32 v4, 0x3ff, v0
	v_bfe_u32 v2, v0, 10, 10
	s_mov_b32 s1, s0
	v_lshlrev_b32_e32 v0, 5, v2
	v_pk_mov_b32 v[6:7], s[0:1], s[0:1] op_sel:[0,1]
	s_waitcnt lgkmcnt(0)
	v_cmp_gt_i32_e64 s[0:1], s10, v2
	v_cmp_gt_i32_e32 vcc, s10, v4
	v_add_lshl_u32 v1, v0, v4, 3
	s_and_b64 s[0:1], s[0:1], vcc
	v_lshlrev_b32_e32 v3, 3, v4
	ds_write2st64_b64 v1, v[6:7], v[6:7] offset1:16
	s_waitcnt lgkmcnt(0)
	s_barrier
	s_and_saveexec_b64 s[2:3], s[0:1]
	s_cbranch_execz .LBB62_3
; %bb.2:
	s_mul_i32 s0, s7, s17
	s_mul_hi_u32 s1, s7, s16
	s_add_i32 s1, s1, s0
	s_mul_i32 s0, s7, s16
	s_lshl_b64 s[0:1], s[0:1], 3
	s_add_u32 s10, s12, s0
	s_addc_u32 s12, s13, s1
	v_mad_u64_u32 v[6:7], s[0:1], v2, s14, 0
	v_mov_b32_e32 v8, v7
	v_mad_u64_u32 v[8:9], s[0:1], v2, s15, v[8:9]
	v_mov_b32_e32 v7, v8
	v_lshlrev_b64 v[6:7], 3, v[6:7]
	v_mov_b32_e32 v5, s12
	v_add_co_u32_e64 v6, s[0:1], s10, v6
	v_addc_co_u32_e64 v5, s[0:1], v5, v7, s[0:1]
	v_add_co_u32_e64 v6, s[0:1], v6, v3
	v_addc_co_u32_e64 v7, s[0:1], 0, v5, s[0:1]
	global_load_dwordx2 v[6:7], v[6:7], off
	v_lshlrev_b32_e32 v5, 5, v4
	v_add_lshl_u32 v5, v5, v2, 3
	s_waitcnt vmcnt(0)
	ds_write_b64 v5, v[6:7]
.LBB62_3:
	s_or_b64 exec, exec, s[2:3]
	s_add_i32 s0, s11, -1
	s_ashr_i32 s1, s0, 31
	s_lshr_b32 s1, s1, 27
	s_add_i32 s0, s0, s1
	s_ashr_i32 s1, s0, 5
	s_andn2_b32 s0, s0, 31
	s_sub_i32 s0, s11, s0
	s_cmp_ge_i32 s6, s1
	s_cselect_b32 s0, s0, 32
	s_lshl_b32 s6, s6, 5
	v_cmp_gt_i32_e64 s[0:1], s0, v2
	s_ashr_i32 s10, s6, 31
	s_and_b64 s[0:1], vcc, s[0:1]
	s_and_saveexec_b64 s[2:3], s[0:1]
	s_cbranch_execz .LBB62_5
; %bb.4:
	s_mul_i32 s11, s7, s23
	s_mul_hi_u32 s12, s7, s22
	s_add_i32 s13, s12, s11
	s_mul_i32 s12, s7, s22
	s_lshl_b64 s[12:13], s[12:13], 3
	s_add_u32 s11, s18, s12
	s_addc_u32 s14, s19, s13
	s_mul_i32 s12, s6, s21
	s_mul_hi_u32 s13, s6, s20
	s_add_i32 s12, s13, s12
	s_mul_i32 s13, s10, s20
	s_add_i32 s13, s12, s13
	s_mul_i32 s12, s6, s20
	s_lshl_b64 s[12:13], s[12:13], 3
	s_add_u32 s11, s11, s12
	s_addc_u32 s14, s14, s13
	v_mad_u64_u32 v[6:7], s[12:13], v2, s20, 0
	v_mov_b32_e32 v8, v7
	v_mad_u64_u32 v[8:9], s[12:13], v2, s21, v[8:9]
	v_mov_b32_e32 v7, v8
	v_lshlrev_b64 v[6:7], 3, v[6:7]
	v_mov_b32_e32 v5, s14
	v_add_co_u32_e32 v6, vcc, s11, v6
	v_addc_co_u32_e32 v5, vcc, v5, v7, vcc
	v_add_co_u32_e32 v6, vcc, v6, v3
	v_addc_co_u32_e32 v7, vcc, 0, v5, vcc
	global_load_dwordx2 v[6:7], v[6:7], off
	v_add_u32_e32 v5, 0x2000, v1
	s_waitcnt vmcnt(0)
	ds_write_b64 v5, v[6:7]
.LBB62_5:
	s_or_b64 exec, exec, s[2:3]
	s_cmpk_eq_i32 s9, 0x84
	s_cselect_b64 s[2:3], -1, 0
	v_cmp_eq_u32_e32 vcc, v2, v4
	s_and_b64 s[12:13], vcc, s[2:3]
	s_and_saveexec_b64 s[2:3], s[12:13]
	s_cbranch_execz .LBB62_7
; %bb.6:
	v_mov_b32_e32 v6, 0
	v_mov_b32_e32 v7, 0x3ff00000
	ds_write_b64 v1, v[6:7]
.LBB62_7:
	s_or_b64 exec, exec, s[2:3]
	s_cmpk_lg_i32 s8, 0x7a
	s_waitcnt lgkmcnt(0)
	s_barrier
	s_cbranch_scc0 .LBB62_9
; %bb.8:
	v_cmp_lt_u32_e32 vcc, v4, v2
	s_and_b64 s[2:3], vcc, exec
	s_cbranch_execz .LBB62_10
	s_branch .LBB62_11
.LBB62_9:
	s_mov_b64 s[2:3], 0
.LBB62_10:
	v_cmp_gt_u32_e32 vcc, v4, v2
	s_andn2_b64 s[2:3], s[2:3], exec
	s_and_b64 s[8:9], vcc, exec
	s_or_b64 s[2:3], s[2:3], s[8:9]
.LBB62_11:
	s_and_saveexec_b64 s[8:9], s[2:3]
	s_cbranch_execz .LBB62_13
; %bb.12:
	v_mov_b32_e32 v4, 0
	v_mov_b32_e32 v5, v4
	ds_write_b64 v1, v[4:5]
.LBB62_13:
	s_or_b64 exec, exec, s[8:9]
	s_waitcnt lgkmcnt(0)
	s_barrier
	s_and_saveexec_b64 s[2:3], s[0:1]
	s_cbranch_execz .LBB62_15
; %bb.14:
	s_load_dwordx2 s[8:9], s[4:5], 0x60
	s_load_dwordx4 s[0:3], s[4:5], 0x50
	ds_read2_b64 v[4:7], v3 offset1:32
	v_lshlrev_b32_e32 v32, 3, v0
	ds_read_b128 v[8:11], v32 offset:8192
	ds_read_b128 v[12:15], v32 offset:8208
	ds_read2_b64 v[16:19], v3 offset0:64 offset1:96
	ds_read_b128 v[20:23], v32 offset:8224
	ds_read_b128 v[24:27], v32 offset:8240
	ds_read2_b64 v[28:31], v3 offset0:128 offset1:160
	s_waitcnt lgkmcnt(0)
	s_mul_i32 s5, s7, s9
	s_mul_hi_u32 s9, s7, s8
	v_fma_f64 v[0:1], v[4:5], v[8:9], 0
	v_fmac_f64_e32 v[0:1], v[6:7], v[10:11]
	ds_read2_b64 v[4:7], v3 offset0:192 offset1:224
	v_fmac_f64_e32 v[0:1], v[16:17], v[12:13]
	v_fmac_f64_e32 v[0:1], v[18:19], v[14:15]
	;; [unrolled: 1-line block ×3, first 2 shown]
	v_add_u32_e32 v28, 0x800, v3
	v_fmac_f64_e32 v[0:1], v[30:31], v[22:23]
	ds_read2_b64 v[8:11], v28 offset1:32
	ds_read_b128 v[12:15], v32 offset:8256
	s_waitcnt lgkmcnt(2)
	v_fmac_f64_e32 v[0:1], v[4:5], v[24:25]
	v_fmac_f64_e32 v[0:1], v[6:7], v[26:27]
	ds_read2_b64 v[4:7], v28 offset0:64 offset1:96
	ds_read_b128 v[16:19], v32 offset:8272
	ds_read2_b64 v[20:23], v28 offset0:128 offset1:160
	ds_read_b128 v[24:27], v32 offset:8288
	s_waitcnt lgkmcnt(4)
	v_fmac_f64_e32 v[0:1], v[8:9], v[12:13]
	v_fmac_f64_e32 v[0:1], v[10:11], v[14:15]
	ds_read2_b64 v[8:11], v28 offset0:192 offset1:224
	s_waitcnt lgkmcnt(3)
	v_fmac_f64_e32 v[0:1], v[4:5], v[16:17]
	v_fmac_f64_e32 v[0:1], v[6:7], v[18:19]
	ds_read_b128 v[4:7], v32 offset:8304
	s_waitcnt lgkmcnt(2)
	v_fmac_f64_e32 v[0:1], v[20:21], v[24:25]
	v_add_u32_e32 v28, 0x1000, v3
	v_fmac_f64_e32 v[0:1], v[22:23], v[26:27]
	ds_read2_b64 v[12:15], v28 offset1:32
	ds_read_b128 v[16:19], v32 offset:8320
	s_waitcnt lgkmcnt(2)
	v_fmac_f64_e32 v[0:1], v[8:9], v[4:5]
	v_fmac_f64_e32 v[0:1], v[10:11], v[6:7]
	ds_read2_b64 v[4:7], v28 offset0:64 offset1:96
	ds_read_b128 v[8:11], v32 offset:8336
	ds_read2_b64 v[20:23], v28 offset0:128 offset1:160
	ds_read_b128 v[24:27], v32 offset:8352
	s_waitcnt lgkmcnt(4)
	v_fmac_f64_e32 v[0:1], v[12:13], v[16:17]
	v_fmac_f64_e32 v[0:1], v[14:15], v[18:19]
	s_mul_i32 s4, s7, s8
	s_waitcnt lgkmcnt(2)
	v_fmac_f64_e32 v[0:1], v[4:5], v[8:9]
	v_fmac_f64_e32 v[0:1], v[6:7], v[10:11]
	ds_read_b128 v[4:7], v32 offset:8368
	ds_read2_b64 v[8:11], v28 offset0:192 offset1:224
	s_waitcnt lgkmcnt(2)
	v_fmac_f64_e32 v[0:1], v[20:21], v[24:25]
	v_add_u32_e32 v20, 0x1800, v3
	s_add_i32 s5, s9, s5
	ds_read2_b64 v[12:15], v20 offset1:32
	ds_read_b128 v[16:19], v32 offset:8384
	v_fmac_f64_e32 v[0:1], v[22:23], v[26:27]
	s_lshl_b64 s[4:5], s[4:5], 3
	s_waitcnt lgkmcnt(2)
	v_fmac_f64_e32 v[0:1], v[8:9], v[4:5]
	s_mul_i32 s7, s6, s3
	s_add_u32 s4, s0, s4
	s_mul_hi_u32 s0, s6, s2
	v_fmac_f64_e32 v[0:1], v[10:11], v[6:7]
	ds_read_b128 v[4:7], v32 offset:8400
	s_addc_u32 s5, s1, s5
	s_add_i32 s0, s0, s7
	s_mul_i32 s10, s10, s2
	s_add_i32 s1, s0, s10
	s_mul_i32 s0, s6, s2
	s_lshl_b64 s[0:1], s[0:1], 3
	s_waitcnt lgkmcnt(1)
	v_fmac_f64_e32 v[0:1], v[12:13], v[16:17]
	s_add_u32 s0, s4, s0
	v_fmac_f64_e32 v[0:1], v[14:15], v[18:19]
	ds_read2_b64 v[8:11], v20 offset0:64 offset1:96
	ds_read2_b64 v[12:15], v20 offset0:128 offset1:160
	ds_read_b128 v[16:19], v32 offset:8416
	ds_read2_b64 v[20:23], v20 offset0:192 offset1:224
	ds_read_b128 v[24:27], v32 offset:8432
	s_addc_u32 s1, s5, s1
	s_waitcnt lgkmcnt(4)
	v_fmac_f64_e32 v[0:1], v[8:9], v[4:5]
	v_mad_u64_u32 v[4:5], s[4:5], v2, s2, 0
	v_fmac_f64_e32 v[0:1], v[10:11], v[6:7]
	v_mov_b32_e32 v6, v5
	v_mad_u64_u32 v[6:7], s[2:3], v2, s3, v[6:7]
	v_mov_b32_e32 v5, v6
	s_waitcnt lgkmcnt(2)
	v_fmac_f64_e32 v[0:1], v[12:13], v[16:17]
	v_lshlrev_b64 v[4:5], 3, v[4:5]
	v_fmac_f64_e32 v[0:1], v[14:15], v[18:19]
	v_mov_b32_e32 v2, s1
	v_add_co_u32_e32 v4, vcc, s0, v4
	s_waitcnt lgkmcnt(0)
	v_fmac_f64_e32 v[0:1], v[20:21], v[24:25]
	v_addc_co_u32_e32 v5, vcc, v2, v5, vcc
	v_fmac_f64_e32 v[0:1], v[22:23], v[26:27]
	v_add_co_u32_e32 v2, vcc, v4, v3
	v_mul_f64 v[0:1], s[24:25], v[0:1]
	v_addc_co_u32_e32 v3, vcc, 0, v5, vcc
	global_store_dwordx2 v[2:3], v[0:1], off
.LBB62_15:
	s_endpgm
	.section	.rodata,"a",@progbits
	.p2align	6, 0x0
	.amdhsa_kernel _ZL23rocblas_trmm_lTx_kernelILi32ELb0EdPKdS0_dEv13rocblas_fill_17rocblas_diagonal_iiT2_lPT3_llS6_llPT4_lli
		.amdhsa_group_segment_fixed_size 16384
		.amdhsa_private_segment_fixed_size 0
		.amdhsa_kernarg_size 108
		.amdhsa_user_sgpr_count 6
		.amdhsa_user_sgpr_private_segment_buffer 1
		.amdhsa_user_sgpr_dispatch_ptr 0
		.amdhsa_user_sgpr_queue_ptr 0
		.amdhsa_user_sgpr_kernarg_segment_ptr 1
		.amdhsa_user_sgpr_dispatch_id 0
		.amdhsa_user_sgpr_flat_scratch_init 0
		.amdhsa_user_sgpr_kernarg_preload_length 0
		.amdhsa_user_sgpr_kernarg_preload_offset 0
		.amdhsa_user_sgpr_private_segment_size 0
		.amdhsa_uses_dynamic_stack 0
		.amdhsa_system_sgpr_private_segment_wavefront_offset 0
		.amdhsa_system_sgpr_workgroup_id_x 1
		.amdhsa_system_sgpr_workgroup_id_y 0
		.amdhsa_system_sgpr_workgroup_id_z 1
		.amdhsa_system_sgpr_workgroup_info 0
		.amdhsa_system_vgpr_workitem_id 1
		.amdhsa_next_free_vgpr 33
		.amdhsa_next_free_sgpr 26
		.amdhsa_accum_offset 36
		.amdhsa_reserve_vcc 1
		.amdhsa_reserve_flat_scratch 0
		.amdhsa_float_round_mode_32 0
		.amdhsa_float_round_mode_16_64 0
		.amdhsa_float_denorm_mode_32 3
		.amdhsa_float_denorm_mode_16_64 3
		.amdhsa_dx10_clamp 1
		.amdhsa_ieee_mode 1
		.amdhsa_fp16_overflow 0
		.amdhsa_tg_split 0
		.amdhsa_exception_fp_ieee_invalid_op 0
		.amdhsa_exception_fp_denorm_src 0
		.amdhsa_exception_fp_ieee_div_zero 0
		.amdhsa_exception_fp_ieee_overflow 0
		.amdhsa_exception_fp_ieee_underflow 0
		.amdhsa_exception_fp_ieee_inexact 0
		.amdhsa_exception_int_div_zero 0
	.end_amdhsa_kernel
	.section	.text._ZL23rocblas_trmm_lTx_kernelILi32ELb0EdPKdS0_dEv13rocblas_fill_17rocblas_diagonal_iiT2_lPT3_llS6_llPT4_lli,"axG",@progbits,_ZL23rocblas_trmm_lTx_kernelILi32ELb0EdPKdS0_dEv13rocblas_fill_17rocblas_diagonal_iiT2_lPT3_llS6_llPT4_lli,comdat
.Lfunc_end62:
	.size	_ZL23rocblas_trmm_lTx_kernelILi32ELb0EdPKdS0_dEv13rocblas_fill_17rocblas_diagonal_iiT2_lPT3_llS6_llPT4_lli, .Lfunc_end62-_ZL23rocblas_trmm_lTx_kernelILi32ELb0EdPKdS0_dEv13rocblas_fill_17rocblas_diagonal_iiT2_lPT3_llS6_llPT4_lli
                                        ; -- End function
	.section	.AMDGPU.csdata,"",@progbits
; Kernel info:
; codeLenInByte = 1280
; NumSgprs: 30
; NumVgprs: 33
; NumAgprs: 0
; TotalNumVgprs: 33
; ScratchSize: 0
; MemoryBound: 0
; FloatMode: 240
; IeeeMode: 1
; LDSByteSize: 16384 bytes/workgroup (compile time only)
; SGPRBlocks: 3
; VGPRBlocks: 4
; NumSGPRsForWavesPerEU: 30
; NumVGPRsForWavesPerEU: 33
; AccumOffset: 36
; Occupancy: 8
; WaveLimiterHint : 0
; COMPUTE_PGM_RSRC2:SCRATCH_EN: 0
; COMPUTE_PGM_RSRC2:USER_SGPR: 6
; COMPUTE_PGM_RSRC2:TRAP_HANDLER: 0
; COMPUTE_PGM_RSRC2:TGID_X_EN: 1
; COMPUTE_PGM_RSRC2:TGID_Y_EN: 0
; COMPUTE_PGM_RSRC2:TGID_Z_EN: 1
; COMPUTE_PGM_RSRC2:TIDIG_COMP_CNT: 1
; COMPUTE_PGM_RSRC3_GFX90A:ACCUM_OFFSET: 8
; COMPUTE_PGM_RSRC3_GFX90A:TG_SPLIT: 0
	.section	.text._ZL23rocblas_trmm_lTx_kernelILi32ELb0EddKddEv13rocblas_fill_17rocblas_diagonal_iiT2_lPT3_llS5_llPT4_lli,"axG",@progbits,_ZL23rocblas_trmm_lTx_kernelILi32ELb0EddKddEv13rocblas_fill_17rocblas_diagonal_iiT2_lPT3_llS5_llPT4_lli,comdat
	.globl	_ZL23rocblas_trmm_lTx_kernelILi32ELb0EddKddEv13rocblas_fill_17rocblas_diagonal_iiT2_lPT3_llS5_llPT4_lli ; -- Begin function _ZL23rocblas_trmm_lTx_kernelILi32ELb0EddKddEv13rocblas_fill_17rocblas_diagonal_iiT2_lPT3_llS5_llPT4_lli
	.p2align	8
	.type	_ZL23rocblas_trmm_lTx_kernelILi32ELb0EddKddEv13rocblas_fill_17rocblas_diagonal_iiT2_lPT3_llS5_llPT4_lli,@function
_ZL23rocblas_trmm_lTx_kernelILi32ELb0EddKddEv13rocblas_fill_17rocblas_diagonal_iiT2_lPT3_llS5_llPT4_lli: ; @_ZL23rocblas_trmm_lTx_kernelILi32ELb0EddKddEv13rocblas_fill_17rocblas_diagonal_iiT2_lPT3_llS5_llPT4_lli
; %bb.0:
	s_load_dwordx2 s[2:3], s[4:5], 0x10
	s_waitcnt lgkmcnt(0)
	v_cmp_eq_f64_e64 s[0:1], s[2:3], 0
	s_and_b64 vcc, exec, s[0:1]
	s_cbranch_vccnz .LBB63_15
; %bb.1:
	s_load_dwordx4 s[24:27], s[4:5], 0x0
	s_load_dwordx16 s[8:23], s[4:5], 0x20
	s_mov_b32 s0, 0
	v_and_b32_e32 v4, 0x3ff, v0
	v_bfe_u32 v2, v0, 10, 10
	s_mov_b32 s1, s0
	v_lshlrev_b32_e32 v0, 5, v2
	v_pk_mov_b32 v[6:7], s[0:1], s[0:1] op_sel:[0,1]
	s_waitcnt lgkmcnt(0)
	v_cmp_gt_i32_e64 s[0:1], s26, v2
	v_cmp_gt_i32_e32 vcc, s26, v4
	v_add_lshl_u32 v1, v0, v4, 3
	s_and_b64 s[0:1], s[0:1], vcc
	v_lshlrev_b32_e32 v3, 3, v4
	ds_write2st64_b64 v1, v[6:7], v[6:7] offset1:16
	s_waitcnt lgkmcnt(0)
	s_barrier
	s_and_saveexec_b64 s[28:29], s[0:1]
	s_cbranch_execz .LBB63_3
; %bb.2:
	s_mul_i32 s0, s7, s13
	s_mul_hi_u32 s1, s7, s12
	s_add_i32 s1, s1, s0
	s_mul_i32 s0, s7, s12
	s_lshl_b64 s[0:1], s[0:1], 3
	s_add_u32 s8, s8, s0
	s_addc_u32 s9, s9, s1
	v_mad_u64_u32 v[6:7], s[0:1], v2, s10, 0
	v_mov_b32_e32 v8, v7
	v_mad_u64_u32 v[8:9], s[0:1], v2, s11, v[8:9]
	v_mov_b32_e32 v7, v8
	v_lshlrev_b64 v[6:7], 3, v[6:7]
	v_mov_b32_e32 v5, s9
	v_add_co_u32_e64 v6, s[0:1], s8, v6
	v_addc_co_u32_e64 v5, s[0:1], v5, v7, s[0:1]
	v_add_co_u32_e64 v6, s[0:1], v6, v3
	v_addc_co_u32_e64 v7, s[0:1], 0, v5, s[0:1]
	global_load_dwordx2 v[6:7], v[6:7], off
	v_lshlrev_b32_e32 v5, 5, v4
	v_add_lshl_u32 v5, v5, v2, 3
	s_waitcnt vmcnt(0)
	ds_write_b64 v5, v[6:7]
.LBB63_3:
	s_or_b64 exec, exec, s[28:29]
	s_add_i32 s0, s27, -1
	s_ashr_i32 s1, s0, 31
	s_lshr_b32 s1, s1, 27
	s_add_i32 s0, s0, s1
	s_ashr_i32 s1, s0, 5
	s_andn2_b32 s0, s0, 31
	s_sub_i32 s0, s27, s0
	s_cmp_ge_i32 s6, s1
	s_cselect_b32 s0, s0, 32
	s_lshl_b32 s6, s6, 5
	v_cmp_gt_i32_e64 s[0:1], s0, v2
	s_ashr_i32 s12, s6, 31
	s_and_b64 s[0:1], vcc, s[0:1]
	s_and_saveexec_b64 s[8:9], s[0:1]
	s_cbranch_execz .LBB63_5
; %bb.4:
	s_mul_i32 s10, s7, s19
	s_mul_hi_u32 s11, s7, s18
	s_add_i32 s11, s11, s10
	s_mul_i32 s10, s7, s18
	s_lshl_b64 s[10:11], s[10:11], 3
	s_add_u32 s13, s14, s10
	s_addc_u32 s14, s15, s11
	s_mul_i32 s10, s6, s17
	s_mul_hi_u32 s11, s6, s16
	s_add_i32 s10, s11, s10
	s_mul_i32 s11, s12, s16
	s_add_i32 s11, s10, s11
	s_mul_i32 s10, s6, s16
	s_lshl_b64 s[10:11], s[10:11], 3
	s_add_u32 s13, s13, s10
	s_addc_u32 s14, s14, s11
	v_mad_u64_u32 v[6:7], s[10:11], v2, s16, 0
	v_mov_b32_e32 v8, v7
	v_mad_u64_u32 v[8:9], s[10:11], v2, s17, v[8:9]
	v_mov_b32_e32 v7, v8
	v_lshlrev_b64 v[6:7], 3, v[6:7]
	v_mov_b32_e32 v5, s14
	v_add_co_u32_e32 v6, vcc, s13, v6
	v_addc_co_u32_e32 v5, vcc, v5, v7, vcc
	v_add_co_u32_e32 v6, vcc, v6, v3
	v_addc_co_u32_e32 v7, vcc, 0, v5, vcc
	global_load_dwordx2 v[6:7], v[6:7], off
	v_add_u32_e32 v5, 0x2000, v1
	s_waitcnt vmcnt(0)
	ds_write_b64 v5, v[6:7]
.LBB63_5:
	s_or_b64 exec, exec, s[8:9]
	s_cmpk_eq_i32 s25, 0x84
	s_cselect_b64 s[8:9], -1, 0
	v_cmp_eq_u32_e32 vcc, v2, v4
	s_and_b64 s[10:11], vcc, s[8:9]
	s_and_saveexec_b64 s[8:9], s[10:11]
	s_cbranch_execz .LBB63_7
; %bb.6:
	v_mov_b32_e32 v6, 0
	v_mov_b32_e32 v7, 0x3ff00000
	ds_write_b64 v1, v[6:7]
.LBB63_7:
	s_or_b64 exec, exec, s[8:9]
	s_cmpk_lg_i32 s24, 0x7a
	s_waitcnt lgkmcnt(0)
	s_barrier
	s_cbranch_scc0 .LBB63_9
; %bb.8:
	v_cmp_lt_u32_e32 vcc, v4, v2
	s_and_b64 s[8:9], vcc, exec
	s_cbranch_execz .LBB63_10
	s_branch .LBB63_11
.LBB63_9:
	s_mov_b64 s[8:9], 0
.LBB63_10:
	v_cmp_gt_u32_e32 vcc, v4, v2
	s_andn2_b64 s[8:9], s[8:9], exec
	s_and_b64 s[10:11], vcc, exec
	s_or_b64 s[8:9], s[8:9], s[10:11]
.LBB63_11:
	s_and_saveexec_b64 s[10:11], s[8:9]
	s_cbranch_execz .LBB63_13
; %bb.12:
	v_mov_b32_e32 v4, 0
	v_mov_b32_e32 v5, v4
	ds_write_b64 v1, v[4:5]
.LBB63_13:
	s_or_b64 exec, exec, s[10:11]
	s_waitcnt lgkmcnt(0)
	s_barrier
	s_and_saveexec_b64 s[8:9], s[0:1]
	s_cbranch_execz .LBB63_15
; %bb.14:
	ds_read2_b64 v[4:7], v3 offset1:32
	v_lshlrev_b32_e32 v32, 3, v0
	ds_read_b128 v[8:11], v32 offset:8192
	ds_read_b128 v[12:15], v32 offset:8208
	ds_read2_b64 v[16:19], v3 offset0:64 offset1:96
	ds_read_b128 v[20:23], v32 offset:8224
	ds_read_b128 v[24:27], v32 offset:8240
	ds_read2_b64 v[28:31], v3 offset0:128 offset1:160
	s_load_dwordx2 s[0:1], s[4:5], 0x60
	s_mul_i32 s4, s6, s23
	s_waitcnt lgkmcnt(0)
	v_fma_f64 v[0:1], v[4:5], v[8:9], 0
	v_fmac_f64_e32 v[0:1], v[6:7], v[10:11]
	ds_read2_b64 v[4:7], v3 offset0:192 offset1:224
	v_fmac_f64_e32 v[0:1], v[16:17], v[12:13]
	v_fmac_f64_e32 v[0:1], v[18:19], v[14:15]
	v_fmac_f64_e32 v[0:1], v[28:29], v[20:21]
	v_add_u32_e32 v28, 0x800, v3
	v_fmac_f64_e32 v[0:1], v[30:31], v[22:23]
	ds_read2_b64 v[8:11], v28 offset1:32
	ds_read_b128 v[12:15], v32 offset:8256
	s_waitcnt lgkmcnt(2)
	v_fmac_f64_e32 v[0:1], v[4:5], v[24:25]
	v_fmac_f64_e32 v[0:1], v[6:7], v[26:27]
	ds_read2_b64 v[4:7], v28 offset0:64 offset1:96
	ds_read_b128 v[16:19], v32 offset:8272
	ds_read2_b64 v[20:23], v28 offset0:128 offset1:160
	ds_read_b128 v[24:27], v32 offset:8288
	s_waitcnt lgkmcnt(4)
	v_fmac_f64_e32 v[0:1], v[8:9], v[12:13]
	v_fmac_f64_e32 v[0:1], v[10:11], v[14:15]
	ds_read2_b64 v[8:11], v28 offset0:192 offset1:224
	s_waitcnt lgkmcnt(3)
	v_fmac_f64_e32 v[0:1], v[4:5], v[16:17]
	v_fmac_f64_e32 v[0:1], v[6:7], v[18:19]
	ds_read_b128 v[4:7], v32 offset:8304
	s_waitcnt lgkmcnt(2)
	v_fmac_f64_e32 v[0:1], v[20:21], v[24:25]
	v_add_u32_e32 v28, 0x1000, v3
	v_fmac_f64_e32 v[0:1], v[22:23], v[26:27]
	ds_read2_b64 v[12:15], v28 offset1:32
	ds_read_b128 v[16:19], v32 offset:8320
	s_waitcnt lgkmcnt(2)
	v_fmac_f64_e32 v[0:1], v[8:9], v[4:5]
	v_fmac_f64_e32 v[0:1], v[10:11], v[6:7]
	ds_read2_b64 v[4:7], v28 offset0:64 offset1:96
	ds_read_b128 v[8:11], v32 offset:8336
	ds_read2_b64 v[20:23], v28 offset0:128 offset1:160
	ds_read_b128 v[24:27], v32 offset:8352
	s_waitcnt lgkmcnt(4)
	v_fmac_f64_e32 v[0:1], v[12:13], v[16:17]
	v_fmac_f64_e32 v[0:1], v[14:15], v[18:19]
	s_mul_i32 s1, s7, s1
	s_waitcnt lgkmcnt(2)
	v_fmac_f64_e32 v[0:1], v[4:5], v[8:9]
	v_fmac_f64_e32 v[0:1], v[6:7], v[10:11]
	ds_read_b128 v[4:7], v32 offset:8368
	ds_read2_b64 v[8:11], v28 offset0:192 offset1:224
	s_waitcnt lgkmcnt(2)
	v_fmac_f64_e32 v[0:1], v[20:21], v[24:25]
	v_add_u32_e32 v20, 0x1800, v3
	ds_read2_b64 v[12:15], v20 offset1:32
	ds_read_b128 v[16:19], v32 offset:8384
	v_fmac_f64_e32 v[0:1], v[22:23], v[26:27]
	s_waitcnt lgkmcnt(2)
	v_fmac_f64_e32 v[0:1], v[8:9], v[4:5]
	v_fmac_f64_e32 v[0:1], v[10:11], v[6:7]
	ds_read_b128 v[4:7], v32 offset:8400
	s_waitcnt lgkmcnt(1)
	v_fmac_f64_e32 v[0:1], v[12:13], v[16:17]
	v_fmac_f64_e32 v[0:1], v[14:15], v[18:19]
	ds_read2_b64 v[8:11], v20 offset0:64 offset1:96
	ds_read2_b64 v[12:15], v20 offset0:128 offset1:160
	ds_read_b128 v[16:19], v32 offset:8416
	ds_read2_b64 v[20:23], v20 offset0:192 offset1:224
	ds_read_b128 v[24:27], v32 offset:8432
	s_mul_hi_u32 s8, s7, s0
	s_waitcnt lgkmcnt(4)
	v_fmac_f64_e32 v[0:1], v[8:9], v[4:5]
	v_fmac_f64_e32 v[0:1], v[10:11], v[6:7]
	s_waitcnt lgkmcnt(2)
	v_fmac_f64_e32 v[0:1], v[12:13], v[16:17]
	s_mul_i32 s0, s7, s0
	s_add_i32 s1, s8, s1
	v_fmac_f64_e32 v[0:1], v[14:15], v[18:19]
	s_lshl_b64 s[0:1], s[0:1], 3
	s_waitcnt lgkmcnt(0)
	v_fmac_f64_e32 v[0:1], v[20:21], v[24:25]
	s_mul_hi_u32 s5, s6, s22
	s_add_u32 s7, s20, s0
	v_fmac_f64_e32 v[0:1], v[22:23], v[26:27]
	s_addc_u32 s8, s21, s1
	s_add_i32 s0, s5, s4
	s_mul_i32 s12, s12, s22
	v_mul_f64 v[0:1], v[0:1], s[2:3]
	v_mad_u64_u32 v[4:5], s[2:3], v2, s22, 0
	s_add_i32 s1, s0, s12
	s_mul_i32 s0, s6, s22
	v_mov_b32_e32 v6, v5
	s_lshl_b64 s[0:1], s[0:1], 3
	v_mad_u64_u32 v[6:7], s[2:3], v2, s23, v[6:7]
	s_add_u32 s0, s7, s0
	v_mov_b32_e32 v5, v6
	s_addc_u32 s1, s8, s1
	v_lshlrev_b64 v[4:5], 3, v[4:5]
	v_mov_b32_e32 v2, s1
	v_add_co_u32_e32 v4, vcc, s0, v4
	v_addc_co_u32_e32 v5, vcc, v2, v5, vcc
	v_add_co_u32_e32 v2, vcc, v4, v3
	v_addc_co_u32_e32 v3, vcc, 0, v5, vcc
	global_store_dwordx2 v[2:3], v[0:1], off
.LBB63_15:
	s_endpgm
	.section	.rodata,"a",@progbits
	.p2align	6, 0x0
	.amdhsa_kernel _ZL23rocblas_trmm_lTx_kernelILi32ELb0EddKddEv13rocblas_fill_17rocblas_diagonal_iiT2_lPT3_llS5_llPT4_lli
		.amdhsa_group_segment_fixed_size 16384
		.amdhsa_private_segment_fixed_size 0
		.amdhsa_kernarg_size 108
		.amdhsa_user_sgpr_count 6
		.amdhsa_user_sgpr_private_segment_buffer 1
		.amdhsa_user_sgpr_dispatch_ptr 0
		.amdhsa_user_sgpr_queue_ptr 0
		.amdhsa_user_sgpr_kernarg_segment_ptr 1
		.amdhsa_user_sgpr_dispatch_id 0
		.amdhsa_user_sgpr_flat_scratch_init 0
		.amdhsa_user_sgpr_kernarg_preload_length 0
		.amdhsa_user_sgpr_kernarg_preload_offset 0
		.amdhsa_user_sgpr_private_segment_size 0
		.amdhsa_uses_dynamic_stack 0
		.amdhsa_system_sgpr_private_segment_wavefront_offset 0
		.amdhsa_system_sgpr_workgroup_id_x 1
		.amdhsa_system_sgpr_workgroup_id_y 0
		.amdhsa_system_sgpr_workgroup_id_z 1
		.amdhsa_system_sgpr_workgroup_info 0
		.amdhsa_system_vgpr_workitem_id 1
		.amdhsa_next_free_vgpr 33
		.amdhsa_next_free_sgpr 30
		.amdhsa_accum_offset 36
		.amdhsa_reserve_vcc 1
		.amdhsa_reserve_flat_scratch 0
		.amdhsa_float_round_mode_32 0
		.amdhsa_float_round_mode_16_64 0
		.amdhsa_float_denorm_mode_32 3
		.amdhsa_float_denorm_mode_16_64 3
		.amdhsa_dx10_clamp 1
		.amdhsa_ieee_mode 1
		.amdhsa_fp16_overflow 0
		.amdhsa_tg_split 0
		.amdhsa_exception_fp_ieee_invalid_op 0
		.amdhsa_exception_fp_denorm_src 0
		.amdhsa_exception_fp_ieee_div_zero 0
		.amdhsa_exception_fp_ieee_overflow 0
		.amdhsa_exception_fp_ieee_underflow 0
		.amdhsa_exception_fp_ieee_inexact 0
		.amdhsa_exception_int_div_zero 0
	.end_amdhsa_kernel
	.section	.text._ZL23rocblas_trmm_lTx_kernelILi32ELb0EddKddEv13rocblas_fill_17rocblas_diagonal_iiT2_lPT3_llS5_llPT4_lli,"axG",@progbits,_ZL23rocblas_trmm_lTx_kernelILi32ELb0EddKddEv13rocblas_fill_17rocblas_diagonal_iiT2_lPT3_llS5_llPT4_lli,comdat
.Lfunc_end63:
	.size	_ZL23rocblas_trmm_lTx_kernelILi32ELb0EddKddEv13rocblas_fill_17rocblas_diagonal_iiT2_lPT3_llS5_llPT4_lli, .Lfunc_end63-_ZL23rocblas_trmm_lTx_kernelILi32ELb0EddKddEv13rocblas_fill_17rocblas_diagonal_iiT2_lPT3_llS5_llPT4_lli
                                        ; -- End function
	.section	.AMDGPU.csdata,"",@progbits
; Kernel info:
; codeLenInByte = 1240
; NumSgprs: 34
; NumVgprs: 33
; NumAgprs: 0
; TotalNumVgprs: 33
; ScratchSize: 0
; MemoryBound: 0
; FloatMode: 240
; IeeeMode: 1
; LDSByteSize: 16384 bytes/workgroup (compile time only)
; SGPRBlocks: 4
; VGPRBlocks: 4
; NumSGPRsForWavesPerEU: 34
; NumVGPRsForWavesPerEU: 33
; AccumOffset: 36
; Occupancy: 8
; WaveLimiterHint : 0
; COMPUTE_PGM_RSRC2:SCRATCH_EN: 0
; COMPUTE_PGM_RSRC2:USER_SGPR: 6
; COMPUTE_PGM_RSRC2:TRAP_HANDLER: 0
; COMPUTE_PGM_RSRC2:TGID_X_EN: 1
; COMPUTE_PGM_RSRC2:TGID_Y_EN: 0
; COMPUTE_PGM_RSRC2:TGID_Z_EN: 1
; COMPUTE_PGM_RSRC2:TIDIG_COMP_CNT: 1
; COMPUTE_PGM_RSRC3_GFX90A:ACCUM_OFFSET: 8
; COMPUTE_PGM_RSRC3_GFX90A:TG_SPLIT: 0
	.section	.text._ZL23rocblas_trmm_lTx_kernelILi32ELb1EdPKdS0_dEv13rocblas_fill_17rocblas_diagonal_iiT2_lPT3_llS6_llPT4_lli,"axG",@progbits,_ZL23rocblas_trmm_lTx_kernelILi32ELb1EdPKdS0_dEv13rocblas_fill_17rocblas_diagonal_iiT2_lPT3_llS6_llPT4_lli,comdat
	.globl	_ZL23rocblas_trmm_lTx_kernelILi32ELb1EdPKdS0_dEv13rocblas_fill_17rocblas_diagonal_iiT2_lPT3_llS6_llPT4_lli ; -- Begin function _ZL23rocblas_trmm_lTx_kernelILi32ELb1EdPKdS0_dEv13rocblas_fill_17rocblas_diagonal_iiT2_lPT3_llS6_llPT4_lli
	.p2align	8
	.type	_ZL23rocblas_trmm_lTx_kernelILi32ELb1EdPKdS0_dEv13rocblas_fill_17rocblas_diagonal_iiT2_lPT3_llS6_llPT4_lli,@function
_ZL23rocblas_trmm_lTx_kernelILi32ELb1EdPKdS0_dEv13rocblas_fill_17rocblas_diagonal_iiT2_lPT3_llS6_llPT4_lli: ; @_ZL23rocblas_trmm_lTx_kernelILi32ELb1EdPKdS0_dEv13rocblas_fill_17rocblas_diagonal_iiT2_lPT3_llS6_llPT4_lli
; %bb.0:
	s_load_dwordx16 s[8:23], s[4:5], 0x10
	s_waitcnt lgkmcnt(0)
	s_mul_i32 s0, s7, s11
	s_mul_hi_u32 s1, s7, s10
	s_add_i32 s1, s1, s0
	s_mul_i32 s0, s7, s10
	s_lshl_b64 s[0:1], s[0:1], 3
	s_add_u32 s0, s8, s0
	s_addc_u32 s1, s9, s1
	s_load_dwordx2 s[24:25], s[0:1], 0x0
	s_waitcnt lgkmcnt(0)
	v_cmp_eq_f64_e64 s[0:1], s[24:25], 0
	s_and_b64 vcc, exec, s[0:1]
	s_cbranch_vccnz .LBB64_15
; %bb.1:
	s_load_dwordx4 s[8:11], s[4:5], 0x0
	s_mov_b32 s0, 0
	v_and_b32_e32 v4, 0x3ff, v0
	v_bfe_u32 v2, v0, 10, 10
	s_mov_b32 s1, s0
	v_lshlrev_b32_e32 v0, 5, v2
	v_pk_mov_b32 v[6:7], s[0:1], s[0:1] op_sel:[0,1]
	s_waitcnt lgkmcnt(0)
	v_cmp_gt_i32_e64 s[0:1], s10, v2
	v_cmp_gt_i32_e32 vcc, s10, v4
	v_add_lshl_u32 v1, v0, v4, 3
	s_and_b64 s[0:1], s[0:1], vcc
	v_lshlrev_b32_e32 v3, 3, v4
	ds_write2st64_b64 v1, v[6:7], v[6:7] offset1:16
	s_waitcnt lgkmcnt(0)
	s_barrier
	s_and_saveexec_b64 s[2:3], s[0:1]
	s_cbranch_execz .LBB64_3
; %bb.2:
	s_mul_i32 s0, s7, s17
	s_mul_hi_u32 s1, s7, s16
	s_add_i32 s1, s1, s0
	s_mul_i32 s0, s7, s16
	s_lshl_b64 s[0:1], s[0:1], 3
	s_add_u32 s10, s12, s0
	s_addc_u32 s12, s13, s1
	v_mad_u64_u32 v[6:7], s[0:1], v2, s14, 0
	v_mov_b32_e32 v8, v7
	v_mad_u64_u32 v[8:9], s[0:1], v2, s15, v[8:9]
	v_mov_b32_e32 v7, v8
	v_lshlrev_b64 v[6:7], 3, v[6:7]
	v_mov_b32_e32 v5, s12
	v_add_co_u32_e64 v6, s[0:1], s10, v6
	v_addc_co_u32_e64 v5, s[0:1], v5, v7, s[0:1]
	v_add_co_u32_e64 v6, s[0:1], v6, v3
	v_addc_co_u32_e64 v7, s[0:1], 0, v5, s[0:1]
	global_load_dwordx2 v[6:7], v[6:7], off
	v_lshlrev_b32_e32 v5, 5, v4
	v_add_lshl_u32 v5, v5, v2, 3
	s_waitcnt vmcnt(0)
	ds_write_b64 v5, v[6:7]
.LBB64_3:
	s_or_b64 exec, exec, s[2:3]
	s_add_i32 s0, s11, -1
	s_ashr_i32 s1, s0, 31
	s_lshr_b32 s1, s1, 27
	s_add_i32 s0, s0, s1
	s_ashr_i32 s1, s0, 5
	s_andn2_b32 s0, s0, 31
	s_sub_i32 s0, s11, s0
	s_cmp_ge_i32 s6, s1
	s_cselect_b32 s0, s0, 32
	s_lshl_b32 s6, s6, 5
	v_cmp_gt_i32_e64 s[0:1], s0, v2
	s_ashr_i32 s10, s6, 31
	s_and_b64 s[0:1], vcc, s[0:1]
	s_and_saveexec_b64 s[2:3], s[0:1]
	s_cbranch_execz .LBB64_5
; %bb.4:
	s_mul_i32 s11, s7, s23
	s_mul_hi_u32 s12, s7, s22
	s_add_i32 s13, s12, s11
	s_mul_i32 s12, s7, s22
	s_lshl_b64 s[12:13], s[12:13], 3
	s_add_u32 s11, s18, s12
	s_addc_u32 s14, s19, s13
	s_mul_i32 s12, s6, s21
	s_mul_hi_u32 s13, s6, s20
	s_add_i32 s12, s13, s12
	s_mul_i32 s13, s10, s20
	s_add_i32 s13, s12, s13
	s_mul_i32 s12, s6, s20
	s_lshl_b64 s[12:13], s[12:13], 3
	s_add_u32 s11, s11, s12
	s_addc_u32 s14, s14, s13
	v_mad_u64_u32 v[6:7], s[12:13], v2, s20, 0
	v_mov_b32_e32 v8, v7
	v_mad_u64_u32 v[8:9], s[12:13], v2, s21, v[8:9]
	v_mov_b32_e32 v7, v8
	v_lshlrev_b64 v[6:7], 3, v[6:7]
	v_mov_b32_e32 v5, s14
	v_add_co_u32_e32 v6, vcc, s11, v6
	v_addc_co_u32_e32 v5, vcc, v5, v7, vcc
	v_add_co_u32_e32 v6, vcc, v6, v3
	v_addc_co_u32_e32 v7, vcc, 0, v5, vcc
	global_load_dwordx2 v[6:7], v[6:7], off
	v_add_u32_e32 v5, 0x2000, v1
	s_waitcnt vmcnt(0)
	ds_write_b64 v5, v[6:7]
.LBB64_5:
	s_or_b64 exec, exec, s[2:3]
	s_cmpk_eq_i32 s9, 0x84
	s_cselect_b64 s[2:3], -1, 0
	v_cmp_eq_u32_e32 vcc, v2, v4
	s_and_b64 s[12:13], vcc, s[2:3]
	s_and_saveexec_b64 s[2:3], s[12:13]
	s_cbranch_execz .LBB64_7
; %bb.6:
	v_mov_b32_e32 v6, 0
	v_mov_b32_e32 v7, 0x3ff00000
	ds_write_b64 v1, v[6:7]
.LBB64_7:
	s_or_b64 exec, exec, s[2:3]
	s_cmpk_lg_i32 s8, 0x7a
	s_waitcnt lgkmcnt(0)
	s_barrier
	s_cbranch_scc0 .LBB64_9
; %bb.8:
	v_cmp_lt_u32_e32 vcc, v4, v2
	s_and_b64 s[2:3], vcc, exec
	s_cbranch_execz .LBB64_10
	s_branch .LBB64_11
.LBB64_9:
	s_mov_b64 s[2:3], 0
.LBB64_10:
	v_cmp_gt_u32_e32 vcc, v4, v2
	s_andn2_b64 s[2:3], s[2:3], exec
	s_and_b64 s[8:9], vcc, exec
	s_or_b64 s[2:3], s[2:3], s[8:9]
.LBB64_11:
	s_and_saveexec_b64 s[8:9], s[2:3]
	s_cbranch_execz .LBB64_13
; %bb.12:
	v_mov_b32_e32 v4, 0
	v_mov_b32_e32 v5, v4
	ds_write_b64 v1, v[4:5]
.LBB64_13:
	s_or_b64 exec, exec, s[8:9]
	s_waitcnt lgkmcnt(0)
	s_barrier
	s_and_saveexec_b64 s[2:3], s[0:1]
	s_cbranch_execz .LBB64_15
; %bb.14:
	s_load_dwordx2 s[8:9], s[4:5], 0x60
	s_load_dwordx4 s[0:3], s[4:5], 0x50
	ds_read2_b64 v[4:7], v3 offset1:32
	v_lshlrev_b32_e32 v32, 3, v0
	ds_read_b128 v[8:11], v32 offset:8192
	ds_read_b128 v[12:15], v32 offset:8208
	ds_read2_b64 v[16:19], v3 offset0:64 offset1:96
	ds_read_b128 v[20:23], v32 offset:8224
	ds_read_b128 v[24:27], v32 offset:8240
	ds_read2_b64 v[28:31], v3 offset0:128 offset1:160
	s_waitcnt lgkmcnt(0)
	s_mul_i32 s5, s7, s9
	s_mul_hi_u32 s9, s7, s8
	v_fma_f64 v[0:1], v[4:5], v[8:9], 0
	v_fmac_f64_e32 v[0:1], v[6:7], v[10:11]
	ds_read2_b64 v[4:7], v3 offset0:192 offset1:224
	v_fmac_f64_e32 v[0:1], v[16:17], v[12:13]
	v_fmac_f64_e32 v[0:1], v[18:19], v[14:15]
	;; [unrolled: 1-line block ×3, first 2 shown]
	v_add_u32_e32 v28, 0x800, v3
	v_fmac_f64_e32 v[0:1], v[30:31], v[22:23]
	ds_read2_b64 v[8:11], v28 offset1:32
	ds_read_b128 v[12:15], v32 offset:8256
	s_waitcnt lgkmcnt(2)
	v_fmac_f64_e32 v[0:1], v[4:5], v[24:25]
	v_fmac_f64_e32 v[0:1], v[6:7], v[26:27]
	ds_read2_b64 v[4:7], v28 offset0:64 offset1:96
	ds_read_b128 v[16:19], v32 offset:8272
	ds_read2_b64 v[20:23], v28 offset0:128 offset1:160
	ds_read_b128 v[24:27], v32 offset:8288
	s_waitcnt lgkmcnt(4)
	v_fmac_f64_e32 v[0:1], v[8:9], v[12:13]
	v_fmac_f64_e32 v[0:1], v[10:11], v[14:15]
	ds_read2_b64 v[8:11], v28 offset0:192 offset1:224
	s_waitcnt lgkmcnt(3)
	v_fmac_f64_e32 v[0:1], v[4:5], v[16:17]
	v_fmac_f64_e32 v[0:1], v[6:7], v[18:19]
	ds_read_b128 v[4:7], v32 offset:8304
	s_waitcnt lgkmcnt(2)
	v_fmac_f64_e32 v[0:1], v[20:21], v[24:25]
	v_add_u32_e32 v28, 0x1000, v3
	v_fmac_f64_e32 v[0:1], v[22:23], v[26:27]
	ds_read2_b64 v[12:15], v28 offset1:32
	ds_read_b128 v[16:19], v32 offset:8320
	s_waitcnt lgkmcnt(2)
	v_fmac_f64_e32 v[0:1], v[8:9], v[4:5]
	v_fmac_f64_e32 v[0:1], v[10:11], v[6:7]
	ds_read2_b64 v[4:7], v28 offset0:64 offset1:96
	ds_read_b128 v[8:11], v32 offset:8336
	ds_read2_b64 v[20:23], v28 offset0:128 offset1:160
	ds_read_b128 v[24:27], v32 offset:8352
	s_waitcnt lgkmcnt(4)
	v_fmac_f64_e32 v[0:1], v[12:13], v[16:17]
	v_fmac_f64_e32 v[0:1], v[14:15], v[18:19]
	s_mul_i32 s4, s7, s8
	s_waitcnt lgkmcnt(2)
	v_fmac_f64_e32 v[0:1], v[4:5], v[8:9]
	v_fmac_f64_e32 v[0:1], v[6:7], v[10:11]
	ds_read_b128 v[4:7], v32 offset:8368
	ds_read2_b64 v[8:11], v28 offset0:192 offset1:224
	s_waitcnt lgkmcnt(2)
	v_fmac_f64_e32 v[0:1], v[20:21], v[24:25]
	v_add_u32_e32 v20, 0x1800, v3
	s_add_i32 s5, s9, s5
	ds_read2_b64 v[12:15], v20 offset1:32
	ds_read_b128 v[16:19], v32 offset:8384
	v_fmac_f64_e32 v[0:1], v[22:23], v[26:27]
	s_lshl_b64 s[4:5], s[4:5], 3
	s_waitcnt lgkmcnt(2)
	v_fmac_f64_e32 v[0:1], v[8:9], v[4:5]
	s_mul_i32 s7, s6, s3
	s_add_u32 s4, s0, s4
	s_mul_hi_u32 s0, s6, s2
	v_fmac_f64_e32 v[0:1], v[10:11], v[6:7]
	ds_read_b128 v[4:7], v32 offset:8400
	s_addc_u32 s5, s1, s5
	s_add_i32 s0, s0, s7
	s_mul_i32 s10, s10, s2
	s_add_i32 s1, s0, s10
	s_mul_i32 s0, s6, s2
	s_lshl_b64 s[0:1], s[0:1], 3
	s_waitcnt lgkmcnt(1)
	v_fmac_f64_e32 v[0:1], v[12:13], v[16:17]
	s_add_u32 s0, s4, s0
	v_fmac_f64_e32 v[0:1], v[14:15], v[18:19]
	ds_read2_b64 v[8:11], v20 offset0:64 offset1:96
	ds_read2_b64 v[12:15], v20 offset0:128 offset1:160
	ds_read_b128 v[16:19], v32 offset:8416
	ds_read2_b64 v[20:23], v20 offset0:192 offset1:224
	ds_read_b128 v[24:27], v32 offset:8432
	s_addc_u32 s1, s5, s1
	s_waitcnt lgkmcnt(4)
	v_fmac_f64_e32 v[0:1], v[8:9], v[4:5]
	v_mad_u64_u32 v[4:5], s[4:5], v2, s2, 0
	v_fmac_f64_e32 v[0:1], v[10:11], v[6:7]
	v_mov_b32_e32 v6, v5
	v_mad_u64_u32 v[6:7], s[2:3], v2, s3, v[6:7]
	v_mov_b32_e32 v5, v6
	s_waitcnt lgkmcnt(2)
	v_fmac_f64_e32 v[0:1], v[12:13], v[16:17]
	v_lshlrev_b64 v[4:5], 3, v[4:5]
	v_fmac_f64_e32 v[0:1], v[14:15], v[18:19]
	v_mov_b32_e32 v2, s1
	v_add_co_u32_e32 v4, vcc, s0, v4
	s_waitcnt lgkmcnt(0)
	v_fmac_f64_e32 v[0:1], v[20:21], v[24:25]
	v_addc_co_u32_e32 v5, vcc, v2, v5, vcc
	v_fmac_f64_e32 v[0:1], v[22:23], v[26:27]
	v_add_co_u32_e32 v2, vcc, v4, v3
	v_mul_f64 v[0:1], s[24:25], v[0:1]
	v_addc_co_u32_e32 v3, vcc, 0, v5, vcc
	global_store_dwordx2 v[2:3], v[0:1], off
.LBB64_15:
	s_endpgm
	.section	.rodata,"a",@progbits
	.p2align	6, 0x0
	.amdhsa_kernel _ZL23rocblas_trmm_lTx_kernelILi32ELb1EdPKdS0_dEv13rocblas_fill_17rocblas_diagonal_iiT2_lPT3_llS6_llPT4_lli
		.amdhsa_group_segment_fixed_size 16384
		.amdhsa_private_segment_fixed_size 0
		.amdhsa_kernarg_size 108
		.amdhsa_user_sgpr_count 6
		.amdhsa_user_sgpr_private_segment_buffer 1
		.amdhsa_user_sgpr_dispatch_ptr 0
		.amdhsa_user_sgpr_queue_ptr 0
		.amdhsa_user_sgpr_kernarg_segment_ptr 1
		.amdhsa_user_sgpr_dispatch_id 0
		.amdhsa_user_sgpr_flat_scratch_init 0
		.amdhsa_user_sgpr_kernarg_preload_length 0
		.amdhsa_user_sgpr_kernarg_preload_offset 0
		.amdhsa_user_sgpr_private_segment_size 0
		.amdhsa_uses_dynamic_stack 0
		.amdhsa_system_sgpr_private_segment_wavefront_offset 0
		.amdhsa_system_sgpr_workgroup_id_x 1
		.amdhsa_system_sgpr_workgroup_id_y 0
		.amdhsa_system_sgpr_workgroup_id_z 1
		.amdhsa_system_sgpr_workgroup_info 0
		.amdhsa_system_vgpr_workitem_id 1
		.amdhsa_next_free_vgpr 33
		.amdhsa_next_free_sgpr 26
		.amdhsa_accum_offset 36
		.amdhsa_reserve_vcc 1
		.amdhsa_reserve_flat_scratch 0
		.amdhsa_float_round_mode_32 0
		.amdhsa_float_round_mode_16_64 0
		.amdhsa_float_denorm_mode_32 3
		.amdhsa_float_denorm_mode_16_64 3
		.amdhsa_dx10_clamp 1
		.amdhsa_ieee_mode 1
		.amdhsa_fp16_overflow 0
		.amdhsa_tg_split 0
		.amdhsa_exception_fp_ieee_invalid_op 0
		.amdhsa_exception_fp_denorm_src 0
		.amdhsa_exception_fp_ieee_div_zero 0
		.amdhsa_exception_fp_ieee_overflow 0
		.amdhsa_exception_fp_ieee_underflow 0
		.amdhsa_exception_fp_ieee_inexact 0
		.amdhsa_exception_int_div_zero 0
	.end_amdhsa_kernel
	.section	.text._ZL23rocblas_trmm_lTx_kernelILi32ELb1EdPKdS0_dEv13rocblas_fill_17rocblas_diagonal_iiT2_lPT3_llS6_llPT4_lli,"axG",@progbits,_ZL23rocblas_trmm_lTx_kernelILi32ELb1EdPKdS0_dEv13rocblas_fill_17rocblas_diagonal_iiT2_lPT3_llS6_llPT4_lli,comdat
.Lfunc_end64:
	.size	_ZL23rocblas_trmm_lTx_kernelILi32ELb1EdPKdS0_dEv13rocblas_fill_17rocblas_diagonal_iiT2_lPT3_llS6_llPT4_lli, .Lfunc_end64-_ZL23rocblas_trmm_lTx_kernelILi32ELb1EdPKdS0_dEv13rocblas_fill_17rocblas_diagonal_iiT2_lPT3_llS6_llPT4_lli
                                        ; -- End function
	.section	.AMDGPU.csdata,"",@progbits
; Kernel info:
; codeLenInByte = 1280
; NumSgprs: 30
; NumVgprs: 33
; NumAgprs: 0
; TotalNumVgprs: 33
; ScratchSize: 0
; MemoryBound: 0
; FloatMode: 240
; IeeeMode: 1
; LDSByteSize: 16384 bytes/workgroup (compile time only)
; SGPRBlocks: 3
; VGPRBlocks: 4
; NumSGPRsForWavesPerEU: 30
; NumVGPRsForWavesPerEU: 33
; AccumOffset: 36
; Occupancy: 8
; WaveLimiterHint : 0
; COMPUTE_PGM_RSRC2:SCRATCH_EN: 0
; COMPUTE_PGM_RSRC2:USER_SGPR: 6
; COMPUTE_PGM_RSRC2:TRAP_HANDLER: 0
; COMPUTE_PGM_RSRC2:TGID_X_EN: 1
; COMPUTE_PGM_RSRC2:TGID_Y_EN: 0
; COMPUTE_PGM_RSRC2:TGID_Z_EN: 1
; COMPUTE_PGM_RSRC2:TIDIG_COMP_CNT: 1
; COMPUTE_PGM_RSRC3_GFX90A:ACCUM_OFFSET: 8
; COMPUTE_PGM_RSRC3_GFX90A:TG_SPLIT: 0
	.section	.text._ZL23rocblas_trmm_lTx_kernelILi32ELb1EddKddEv13rocblas_fill_17rocblas_diagonal_iiT2_lPT3_llS5_llPT4_lli,"axG",@progbits,_ZL23rocblas_trmm_lTx_kernelILi32ELb1EddKddEv13rocblas_fill_17rocblas_diagonal_iiT2_lPT3_llS5_llPT4_lli,comdat
	.globl	_ZL23rocblas_trmm_lTx_kernelILi32ELb1EddKddEv13rocblas_fill_17rocblas_diagonal_iiT2_lPT3_llS5_llPT4_lli ; -- Begin function _ZL23rocblas_trmm_lTx_kernelILi32ELb1EddKddEv13rocblas_fill_17rocblas_diagonal_iiT2_lPT3_llS5_llPT4_lli
	.p2align	8
	.type	_ZL23rocblas_trmm_lTx_kernelILi32ELb1EddKddEv13rocblas_fill_17rocblas_diagonal_iiT2_lPT3_llS5_llPT4_lli,@function
_ZL23rocblas_trmm_lTx_kernelILi32ELb1EddKddEv13rocblas_fill_17rocblas_diagonal_iiT2_lPT3_llS5_llPT4_lli: ; @_ZL23rocblas_trmm_lTx_kernelILi32ELb1EddKddEv13rocblas_fill_17rocblas_diagonal_iiT2_lPT3_llS5_llPT4_lli
; %bb.0:
	s_load_dwordx2 s[2:3], s[4:5], 0x10
	s_waitcnt lgkmcnt(0)
	v_cmp_eq_f64_e64 s[0:1], s[2:3], 0
	s_and_b64 vcc, exec, s[0:1]
	s_cbranch_vccnz .LBB65_15
; %bb.1:
	s_load_dwordx4 s[24:27], s[4:5], 0x0
	s_load_dwordx16 s[8:23], s[4:5], 0x20
	s_mov_b32 s0, 0
	v_and_b32_e32 v4, 0x3ff, v0
	v_bfe_u32 v2, v0, 10, 10
	s_mov_b32 s1, s0
	v_lshlrev_b32_e32 v0, 5, v2
	v_pk_mov_b32 v[6:7], s[0:1], s[0:1] op_sel:[0,1]
	s_waitcnt lgkmcnt(0)
	v_cmp_gt_i32_e64 s[0:1], s26, v2
	v_cmp_gt_i32_e32 vcc, s26, v4
	v_add_lshl_u32 v1, v0, v4, 3
	s_and_b64 s[0:1], s[0:1], vcc
	v_lshlrev_b32_e32 v3, 3, v4
	ds_write2st64_b64 v1, v[6:7], v[6:7] offset1:16
	s_waitcnt lgkmcnt(0)
	s_barrier
	s_and_saveexec_b64 s[28:29], s[0:1]
	s_cbranch_execz .LBB65_3
; %bb.2:
	s_mul_i32 s0, s7, s13
	s_mul_hi_u32 s1, s7, s12
	s_add_i32 s1, s1, s0
	s_mul_i32 s0, s7, s12
	s_lshl_b64 s[0:1], s[0:1], 3
	s_add_u32 s8, s8, s0
	s_addc_u32 s9, s9, s1
	v_mad_u64_u32 v[6:7], s[0:1], v2, s10, 0
	v_mov_b32_e32 v8, v7
	v_mad_u64_u32 v[8:9], s[0:1], v2, s11, v[8:9]
	v_mov_b32_e32 v7, v8
	v_lshlrev_b64 v[6:7], 3, v[6:7]
	v_mov_b32_e32 v5, s9
	v_add_co_u32_e64 v6, s[0:1], s8, v6
	v_addc_co_u32_e64 v5, s[0:1], v5, v7, s[0:1]
	v_add_co_u32_e64 v6, s[0:1], v6, v3
	v_addc_co_u32_e64 v7, s[0:1], 0, v5, s[0:1]
	global_load_dwordx2 v[6:7], v[6:7], off
	v_lshlrev_b32_e32 v5, 5, v4
	v_add_lshl_u32 v5, v5, v2, 3
	s_waitcnt vmcnt(0)
	ds_write_b64 v5, v[6:7]
.LBB65_3:
	s_or_b64 exec, exec, s[28:29]
	s_add_i32 s0, s27, -1
	s_ashr_i32 s1, s0, 31
	s_lshr_b32 s1, s1, 27
	s_add_i32 s0, s0, s1
	s_ashr_i32 s1, s0, 5
	s_andn2_b32 s0, s0, 31
	s_sub_i32 s0, s27, s0
	s_cmp_ge_i32 s6, s1
	s_cselect_b32 s0, s0, 32
	s_lshl_b32 s6, s6, 5
	v_cmp_gt_i32_e64 s[0:1], s0, v2
	s_ashr_i32 s12, s6, 31
	s_and_b64 s[0:1], vcc, s[0:1]
	s_and_saveexec_b64 s[8:9], s[0:1]
	s_cbranch_execz .LBB65_5
; %bb.4:
	s_mul_i32 s10, s7, s19
	s_mul_hi_u32 s11, s7, s18
	s_add_i32 s11, s11, s10
	s_mul_i32 s10, s7, s18
	s_lshl_b64 s[10:11], s[10:11], 3
	s_add_u32 s13, s14, s10
	s_addc_u32 s14, s15, s11
	s_mul_i32 s10, s6, s17
	s_mul_hi_u32 s11, s6, s16
	s_add_i32 s10, s11, s10
	s_mul_i32 s11, s12, s16
	s_add_i32 s11, s10, s11
	s_mul_i32 s10, s6, s16
	s_lshl_b64 s[10:11], s[10:11], 3
	s_add_u32 s13, s13, s10
	s_addc_u32 s14, s14, s11
	v_mad_u64_u32 v[6:7], s[10:11], v2, s16, 0
	v_mov_b32_e32 v8, v7
	v_mad_u64_u32 v[8:9], s[10:11], v2, s17, v[8:9]
	v_mov_b32_e32 v7, v8
	v_lshlrev_b64 v[6:7], 3, v[6:7]
	v_mov_b32_e32 v5, s14
	v_add_co_u32_e32 v6, vcc, s13, v6
	v_addc_co_u32_e32 v5, vcc, v5, v7, vcc
	v_add_co_u32_e32 v6, vcc, v6, v3
	v_addc_co_u32_e32 v7, vcc, 0, v5, vcc
	global_load_dwordx2 v[6:7], v[6:7], off
	v_add_u32_e32 v5, 0x2000, v1
	s_waitcnt vmcnt(0)
	ds_write_b64 v5, v[6:7]
.LBB65_5:
	s_or_b64 exec, exec, s[8:9]
	s_cmpk_eq_i32 s25, 0x84
	s_cselect_b64 s[8:9], -1, 0
	v_cmp_eq_u32_e32 vcc, v2, v4
	s_and_b64 s[10:11], vcc, s[8:9]
	s_and_saveexec_b64 s[8:9], s[10:11]
	s_cbranch_execz .LBB65_7
; %bb.6:
	v_mov_b32_e32 v6, 0
	v_mov_b32_e32 v7, 0x3ff00000
	ds_write_b64 v1, v[6:7]
.LBB65_7:
	s_or_b64 exec, exec, s[8:9]
	s_cmpk_lg_i32 s24, 0x7a
	s_waitcnt lgkmcnt(0)
	s_barrier
	s_cbranch_scc0 .LBB65_9
; %bb.8:
	v_cmp_lt_u32_e32 vcc, v4, v2
	s_and_b64 s[8:9], vcc, exec
	s_cbranch_execz .LBB65_10
	s_branch .LBB65_11
.LBB65_9:
	s_mov_b64 s[8:9], 0
.LBB65_10:
	v_cmp_gt_u32_e32 vcc, v4, v2
	s_andn2_b64 s[8:9], s[8:9], exec
	s_and_b64 s[10:11], vcc, exec
	s_or_b64 s[8:9], s[8:9], s[10:11]
.LBB65_11:
	s_and_saveexec_b64 s[10:11], s[8:9]
	s_cbranch_execz .LBB65_13
; %bb.12:
	v_mov_b32_e32 v4, 0
	v_mov_b32_e32 v5, v4
	ds_write_b64 v1, v[4:5]
.LBB65_13:
	s_or_b64 exec, exec, s[10:11]
	s_waitcnt lgkmcnt(0)
	s_barrier
	s_and_saveexec_b64 s[8:9], s[0:1]
	s_cbranch_execz .LBB65_15
; %bb.14:
	ds_read2_b64 v[4:7], v3 offset1:32
	v_lshlrev_b32_e32 v32, 3, v0
	ds_read_b128 v[8:11], v32 offset:8192
	ds_read_b128 v[12:15], v32 offset:8208
	ds_read2_b64 v[16:19], v3 offset0:64 offset1:96
	ds_read_b128 v[20:23], v32 offset:8224
	ds_read_b128 v[24:27], v32 offset:8240
	ds_read2_b64 v[28:31], v3 offset0:128 offset1:160
	s_load_dwordx2 s[0:1], s[4:5], 0x60
	s_mul_i32 s4, s6, s23
	s_waitcnt lgkmcnt(0)
	v_fma_f64 v[0:1], v[4:5], v[8:9], 0
	v_fmac_f64_e32 v[0:1], v[6:7], v[10:11]
	ds_read2_b64 v[4:7], v3 offset0:192 offset1:224
	v_fmac_f64_e32 v[0:1], v[16:17], v[12:13]
	v_fmac_f64_e32 v[0:1], v[18:19], v[14:15]
	;; [unrolled: 1-line block ×3, first 2 shown]
	v_add_u32_e32 v28, 0x800, v3
	v_fmac_f64_e32 v[0:1], v[30:31], v[22:23]
	ds_read2_b64 v[8:11], v28 offset1:32
	ds_read_b128 v[12:15], v32 offset:8256
	s_waitcnt lgkmcnt(2)
	v_fmac_f64_e32 v[0:1], v[4:5], v[24:25]
	v_fmac_f64_e32 v[0:1], v[6:7], v[26:27]
	ds_read2_b64 v[4:7], v28 offset0:64 offset1:96
	ds_read_b128 v[16:19], v32 offset:8272
	ds_read2_b64 v[20:23], v28 offset0:128 offset1:160
	ds_read_b128 v[24:27], v32 offset:8288
	s_waitcnt lgkmcnt(4)
	v_fmac_f64_e32 v[0:1], v[8:9], v[12:13]
	v_fmac_f64_e32 v[0:1], v[10:11], v[14:15]
	ds_read2_b64 v[8:11], v28 offset0:192 offset1:224
	s_waitcnt lgkmcnt(3)
	v_fmac_f64_e32 v[0:1], v[4:5], v[16:17]
	v_fmac_f64_e32 v[0:1], v[6:7], v[18:19]
	ds_read_b128 v[4:7], v32 offset:8304
	s_waitcnt lgkmcnt(2)
	v_fmac_f64_e32 v[0:1], v[20:21], v[24:25]
	v_add_u32_e32 v28, 0x1000, v3
	v_fmac_f64_e32 v[0:1], v[22:23], v[26:27]
	ds_read2_b64 v[12:15], v28 offset1:32
	ds_read_b128 v[16:19], v32 offset:8320
	s_waitcnt lgkmcnt(2)
	v_fmac_f64_e32 v[0:1], v[8:9], v[4:5]
	v_fmac_f64_e32 v[0:1], v[10:11], v[6:7]
	ds_read2_b64 v[4:7], v28 offset0:64 offset1:96
	ds_read_b128 v[8:11], v32 offset:8336
	ds_read2_b64 v[20:23], v28 offset0:128 offset1:160
	ds_read_b128 v[24:27], v32 offset:8352
	s_waitcnt lgkmcnt(4)
	v_fmac_f64_e32 v[0:1], v[12:13], v[16:17]
	v_fmac_f64_e32 v[0:1], v[14:15], v[18:19]
	s_mul_i32 s1, s7, s1
	s_waitcnt lgkmcnt(2)
	v_fmac_f64_e32 v[0:1], v[4:5], v[8:9]
	v_fmac_f64_e32 v[0:1], v[6:7], v[10:11]
	ds_read_b128 v[4:7], v32 offset:8368
	ds_read2_b64 v[8:11], v28 offset0:192 offset1:224
	s_waitcnt lgkmcnt(2)
	v_fmac_f64_e32 v[0:1], v[20:21], v[24:25]
	v_add_u32_e32 v20, 0x1800, v3
	ds_read2_b64 v[12:15], v20 offset1:32
	ds_read_b128 v[16:19], v32 offset:8384
	v_fmac_f64_e32 v[0:1], v[22:23], v[26:27]
	s_waitcnt lgkmcnt(2)
	v_fmac_f64_e32 v[0:1], v[8:9], v[4:5]
	v_fmac_f64_e32 v[0:1], v[10:11], v[6:7]
	ds_read_b128 v[4:7], v32 offset:8400
	s_waitcnt lgkmcnt(1)
	v_fmac_f64_e32 v[0:1], v[12:13], v[16:17]
	v_fmac_f64_e32 v[0:1], v[14:15], v[18:19]
	ds_read2_b64 v[8:11], v20 offset0:64 offset1:96
	ds_read2_b64 v[12:15], v20 offset0:128 offset1:160
	ds_read_b128 v[16:19], v32 offset:8416
	ds_read2_b64 v[20:23], v20 offset0:192 offset1:224
	ds_read_b128 v[24:27], v32 offset:8432
	s_mul_hi_u32 s8, s7, s0
	s_waitcnt lgkmcnt(4)
	v_fmac_f64_e32 v[0:1], v[8:9], v[4:5]
	v_fmac_f64_e32 v[0:1], v[10:11], v[6:7]
	s_waitcnt lgkmcnt(2)
	v_fmac_f64_e32 v[0:1], v[12:13], v[16:17]
	s_mul_i32 s0, s7, s0
	s_add_i32 s1, s8, s1
	v_fmac_f64_e32 v[0:1], v[14:15], v[18:19]
	s_lshl_b64 s[0:1], s[0:1], 3
	s_waitcnt lgkmcnt(0)
	v_fmac_f64_e32 v[0:1], v[20:21], v[24:25]
	s_mul_hi_u32 s5, s6, s22
	s_add_u32 s7, s20, s0
	v_fmac_f64_e32 v[0:1], v[22:23], v[26:27]
	s_addc_u32 s8, s21, s1
	s_add_i32 s0, s5, s4
	s_mul_i32 s12, s12, s22
	v_mul_f64 v[0:1], v[0:1], s[2:3]
	v_mad_u64_u32 v[4:5], s[2:3], v2, s22, 0
	s_add_i32 s1, s0, s12
	s_mul_i32 s0, s6, s22
	v_mov_b32_e32 v6, v5
	s_lshl_b64 s[0:1], s[0:1], 3
	v_mad_u64_u32 v[6:7], s[2:3], v2, s23, v[6:7]
	s_add_u32 s0, s7, s0
	v_mov_b32_e32 v5, v6
	s_addc_u32 s1, s8, s1
	v_lshlrev_b64 v[4:5], 3, v[4:5]
	v_mov_b32_e32 v2, s1
	v_add_co_u32_e32 v4, vcc, s0, v4
	v_addc_co_u32_e32 v5, vcc, v2, v5, vcc
	v_add_co_u32_e32 v2, vcc, v4, v3
	v_addc_co_u32_e32 v3, vcc, 0, v5, vcc
	global_store_dwordx2 v[2:3], v[0:1], off
.LBB65_15:
	s_endpgm
	.section	.rodata,"a",@progbits
	.p2align	6, 0x0
	.amdhsa_kernel _ZL23rocblas_trmm_lTx_kernelILi32ELb1EddKddEv13rocblas_fill_17rocblas_diagonal_iiT2_lPT3_llS5_llPT4_lli
		.amdhsa_group_segment_fixed_size 16384
		.amdhsa_private_segment_fixed_size 0
		.amdhsa_kernarg_size 108
		.amdhsa_user_sgpr_count 6
		.amdhsa_user_sgpr_private_segment_buffer 1
		.amdhsa_user_sgpr_dispatch_ptr 0
		.amdhsa_user_sgpr_queue_ptr 0
		.amdhsa_user_sgpr_kernarg_segment_ptr 1
		.amdhsa_user_sgpr_dispatch_id 0
		.amdhsa_user_sgpr_flat_scratch_init 0
		.amdhsa_user_sgpr_kernarg_preload_length 0
		.amdhsa_user_sgpr_kernarg_preload_offset 0
		.amdhsa_user_sgpr_private_segment_size 0
		.amdhsa_uses_dynamic_stack 0
		.amdhsa_system_sgpr_private_segment_wavefront_offset 0
		.amdhsa_system_sgpr_workgroup_id_x 1
		.amdhsa_system_sgpr_workgroup_id_y 0
		.amdhsa_system_sgpr_workgroup_id_z 1
		.amdhsa_system_sgpr_workgroup_info 0
		.amdhsa_system_vgpr_workitem_id 1
		.amdhsa_next_free_vgpr 33
		.amdhsa_next_free_sgpr 30
		.amdhsa_accum_offset 36
		.amdhsa_reserve_vcc 1
		.amdhsa_reserve_flat_scratch 0
		.amdhsa_float_round_mode_32 0
		.amdhsa_float_round_mode_16_64 0
		.amdhsa_float_denorm_mode_32 3
		.amdhsa_float_denorm_mode_16_64 3
		.amdhsa_dx10_clamp 1
		.amdhsa_ieee_mode 1
		.amdhsa_fp16_overflow 0
		.amdhsa_tg_split 0
		.amdhsa_exception_fp_ieee_invalid_op 0
		.amdhsa_exception_fp_denorm_src 0
		.amdhsa_exception_fp_ieee_div_zero 0
		.amdhsa_exception_fp_ieee_overflow 0
		.amdhsa_exception_fp_ieee_underflow 0
		.amdhsa_exception_fp_ieee_inexact 0
		.amdhsa_exception_int_div_zero 0
	.end_amdhsa_kernel
	.section	.text._ZL23rocblas_trmm_lTx_kernelILi32ELb1EddKddEv13rocblas_fill_17rocblas_diagonal_iiT2_lPT3_llS5_llPT4_lli,"axG",@progbits,_ZL23rocblas_trmm_lTx_kernelILi32ELb1EddKddEv13rocblas_fill_17rocblas_diagonal_iiT2_lPT3_llS5_llPT4_lli,comdat
.Lfunc_end65:
	.size	_ZL23rocblas_trmm_lTx_kernelILi32ELb1EddKddEv13rocblas_fill_17rocblas_diagonal_iiT2_lPT3_llS5_llPT4_lli, .Lfunc_end65-_ZL23rocblas_trmm_lTx_kernelILi32ELb1EddKddEv13rocblas_fill_17rocblas_diagonal_iiT2_lPT3_llS5_llPT4_lli
                                        ; -- End function
	.section	.AMDGPU.csdata,"",@progbits
; Kernel info:
; codeLenInByte = 1240
; NumSgprs: 34
; NumVgprs: 33
; NumAgprs: 0
; TotalNumVgprs: 33
; ScratchSize: 0
; MemoryBound: 0
; FloatMode: 240
; IeeeMode: 1
; LDSByteSize: 16384 bytes/workgroup (compile time only)
; SGPRBlocks: 4
; VGPRBlocks: 4
; NumSGPRsForWavesPerEU: 34
; NumVGPRsForWavesPerEU: 33
; AccumOffset: 36
; Occupancy: 8
; WaveLimiterHint : 0
; COMPUTE_PGM_RSRC2:SCRATCH_EN: 0
; COMPUTE_PGM_RSRC2:USER_SGPR: 6
; COMPUTE_PGM_RSRC2:TRAP_HANDLER: 0
; COMPUTE_PGM_RSRC2:TGID_X_EN: 1
; COMPUTE_PGM_RSRC2:TGID_Y_EN: 0
; COMPUTE_PGM_RSRC2:TGID_Z_EN: 1
; COMPUTE_PGM_RSRC2:TIDIG_COMP_CNT: 1
; COMPUTE_PGM_RSRC3_GFX90A:ACCUM_OFFSET: 8
; COMPUTE_PGM_RSRC3_GFX90A:TG_SPLIT: 0
	.section	.text._ZL23rocblas_trmm_rNx_kernelILi32EdPKdS0_dEv13rocblas_fill_17rocblas_diagonal_iiT1_lPT2_llS6_llPT3_lli,"axG",@progbits,_ZL23rocblas_trmm_rNx_kernelILi32EdPKdS0_dEv13rocblas_fill_17rocblas_diagonal_iiT1_lPT2_llS6_llPT3_lli,comdat
	.globl	_ZL23rocblas_trmm_rNx_kernelILi32EdPKdS0_dEv13rocblas_fill_17rocblas_diagonal_iiT1_lPT2_llS6_llPT3_lli ; -- Begin function _ZL23rocblas_trmm_rNx_kernelILi32EdPKdS0_dEv13rocblas_fill_17rocblas_diagonal_iiT1_lPT2_llS6_llPT3_lli
	.p2align	8
	.type	_ZL23rocblas_trmm_rNx_kernelILi32EdPKdS0_dEv13rocblas_fill_17rocblas_diagonal_iiT1_lPT2_llS6_llPT3_lli,@function
_ZL23rocblas_trmm_rNx_kernelILi32EdPKdS0_dEv13rocblas_fill_17rocblas_diagonal_iiT1_lPT2_llS6_llPT3_lli: ; @_ZL23rocblas_trmm_rNx_kernelILi32EdPKdS0_dEv13rocblas_fill_17rocblas_diagonal_iiT1_lPT2_llS6_llPT3_lli
; %bb.0:
	s_load_dwordx16 s[8:23], s[4:5], 0x10
	s_waitcnt lgkmcnt(0)
	s_mul_i32 s0, s7, s11
	s_mul_hi_u32 s1, s7, s10
	s_add_i32 s1, s1, s0
	s_mul_i32 s0, s7, s10
	s_lshl_b64 s[0:1], s[0:1], 3
	s_add_u32 s0, s8, s0
	s_addc_u32 s1, s9, s1
	s_load_dwordx2 s[24:25], s[0:1], 0x0
	s_waitcnt lgkmcnt(0)
	v_cmp_eq_f64_e64 s[0:1], s[24:25], 0
	s_and_b64 vcc, exec, s[0:1]
	s_cbranch_vccnz .LBB66_15
; %bb.1:
	s_load_dwordx4 s[8:11], s[4:5], 0x0
	s_mov_b32 s0, 0
	v_and_b32_e32 v4, 0x3ff, v0
	v_bfe_u32 v2, v0, 10, 10
	s_mov_b32 s1, s0
	v_lshlrev_b32_e32 v0, 5, v2
	v_pk_mov_b32 v[6:7], s[0:1], s[0:1] op_sel:[0,1]
	s_waitcnt lgkmcnt(0)
	v_cmp_gt_i32_e32 vcc, s11, v2
	v_cmp_gt_i32_e64 s[0:1], s11, v4
	v_add_lshl_u32 v1, v0, v4, 3
	s_and_b64 s[0:1], vcc, s[0:1]
	v_lshlrev_b32_e32 v3, 3, v4
	ds_write2st64_b64 v1, v[6:7], v[6:7] offset1:16
	s_and_saveexec_b64 s[2:3], s[0:1]
	s_cbranch_execz .LBB66_3
; %bb.2:
	s_mul_i32 s0, s7, s17
	s_mul_hi_u32 s1, s7, s16
	s_add_i32 s1, s1, s0
	s_mul_i32 s0, s7, s16
	s_lshl_b64 s[0:1], s[0:1], 3
	s_add_u32 s11, s12, s0
	s_addc_u32 s12, s13, s1
	v_mad_u64_u32 v[6:7], s[0:1], v2, s14, 0
	v_mov_b32_e32 v8, v7
	v_mad_u64_u32 v[8:9], s[0:1], v2, s15, v[8:9]
	v_mov_b32_e32 v7, v8
	v_lshlrev_b64 v[6:7], 3, v[6:7]
	v_mov_b32_e32 v5, s12
	v_add_co_u32_e64 v6, s[0:1], s11, v6
	v_addc_co_u32_e64 v5, s[0:1], v5, v7, s[0:1]
	v_add_co_u32_e64 v6, s[0:1], v6, v3
	v_addc_co_u32_e64 v7, s[0:1], 0, v5, s[0:1]
	global_load_dwordx2 v[6:7], v[6:7], off
	s_waitcnt vmcnt(0)
	ds_write_b64 v1, v[6:7]
.LBB66_3:
	s_or_b64 exec, exec, s[2:3]
	s_add_i32 s0, s10, -1
	s_ashr_i32 s1, s0, 31
	s_lshr_b32 s1, s1, 27
	s_add_i32 s0, s0, s1
	s_ashr_i32 s1, s0, 5
	s_andn2_b32 s0, s0, 31
	s_sub_i32 s0, s10, s0
	s_cmp_ge_i32 s6, s1
	s_cselect_b32 s0, s0, 32
	s_lshl_b32 s10, s6, 5
	v_cmp_gt_i32_e64 s[0:1], s0, v4
	s_ashr_i32 s11, s10, 31
	s_and_b64 s[0:1], vcc, s[0:1]
	s_and_saveexec_b64 s[2:3], s[0:1]
	s_cbranch_execz .LBB66_5
; %bb.4:
	s_mul_i32 s6, s7, s23
	s_mul_hi_u32 s12, s7, s22
	s_add_i32 s13, s12, s6
	s_mul_i32 s12, s7, s22
	s_lshl_b64 s[12:13], s[12:13], 3
	s_add_u32 s6, s18, s12
	s_addc_u32 s14, s19, s13
	s_lshl_b64 s[12:13], s[10:11], 3
	s_add_u32 s6, s6, s12
	s_addc_u32 s14, s14, s13
	v_mad_u64_u32 v[6:7], s[12:13], v2, s20, 0
	v_mov_b32_e32 v8, v7
	v_mad_u64_u32 v[8:9], s[12:13], v2, s21, v[8:9]
	v_mov_b32_e32 v7, v8
	v_lshlrev_b64 v[6:7], 3, v[6:7]
	v_mov_b32_e32 v5, s14
	v_add_co_u32_e32 v6, vcc, s6, v6
	v_addc_co_u32_e32 v5, vcc, v5, v7, vcc
	v_add_co_u32_e32 v6, vcc, v6, v3
	v_addc_co_u32_e32 v7, vcc, 0, v5, vcc
	global_load_dwordx2 v[6:7], v[6:7], off
	v_add_u32_e32 v5, 0x2000, v1
	s_waitcnt vmcnt(0)
	ds_write_b64 v5, v[6:7]
.LBB66_5:
	s_or_b64 exec, exec, s[2:3]
	s_cmpk_eq_i32 s9, 0x84
	s_cselect_b64 s[2:3], -1, 0
	v_cmp_eq_u32_e32 vcc, v2, v4
	s_and_b64 s[12:13], vcc, s[2:3]
	s_and_saveexec_b64 s[2:3], s[12:13]
	s_cbranch_execz .LBB66_7
; %bb.6:
	v_mov_b32_e32 v6, 0
	v_mov_b32_e32 v7, 0x3ff00000
	ds_write_b64 v1, v[6:7]
.LBB66_7:
	s_or_b64 exec, exec, s[2:3]
	s_cmpk_lg_i32 s8, 0x79
	s_cbranch_scc0 .LBB66_9
; %bb.8:
	v_cmp_lt_u32_e32 vcc, v4, v2
	s_and_b64 s[2:3], vcc, exec
	s_cbranch_execz .LBB66_10
	s_branch .LBB66_11
.LBB66_9:
	s_mov_b64 s[2:3], 0
.LBB66_10:
	v_cmp_gt_u32_e32 vcc, v4, v2
	s_andn2_b64 s[2:3], s[2:3], exec
	s_and_b64 s[8:9], vcc, exec
	s_or_b64 s[2:3], s[2:3], s[8:9]
.LBB66_11:
	s_and_saveexec_b64 s[8:9], s[2:3]
	s_cbranch_execz .LBB66_13
; %bb.12:
	v_mov_b32_e32 v4, 0
	v_mov_b32_e32 v5, v4
	ds_write_b64 v1, v[4:5]
.LBB66_13:
	s_or_b64 exec, exec, s[8:9]
	s_waitcnt lgkmcnt(0)
	s_barrier
	s_and_saveexec_b64 s[2:3], s[0:1]
	s_cbranch_execz .LBB66_15
; %bb.14:
	v_add_u32_e32 v32, 0x2000, v3
	s_load_dwordx2 s[8:9], s[4:5], 0x60
	s_load_dwordx4 s[0:3], s[4:5], 0x50
	ds_read2_b64 v[4:7], v32 offset1:32
	v_lshlrev_b32_e32 v33, 3, v0
	ds_read_b128 v[8:11], v33
	ds_read_b128 v[12:15], v33 offset:16
	ds_read2_b64 v[16:19], v32 offset0:64 offset1:96
	ds_read_b128 v[20:23], v33 offset:32
	ds_read_b128 v[24:27], v33 offset:48
	ds_read2_b64 v[28:31], v32 offset0:128 offset1:160
	s_waitcnt lgkmcnt(0)
	s_mul_i32 s5, s7, s9
	s_mul_hi_u32 s6, s7, s8
	v_fma_f64 v[0:1], v[4:5], v[8:9], 0
	v_fmac_f64_e32 v[0:1], v[6:7], v[10:11]
	ds_read2_b64 v[4:7], v32 offset0:192 offset1:224
	v_fmac_f64_e32 v[0:1], v[16:17], v[12:13]
	v_fmac_f64_e32 v[0:1], v[18:19], v[14:15]
	;; [unrolled: 1-line block ×3, first 2 shown]
	v_add_u32_e32 v28, 0x2800, v3
	v_fmac_f64_e32 v[0:1], v[30:31], v[22:23]
	ds_read2_b64 v[8:11], v28 offset1:32
	ds_read_b128 v[12:15], v33 offset:64
	s_waitcnt lgkmcnt(2)
	v_fmac_f64_e32 v[0:1], v[4:5], v[24:25]
	v_fmac_f64_e32 v[0:1], v[6:7], v[26:27]
	ds_read2_b64 v[4:7], v28 offset0:64 offset1:96
	ds_read_b128 v[16:19], v33 offset:80
	ds_read2_b64 v[20:23], v28 offset0:128 offset1:160
	ds_read_b128 v[24:27], v33 offset:96
	s_waitcnt lgkmcnt(4)
	v_fmac_f64_e32 v[0:1], v[8:9], v[12:13]
	v_fmac_f64_e32 v[0:1], v[10:11], v[14:15]
	ds_read2_b64 v[8:11], v28 offset0:192 offset1:224
	s_waitcnt lgkmcnt(3)
	v_fmac_f64_e32 v[0:1], v[4:5], v[16:17]
	v_fmac_f64_e32 v[0:1], v[6:7], v[18:19]
	ds_read_b128 v[4:7], v33 offset:112
	s_waitcnt lgkmcnt(2)
	v_fmac_f64_e32 v[0:1], v[20:21], v[24:25]
	v_add_u32_e32 v28, 0x3000, v3
	v_fmac_f64_e32 v[0:1], v[22:23], v[26:27]
	ds_read2_b64 v[12:15], v28 offset1:32
	ds_read_b128 v[16:19], v33 offset:128
	s_waitcnt lgkmcnt(2)
	v_fmac_f64_e32 v[0:1], v[8:9], v[4:5]
	v_fmac_f64_e32 v[0:1], v[10:11], v[6:7]
	ds_read2_b64 v[4:7], v28 offset0:64 offset1:96
	ds_read_b128 v[8:11], v33 offset:144
	ds_read2_b64 v[20:23], v28 offset0:128 offset1:160
	ds_read_b128 v[24:27], v33 offset:160
	s_waitcnt lgkmcnt(4)
	v_fmac_f64_e32 v[0:1], v[12:13], v[16:17]
	v_fmac_f64_e32 v[0:1], v[14:15], v[18:19]
	s_mul_i32 s4, s7, s8
	s_waitcnt lgkmcnt(2)
	v_fmac_f64_e32 v[0:1], v[4:5], v[8:9]
	v_fmac_f64_e32 v[0:1], v[6:7], v[10:11]
	ds_read_b128 v[4:7], v33 offset:176
	ds_read2_b64 v[8:11], v28 offset0:192 offset1:224
	s_waitcnt lgkmcnt(2)
	v_fmac_f64_e32 v[0:1], v[20:21], v[24:25]
	v_add_u32_e32 v20, 0x3800, v3
	ds_read2_b64 v[12:15], v20 offset1:32
	ds_read_b128 v[16:19], v33 offset:192
	v_fmac_f64_e32 v[0:1], v[22:23], v[26:27]
	s_waitcnt lgkmcnt(2)
	v_fmac_f64_e32 v[0:1], v[8:9], v[4:5]
	s_add_i32 s5, s6, s5
	v_fmac_f64_e32 v[0:1], v[10:11], v[6:7]
	ds_read_b128 v[4:7], v33 offset:208
	s_lshl_b64 s[4:5], s[4:5], 3
	s_add_u32 s4, s0, s4
	s_addc_u32 s5, s1, s5
	s_lshl_b64 s[0:1], s[10:11], 3
	s_waitcnt lgkmcnt(1)
	v_fmac_f64_e32 v[0:1], v[12:13], v[16:17]
	s_add_u32 s0, s4, s0
	v_fmac_f64_e32 v[0:1], v[14:15], v[18:19]
	ds_read2_b64 v[8:11], v20 offset0:64 offset1:96
	ds_read2_b64 v[12:15], v20 offset0:128 offset1:160
	ds_read_b128 v[16:19], v33 offset:224
	ds_read2_b64 v[20:23], v20 offset0:192 offset1:224
	ds_read_b128 v[24:27], v33 offset:240
	s_addc_u32 s1, s5, s1
	s_waitcnt lgkmcnt(4)
	v_fmac_f64_e32 v[0:1], v[8:9], v[4:5]
	v_mad_u64_u32 v[4:5], s[4:5], v2, s2, 0
	v_fmac_f64_e32 v[0:1], v[10:11], v[6:7]
	v_mov_b32_e32 v6, v5
	v_mad_u64_u32 v[6:7], s[2:3], v2, s3, v[6:7]
	v_mov_b32_e32 v5, v6
	s_waitcnt lgkmcnt(2)
	v_fmac_f64_e32 v[0:1], v[12:13], v[16:17]
	v_lshlrev_b64 v[4:5], 3, v[4:5]
	v_fmac_f64_e32 v[0:1], v[14:15], v[18:19]
	v_mov_b32_e32 v2, s1
	v_add_co_u32_e32 v4, vcc, s0, v4
	s_waitcnt lgkmcnt(0)
	v_fmac_f64_e32 v[0:1], v[20:21], v[24:25]
	v_addc_co_u32_e32 v5, vcc, v2, v5, vcc
	v_fmac_f64_e32 v[0:1], v[22:23], v[26:27]
	v_add_co_u32_e32 v2, vcc, v4, v3
	v_mul_f64 v[0:1], s[24:25], v[0:1]
	v_addc_co_u32_e32 v3, vcc, 0, v5, vcc
	global_store_dwordx2 v[2:3], v[0:1], off
.LBB66_15:
	s_endpgm
	.section	.rodata,"a",@progbits
	.p2align	6, 0x0
	.amdhsa_kernel _ZL23rocblas_trmm_rNx_kernelILi32EdPKdS0_dEv13rocblas_fill_17rocblas_diagonal_iiT1_lPT2_llS6_llPT3_lli
		.amdhsa_group_segment_fixed_size 16384
		.amdhsa_private_segment_fixed_size 0
		.amdhsa_kernarg_size 108
		.amdhsa_user_sgpr_count 6
		.amdhsa_user_sgpr_private_segment_buffer 1
		.amdhsa_user_sgpr_dispatch_ptr 0
		.amdhsa_user_sgpr_queue_ptr 0
		.amdhsa_user_sgpr_kernarg_segment_ptr 1
		.amdhsa_user_sgpr_dispatch_id 0
		.amdhsa_user_sgpr_flat_scratch_init 0
		.amdhsa_user_sgpr_kernarg_preload_length 0
		.amdhsa_user_sgpr_kernarg_preload_offset 0
		.amdhsa_user_sgpr_private_segment_size 0
		.amdhsa_uses_dynamic_stack 0
		.amdhsa_system_sgpr_private_segment_wavefront_offset 0
		.amdhsa_system_sgpr_workgroup_id_x 1
		.amdhsa_system_sgpr_workgroup_id_y 0
		.amdhsa_system_sgpr_workgroup_id_z 1
		.amdhsa_system_sgpr_workgroup_info 0
		.amdhsa_system_vgpr_workitem_id 1
		.amdhsa_next_free_vgpr 34
		.amdhsa_next_free_sgpr 26
		.amdhsa_accum_offset 36
		.amdhsa_reserve_vcc 1
		.amdhsa_reserve_flat_scratch 0
		.amdhsa_float_round_mode_32 0
		.amdhsa_float_round_mode_16_64 0
		.amdhsa_float_denorm_mode_32 3
		.amdhsa_float_denorm_mode_16_64 3
		.amdhsa_dx10_clamp 1
		.amdhsa_ieee_mode 1
		.amdhsa_fp16_overflow 0
		.amdhsa_tg_split 0
		.amdhsa_exception_fp_ieee_invalid_op 0
		.amdhsa_exception_fp_denorm_src 0
		.amdhsa_exception_fp_ieee_div_zero 0
		.amdhsa_exception_fp_ieee_overflow 0
		.amdhsa_exception_fp_ieee_underflow 0
		.amdhsa_exception_fp_ieee_inexact 0
		.amdhsa_exception_int_div_zero 0
	.end_amdhsa_kernel
	.section	.text._ZL23rocblas_trmm_rNx_kernelILi32EdPKdS0_dEv13rocblas_fill_17rocblas_diagonal_iiT1_lPT2_llS6_llPT3_lli,"axG",@progbits,_ZL23rocblas_trmm_rNx_kernelILi32EdPKdS0_dEv13rocblas_fill_17rocblas_diagonal_iiT1_lPT2_llS6_llPT3_lli,comdat
.Lfunc_end66:
	.size	_ZL23rocblas_trmm_rNx_kernelILi32EdPKdS0_dEv13rocblas_fill_17rocblas_diagonal_iiT1_lPT2_llS6_llPT3_lli, .Lfunc_end66-_ZL23rocblas_trmm_rNx_kernelILi32EdPKdS0_dEv13rocblas_fill_17rocblas_diagonal_iiT1_lPT2_llS6_llPT3_lli
                                        ; -- End function
	.section	.AMDGPU.csdata,"",@progbits
; Kernel info:
; codeLenInByte = 1212
; NumSgprs: 30
; NumVgprs: 34
; NumAgprs: 0
; TotalNumVgprs: 34
; ScratchSize: 0
; MemoryBound: 0
; FloatMode: 240
; IeeeMode: 1
; LDSByteSize: 16384 bytes/workgroup (compile time only)
; SGPRBlocks: 3
; VGPRBlocks: 4
; NumSGPRsForWavesPerEU: 30
; NumVGPRsForWavesPerEU: 34
; AccumOffset: 36
; Occupancy: 8
; WaveLimiterHint : 0
; COMPUTE_PGM_RSRC2:SCRATCH_EN: 0
; COMPUTE_PGM_RSRC2:USER_SGPR: 6
; COMPUTE_PGM_RSRC2:TRAP_HANDLER: 0
; COMPUTE_PGM_RSRC2:TGID_X_EN: 1
; COMPUTE_PGM_RSRC2:TGID_Y_EN: 0
; COMPUTE_PGM_RSRC2:TGID_Z_EN: 1
; COMPUTE_PGM_RSRC2:TIDIG_COMP_CNT: 1
; COMPUTE_PGM_RSRC3_GFX90A:ACCUM_OFFSET: 8
; COMPUTE_PGM_RSRC3_GFX90A:TG_SPLIT: 0
	.section	.text._ZL23rocblas_trmm_rNx_kernelILi32EddKddEv13rocblas_fill_17rocblas_diagonal_iiT1_lPT2_llS5_llPT3_lli,"axG",@progbits,_ZL23rocblas_trmm_rNx_kernelILi32EddKddEv13rocblas_fill_17rocblas_diagonal_iiT1_lPT2_llS5_llPT3_lli,comdat
	.globl	_ZL23rocblas_trmm_rNx_kernelILi32EddKddEv13rocblas_fill_17rocblas_diagonal_iiT1_lPT2_llS5_llPT3_lli ; -- Begin function _ZL23rocblas_trmm_rNx_kernelILi32EddKddEv13rocblas_fill_17rocblas_diagonal_iiT1_lPT2_llS5_llPT3_lli
	.p2align	8
	.type	_ZL23rocblas_trmm_rNx_kernelILi32EddKddEv13rocblas_fill_17rocblas_diagonal_iiT1_lPT2_llS5_llPT3_lli,@function
_ZL23rocblas_trmm_rNx_kernelILi32EddKddEv13rocblas_fill_17rocblas_diagonal_iiT1_lPT2_llS5_llPT3_lli: ; @_ZL23rocblas_trmm_rNx_kernelILi32EddKddEv13rocblas_fill_17rocblas_diagonal_iiT1_lPT2_llS5_llPT3_lli
; %bb.0:
	s_load_dwordx2 s[2:3], s[4:5], 0x10
	s_waitcnt lgkmcnt(0)
	v_cmp_eq_f64_e64 s[0:1], s[2:3], 0
	s_and_b64 vcc, exec, s[0:1]
	s_cbranch_vccnz .LBB67_15
; %bb.1:
	s_load_dwordx4 s[24:27], s[4:5], 0x0
	s_load_dwordx16 s[8:23], s[4:5], 0x20
	s_mov_b32 s0, 0
	v_and_b32_e32 v4, 0x3ff, v0
	v_bfe_u32 v2, v0, 10, 10
	s_mov_b32 s1, s0
	v_lshlrev_b32_e32 v0, 5, v2
	v_pk_mov_b32 v[6:7], s[0:1], s[0:1] op_sel:[0,1]
	s_waitcnt lgkmcnt(0)
	v_cmp_gt_i32_e32 vcc, s27, v2
	v_cmp_gt_i32_e64 s[0:1], s27, v4
	v_add_lshl_u32 v1, v0, v4, 3
	s_and_b64 s[0:1], vcc, s[0:1]
	v_lshlrev_b32_e32 v3, 3, v4
	ds_write2st64_b64 v1, v[6:7], v[6:7] offset1:16
	s_and_saveexec_b64 s[28:29], s[0:1]
	s_cbranch_execz .LBB67_3
; %bb.2:
	s_mul_i32 s0, s7, s13
	s_mul_hi_u32 s1, s7, s12
	s_add_i32 s1, s1, s0
	s_mul_i32 s0, s7, s12
	s_lshl_b64 s[0:1], s[0:1], 3
	s_add_u32 s8, s8, s0
	s_addc_u32 s9, s9, s1
	v_mad_u64_u32 v[6:7], s[0:1], v2, s10, 0
	v_mov_b32_e32 v8, v7
	v_mad_u64_u32 v[8:9], s[0:1], v2, s11, v[8:9]
	v_mov_b32_e32 v7, v8
	v_lshlrev_b64 v[6:7], 3, v[6:7]
	v_mov_b32_e32 v5, s9
	v_add_co_u32_e64 v6, s[0:1], s8, v6
	v_addc_co_u32_e64 v5, s[0:1], v5, v7, s[0:1]
	v_add_co_u32_e64 v6, s[0:1], v6, v3
	v_addc_co_u32_e64 v7, s[0:1], 0, v5, s[0:1]
	global_load_dwordx2 v[6:7], v[6:7], off
	s_waitcnt vmcnt(0)
	ds_write_b64 v1, v[6:7]
.LBB67_3:
	s_or_b64 exec, exec, s[28:29]
	s_add_i32 s0, s26, -1
	s_ashr_i32 s1, s0, 31
	s_lshr_b32 s1, s1, 27
	s_add_i32 s0, s0, s1
	s_ashr_i32 s1, s0, 5
	s_andn2_b32 s0, s0, 31
	s_sub_i32 s0, s26, s0
	s_cmp_ge_i32 s6, s1
	s_cselect_b32 s0, s0, 32
	s_lshl_b32 s8, s6, 5
	v_cmp_gt_i32_e64 s[0:1], s0, v4
	s_ashr_i32 s9, s8, 31
	s_and_b64 s[0:1], vcc, s[0:1]
	s_and_saveexec_b64 s[10:11], s[0:1]
	s_cbranch_execz .LBB67_5
; %bb.4:
	s_mul_i32 s6, s7, s19
	s_mul_hi_u32 s12, s7, s18
	s_add_i32 s13, s12, s6
	s_mul_i32 s12, s7, s18
	s_lshl_b64 s[12:13], s[12:13], 3
	s_add_u32 s6, s14, s12
	s_addc_u32 s14, s15, s13
	s_lshl_b64 s[12:13], s[8:9], 3
	s_add_u32 s6, s6, s12
	s_addc_u32 s14, s14, s13
	v_mad_u64_u32 v[6:7], s[12:13], v2, s16, 0
	v_mov_b32_e32 v8, v7
	v_mad_u64_u32 v[8:9], s[12:13], v2, s17, v[8:9]
	v_mov_b32_e32 v7, v8
	v_lshlrev_b64 v[6:7], 3, v[6:7]
	v_mov_b32_e32 v5, s14
	v_add_co_u32_e32 v6, vcc, s6, v6
	v_addc_co_u32_e32 v5, vcc, v5, v7, vcc
	v_add_co_u32_e32 v6, vcc, v6, v3
	v_addc_co_u32_e32 v7, vcc, 0, v5, vcc
	global_load_dwordx2 v[6:7], v[6:7], off
	v_add_u32_e32 v5, 0x2000, v1
	s_waitcnt vmcnt(0)
	ds_write_b64 v5, v[6:7]
.LBB67_5:
	s_or_b64 exec, exec, s[10:11]
	s_cmpk_eq_i32 s25, 0x84
	s_cselect_b64 s[10:11], -1, 0
	v_cmp_eq_u32_e32 vcc, v2, v4
	s_and_b64 s[12:13], vcc, s[10:11]
	s_and_saveexec_b64 s[10:11], s[12:13]
	s_cbranch_execz .LBB67_7
; %bb.6:
	v_mov_b32_e32 v6, 0
	v_mov_b32_e32 v7, 0x3ff00000
	ds_write_b64 v1, v[6:7]
.LBB67_7:
	s_or_b64 exec, exec, s[10:11]
	s_cmpk_lg_i32 s24, 0x79
	s_cbranch_scc0 .LBB67_9
; %bb.8:
	v_cmp_lt_u32_e32 vcc, v4, v2
	s_and_b64 s[10:11], vcc, exec
	s_cbranch_execz .LBB67_10
	s_branch .LBB67_11
.LBB67_9:
	s_mov_b64 s[10:11], 0
.LBB67_10:
	v_cmp_gt_u32_e32 vcc, v4, v2
	s_andn2_b64 s[10:11], s[10:11], exec
	s_and_b64 s[12:13], vcc, exec
	s_or_b64 s[10:11], s[10:11], s[12:13]
.LBB67_11:
	s_and_saveexec_b64 s[12:13], s[10:11]
	s_cbranch_execz .LBB67_13
; %bb.12:
	v_mov_b32_e32 v4, 0
	v_mov_b32_e32 v5, v4
	ds_write_b64 v1, v[4:5]
.LBB67_13:
	s_or_b64 exec, exec, s[12:13]
	s_waitcnt lgkmcnt(0)
	s_barrier
	s_and_saveexec_b64 s[10:11], s[0:1]
	s_cbranch_execz .LBB67_15
; %bb.14:
	v_add_u32_e32 v32, 0x2000, v3
	ds_read2_b64 v[4:7], v32 offset1:32
	v_lshlrev_b32_e32 v33, 3, v0
	ds_read_b128 v[8:11], v33
	ds_read_b128 v[12:15], v33 offset:16
	ds_read2_b64 v[16:19], v32 offset0:64 offset1:96
	ds_read_b128 v[20:23], v33 offset:32
	ds_read_b128 v[24:27], v33 offset:48
	ds_read2_b64 v[28:31], v32 offset0:128 offset1:160
	s_load_dwordx2 s[0:1], s[4:5], 0x60
	s_waitcnt lgkmcnt(0)
	v_fma_f64 v[0:1], v[4:5], v[8:9], 0
	v_fmac_f64_e32 v[0:1], v[6:7], v[10:11]
	ds_read2_b64 v[4:7], v32 offset0:192 offset1:224
	v_fmac_f64_e32 v[0:1], v[16:17], v[12:13]
	v_fmac_f64_e32 v[0:1], v[18:19], v[14:15]
	;; [unrolled: 1-line block ×3, first 2 shown]
	v_add_u32_e32 v28, 0x2800, v3
	v_fmac_f64_e32 v[0:1], v[30:31], v[22:23]
	ds_read2_b64 v[8:11], v28 offset1:32
	ds_read_b128 v[12:15], v33 offset:64
	s_waitcnt lgkmcnt(2)
	v_fmac_f64_e32 v[0:1], v[4:5], v[24:25]
	v_fmac_f64_e32 v[0:1], v[6:7], v[26:27]
	ds_read2_b64 v[4:7], v28 offset0:64 offset1:96
	ds_read_b128 v[16:19], v33 offset:80
	ds_read2_b64 v[20:23], v28 offset0:128 offset1:160
	ds_read_b128 v[24:27], v33 offset:96
	s_waitcnt lgkmcnt(4)
	v_fmac_f64_e32 v[0:1], v[8:9], v[12:13]
	v_fmac_f64_e32 v[0:1], v[10:11], v[14:15]
	ds_read2_b64 v[8:11], v28 offset0:192 offset1:224
	s_waitcnt lgkmcnt(3)
	v_fmac_f64_e32 v[0:1], v[4:5], v[16:17]
	v_fmac_f64_e32 v[0:1], v[6:7], v[18:19]
	ds_read_b128 v[4:7], v33 offset:112
	s_waitcnt lgkmcnt(2)
	v_fmac_f64_e32 v[0:1], v[20:21], v[24:25]
	v_add_u32_e32 v28, 0x3000, v3
	v_fmac_f64_e32 v[0:1], v[22:23], v[26:27]
	ds_read2_b64 v[12:15], v28 offset1:32
	ds_read_b128 v[16:19], v33 offset:128
	s_waitcnt lgkmcnt(2)
	v_fmac_f64_e32 v[0:1], v[8:9], v[4:5]
	v_fmac_f64_e32 v[0:1], v[10:11], v[6:7]
	ds_read2_b64 v[4:7], v28 offset0:64 offset1:96
	ds_read_b128 v[8:11], v33 offset:144
	ds_read2_b64 v[20:23], v28 offset0:128 offset1:160
	ds_read_b128 v[24:27], v33 offset:160
	s_waitcnt lgkmcnt(4)
	v_fmac_f64_e32 v[0:1], v[12:13], v[16:17]
	v_fmac_f64_e32 v[0:1], v[14:15], v[18:19]
	s_mul_i32 s1, s7, s1
	s_waitcnt lgkmcnt(2)
	v_fmac_f64_e32 v[0:1], v[4:5], v[8:9]
	v_fmac_f64_e32 v[0:1], v[6:7], v[10:11]
	ds_read_b128 v[4:7], v33 offset:176
	ds_read2_b64 v[8:11], v28 offset0:192 offset1:224
	s_waitcnt lgkmcnt(2)
	v_fmac_f64_e32 v[0:1], v[20:21], v[24:25]
	v_add_u32_e32 v20, 0x3800, v3
	ds_read2_b64 v[12:15], v20 offset1:32
	ds_read_b128 v[16:19], v33 offset:192
	v_fmac_f64_e32 v[0:1], v[22:23], v[26:27]
	s_waitcnt lgkmcnt(2)
	v_fmac_f64_e32 v[0:1], v[8:9], v[4:5]
	v_fmac_f64_e32 v[0:1], v[10:11], v[6:7]
	ds_read_b128 v[4:7], v33 offset:208
	s_waitcnt lgkmcnt(1)
	v_fmac_f64_e32 v[0:1], v[12:13], v[16:17]
	v_fmac_f64_e32 v[0:1], v[14:15], v[18:19]
	ds_read2_b64 v[8:11], v20 offset0:64 offset1:96
	ds_read2_b64 v[12:15], v20 offset0:128 offset1:160
	ds_read_b128 v[16:19], v33 offset:224
	ds_read2_b64 v[20:23], v20 offset0:192 offset1:224
	ds_read_b128 v[24:27], v33 offset:240
	s_mul_hi_u32 s4, s7, s0
	s_waitcnt lgkmcnt(4)
	v_fmac_f64_e32 v[0:1], v[8:9], v[4:5]
	v_fmac_f64_e32 v[0:1], v[10:11], v[6:7]
	s_waitcnt lgkmcnt(2)
	v_fmac_f64_e32 v[0:1], v[12:13], v[16:17]
	v_fmac_f64_e32 v[0:1], v[14:15], v[18:19]
	s_waitcnt lgkmcnt(0)
	v_fmac_f64_e32 v[0:1], v[20:21], v[24:25]
	s_mul_i32 s0, s7, s0
	s_add_i32 s1, s4, s1
	v_fmac_f64_e32 v[0:1], v[22:23], v[26:27]
	s_lshl_b64 s[0:1], s[0:1], 3
	v_mul_f64 v[0:1], v[0:1], s[2:3]
	v_mad_u64_u32 v[4:5], s[2:3], v2, s22, 0
	s_add_u32 s4, s20, s0
	v_mov_b32_e32 v6, v5
	s_addc_u32 s5, s21, s1
	s_lshl_b64 s[0:1], s[8:9], 3
	v_mad_u64_u32 v[6:7], s[2:3], v2, s23, v[6:7]
	s_add_u32 s0, s4, s0
	v_mov_b32_e32 v5, v6
	s_addc_u32 s1, s5, s1
	v_lshlrev_b64 v[4:5], 3, v[4:5]
	v_mov_b32_e32 v2, s1
	v_add_co_u32_e32 v4, vcc, s0, v4
	v_addc_co_u32_e32 v5, vcc, v2, v5, vcc
	v_add_co_u32_e32 v2, vcc, v4, v3
	v_addc_co_u32_e32 v3, vcc, 0, v5, vcc
	global_store_dwordx2 v[2:3], v[0:1], off
.LBB67_15:
	s_endpgm
	.section	.rodata,"a",@progbits
	.p2align	6, 0x0
	.amdhsa_kernel _ZL23rocblas_trmm_rNx_kernelILi32EddKddEv13rocblas_fill_17rocblas_diagonal_iiT1_lPT2_llS5_llPT3_lli
		.amdhsa_group_segment_fixed_size 16384
		.amdhsa_private_segment_fixed_size 0
		.amdhsa_kernarg_size 108
		.amdhsa_user_sgpr_count 6
		.amdhsa_user_sgpr_private_segment_buffer 1
		.amdhsa_user_sgpr_dispatch_ptr 0
		.amdhsa_user_sgpr_queue_ptr 0
		.amdhsa_user_sgpr_kernarg_segment_ptr 1
		.amdhsa_user_sgpr_dispatch_id 0
		.amdhsa_user_sgpr_flat_scratch_init 0
		.amdhsa_user_sgpr_kernarg_preload_length 0
		.amdhsa_user_sgpr_kernarg_preload_offset 0
		.amdhsa_user_sgpr_private_segment_size 0
		.amdhsa_uses_dynamic_stack 0
		.amdhsa_system_sgpr_private_segment_wavefront_offset 0
		.amdhsa_system_sgpr_workgroup_id_x 1
		.amdhsa_system_sgpr_workgroup_id_y 0
		.amdhsa_system_sgpr_workgroup_id_z 1
		.amdhsa_system_sgpr_workgroup_info 0
		.amdhsa_system_vgpr_workitem_id 1
		.amdhsa_next_free_vgpr 34
		.amdhsa_next_free_sgpr 30
		.amdhsa_accum_offset 36
		.amdhsa_reserve_vcc 1
		.amdhsa_reserve_flat_scratch 0
		.amdhsa_float_round_mode_32 0
		.amdhsa_float_round_mode_16_64 0
		.amdhsa_float_denorm_mode_32 3
		.amdhsa_float_denorm_mode_16_64 3
		.amdhsa_dx10_clamp 1
		.amdhsa_ieee_mode 1
		.amdhsa_fp16_overflow 0
		.amdhsa_tg_split 0
		.amdhsa_exception_fp_ieee_invalid_op 0
		.amdhsa_exception_fp_denorm_src 0
		.amdhsa_exception_fp_ieee_div_zero 0
		.amdhsa_exception_fp_ieee_overflow 0
		.amdhsa_exception_fp_ieee_underflow 0
		.amdhsa_exception_fp_ieee_inexact 0
		.amdhsa_exception_int_div_zero 0
	.end_amdhsa_kernel
	.section	.text._ZL23rocblas_trmm_rNx_kernelILi32EddKddEv13rocblas_fill_17rocblas_diagonal_iiT1_lPT2_llS5_llPT3_lli,"axG",@progbits,_ZL23rocblas_trmm_rNx_kernelILi32EddKddEv13rocblas_fill_17rocblas_diagonal_iiT1_lPT2_llS5_llPT3_lli,comdat
.Lfunc_end67:
	.size	_ZL23rocblas_trmm_rNx_kernelILi32EddKddEv13rocblas_fill_17rocblas_diagonal_iiT1_lPT2_llS5_llPT3_lli, .Lfunc_end67-_ZL23rocblas_trmm_rNx_kernelILi32EddKddEv13rocblas_fill_17rocblas_diagonal_iiT1_lPT2_llS5_llPT3_lli
                                        ; -- End function
	.section	.AMDGPU.csdata,"",@progbits
; Kernel info:
; codeLenInByte = 1172
; NumSgprs: 34
; NumVgprs: 34
; NumAgprs: 0
; TotalNumVgprs: 34
; ScratchSize: 0
; MemoryBound: 0
; FloatMode: 240
; IeeeMode: 1
; LDSByteSize: 16384 bytes/workgroup (compile time only)
; SGPRBlocks: 4
; VGPRBlocks: 4
; NumSGPRsForWavesPerEU: 34
; NumVGPRsForWavesPerEU: 34
; AccumOffset: 36
; Occupancy: 8
; WaveLimiterHint : 0
; COMPUTE_PGM_RSRC2:SCRATCH_EN: 0
; COMPUTE_PGM_RSRC2:USER_SGPR: 6
; COMPUTE_PGM_RSRC2:TRAP_HANDLER: 0
; COMPUTE_PGM_RSRC2:TGID_X_EN: 1
; COMPUTE_PGM_RSRC2:TGID_Y_EN: 0
; COMPUTE_PGM_RSRC2:TGID_Z_EN: 1
; COMPUTE_PGM_RSRC2:TIDIG_COMP_CNT: 1
; COMPUTE_PGM_RSRC3_GFX90A:ACCUM_OFFSET: 8
; COMPUTE_PGM_RSRC3_GFX90A:TG_SPLIT: 0
	.section	.text._ZL23rocblas_trmm_rTx_kernelILi32ELb0EdPKdS0_dEv13rocblas_fill_17rocblas_diagonal_iiT2_lPT3_llS6_llPT4_lli,"axG",@progbits,_ZL23rocblas_trmm_rTx_kernelILi32ELb0EdPKdS0_dEv13rocblas_fill_17rocblas_diagonal_iiT2_lPT3_llS6_llPT4_lli,comdat
	.globl	_ZL23rocblas_trmm_rTx_kernelILi32ELb0EdPKdS0_dEv13rocblas_fill_17rocblas_diagonal_iiT2_lPT3_llS6_llPT4_lli ; -- Begin function _ZL23rocblas_trmm_rTx_kernelILi32ELb0EdPKdS0_dEv13rocblas_fill_17rocblas_diagonal_iiT2_lPT3_llS6_llPT4_lli
	.p2align	8
	.type	_ZL23rocblas_trmm_rTx_kernelILi32ELb0EdPKdS0_dEv13rocblas_fill_17rocblas_diagonal_iiT2_lPT3_llS6_llPT4_lli,@function
_ZL23rocblas_trmm_rTx_kernelILi32ELb0EdPKdS0_dEv13rocblas_fill_17rocblas_diagonal_iiT2_lPT3_llS6_llPT4_lli: ; @_ZL23rocblas_trmm_rTx_kernelILi32ELb0EdPKdS0_dEv13rocblas_fill_17rocblas_diagonal_iiT2_lPT3_llS6_llPT4_lli
; %bb.0:
	s_load_dwordx16 s[8:23], s[4:5], 0x10
	s_waitcnt lgkmcnt(0)
	s_mul_i32 s0, s7, s11
	s_mul_hi_u32 s1, s7, s10
	s_add_i32 s1, s1, s0
	s_mul_i32 s0, s7, s10
	s_lshl_b64 s[0:1], s[0:1], 3
	s_add_u32 s0, s8, s0
	s_addc_u32 s1, s9, s1
	s_load_dwordx2 s[24:25], s[0:1], 0x0
	s_waitcnt lgkmcnt(0)
	v_cmp_eq_f64_e64 s[0:1], s[24:25], 0
	s_and_b64 vcc, exec, s[0:1]
	s_cbranch_vccnz .LBB68_15
; %bb.1:
	s_load_dwordx4 s[8:11], s[4:5], 0x0
	s_mov_b32 s0, 0
	v_and_b32_e32 v3, 0x3ff, v0
	v_bfe_u32 v0, v0, 10, 10
	s_mov_b32 s1, s0
	v_lshlrev_b32_e32 v1, 5, v0
	v_pk_mov_b32 v[4:5], s[0:1], s[0:1] op_sel:[0,1]
	s_waitcnt lgkmcnt(0)
	v_cmp_gt_i32_e32 vcc, s11, v0
	v_cmp_gt_i32_e64 s[0:1], s11, v3
	v_add_lshl_u32 v2, v1, v3, 3
	s_and_b64 s[0:1], vcc, s[0:1]
	v_lshlrev_b32_e32 v1, 3, v3
	ds_write2st64_b64 v2, v[4:5], v[4:5] offset1:16
	s_and_saveexec_b64 s[2:3], s[0:1]
	s_cbranch_execz .LBB68_3
; %bb.2:
	s_mul_i32 s0, s7, s17
	s_mul_hi_u32 s1, s7, s16
	s_add_i32 s1, s1, s0
	s_mul_i32 s0, s7, s16
	s_lshl_b64 s[0:1], s[0:1], 3
	s_add_u32 s11, s12, s0
	s_addc_u32 s12, s13, s1
	v_mad_u64_u32 v[4:5], s[0:1], v0, s14, 0
	v_mov_b32_e32 v6, v5
	v_mad_u64_u32 v[6:7], s[0:1], v0, s15, v[6:7]
	v_mov_b32_e32 v5, v6
	v_lshlrev_b64 v[4:5], 3, v[4:5]
	v_mov_b32_e32 v6, s12
	v_add_co_u32_e64 v4, s[0:1], s11, v4
	v_addc_co_u32_e64 v5, s[0:1], v6, v5, s[0:1]
	v_add_co_u32_e64 v4, s[0:1], v4, v1
	v_addc_co_u32_e64 v5, s[0:1], 0, v5, s[0:1]
	global_load_dwordx2 v[4:5], v[4:5], off
	s_waitcnt vmcnt(0)
	ds_write_b64 v2, v[4:5]
.LBB68_3:
	s_or_b64 exec, exec, s[2:3]
	s_add_i32 s0, s10, -1
	s_ashr_i32 s1, s0, 31
	s_lshr_b32 s1, s1, 27
	s_add_i32 s0, s0, s1
	s_ashr_i32 s1, s0, 5
	s_andn2_b32 s0, s0, 31
	s_sub_i32 s0, s10, s0
	s_cmp_ge_i32 s6, s1
	s_cselect_b32 s0, s0, 32
	s_lshl_b32 s10, s6, 5
	v_cmp_gt_i32_e64 s[0:1], s0, v3
	s_ashr_i32 s11, s10, 31
	s_and_b64 s[0:1], vcc, s[0:1]
	s_and_saveexec_b64 s[2:3], s[0:1]
	s_cbranch_execz .LBB68_5
; %bb.4:
	s_mul_i32 s6, s7, s23
	s_mul_hi_u32 s12, s7, s22
	s_add_i32 s13, s12, s6
	s_mul_i32 s12, s7, s22
	s_lshl_b64 s[12:13], s[12:13], 3
	s_add_u32 s6, s18, s12
	s_addc_u32 s14, s19, s13
	s_lshl_b64 s[12:13], s[10:11], 3
	s_add_u32 s6, s6, s12
	s_addc_u32 s14, s14, s13
	v_mad_u64_u32 v[4:5], s[12:13], v0, s20, 0
	v_mov_b32_e32 v6, v5
	v_mad_u64_u32 v[6:7], s[12:13], v0, s21, v[6:7]
	v_mov_b32_e32 v5, v6
	v_lshlrev_b64 v[4:5], 3, v[4:5]
	v_mov_b32_e32 v6, s14
	v_add_co_u32_e32 v4, vcc, s6, v4
	v_addc_co_u32_e32 v5, vcc, v6, v5, vcc
	v_add_co_u32_e32 v4, vcc, v4, v1
	v_addc_co_u32_e32 v5, vcc, 0, v5, vcc
	global_load_dwordx2 v[4:5], v[4:5], off
	v_add_u32_e32 v6, 0x2000, v2
	s_waitcnt vmcnt(0)
	ds_write_b64 v6, v[4:5]
.LBB68_5:
	s_or_b64 exec, exec, s[2:3]
	s_cmpk_eq_i32 s9, 0x84
	s_cselect_b64 s[2:3], -1, 0
	v_cmp_eq_u32_e32 vcc, v0, v3
	s_and_b64 s[12:13], vcc, s[2:3]
	s_and_saveexec_b64 s[2:3], s[12:13]
	s_cbranch_execz .LBB68_7
; %bb.6:
	v_mov_b32_e32 v4, 0
	v_mov_b32_e32 v5, 0x3ff00000
	ds_write_b64 v2, v[4:5]
.LBB68_7:
	s_or_b64 exec, exec, s[2:3]
	s_cmpk_lg_i32 s8, 0x79
	s_cbranch_scc0 .LBB68_9
; %bb.8:
	v_cmp_lt_u32_e32 vcc, v3, v0
	s_and_b64 s[2:3], vcc, exec
	s_cbranch_execz .LBB68_10
	s_branch .LBB68_11
.LBB68_9:
	s_mov_b64 s[2:3], 0
.LBB68_10:
	v_cmp_gt_u32_e32 vcc, v3, v0
	s_andn2_b64 s[2:3], s[2:3], exec
	s_and_b64 s[8:9], vcc, exec
	s_or_b64 s[2:3], s[2:3], s[8:9]
.LBB68_11:
	s_and_saveexec_b64 s[8:9], s[2:3]
	s_cbranch_execz .LBB68_13
; %bb.12:
	v_mov_b32_e32 v4, 0
	v_mov_b32_e32 v5, v4
	ds_write_b64 v2, v[4:5]
.LBB68_13:
	s_or_b64 exec, exec, s[8:9]
	s_waitcnt lgkmcnt(0)
	s_barrier
	s_and_saveexec_b64 s[2:3], s[0:1]
	s_cbranch_execz .LBB68_15
; %bb.14:
	v_add_u32_e32 v18, 0x2000, v1
	v_lshlrev_b32_e32 v28, 3, v0
	s_load_dwordx2 s[8:9], s[4:5], 0x60
	s_load_dwordx4 s[0:3], s[4:5], 0x50
	ds_read2_b64 v[2:5], v18 offset1:32
	ds_read2_b64 v[6:9], v28 offset1:32
	v_add_u32_e32 v29, 0x2800, v1
	v_add_u32_e32 v30, 0x800, v28
	s_waitcnt lgkmcnt(0)
	s_mul_i32 s5, s7, s9
	s_mul_hi_u32 s6, s7, s8
	v_fma_f64 v[26:27], v[2:3], v[6:7], 0
	v_fmac_f64_e32 v[26:27], v[4:5], v[8:9]
	ds_read2_b64 v[2:5], v18 offset0:64 offset1:96
	ds_read2_b64 v[6:9], v28 offset0:64 offset1:96
	;; [unrolled: 1-line block ×6, first 2 shown]
	s_waitcnt lgkmcnt(4)
	v_fmac_f64_e32 v[26:27], v[2:3], v[6:7]
	v_fmac_f64_e32 v[26:27], v[4:5], v[8:9]
	ds_read2_b64 v[2:5], v29 offset1:32
	s_waitcnt lgkmcnt(3)
	v_fmac_f64_e32 v[26:27], v[10:11], v[14:15]
	v_fmac_f64_e32 v[26:27], v[12:13], v[16:17]
	s_waitcnt lgkmcnt(1)
	v_fmac_f64_e32 v[26:27], v[18:19], v[22:23]
	v_fmac_f64_e32 v[26:27], v[20:21], v[24:25]
	ds_read2_b64 v[6:9], v30 offset1:32
	ds_read2_b64 v[10:13], v29 offset0:64 offset1:96
	ds_read2_b64 v[14:17], v30 offset0:64 offset1:96
	;; [unrolled: 1-line block ×4, first 2 shown]
	s_waitcnt lgkmcnt(4)
	v_fmac_f64_e32 v[26:27], v[2:3], v[6:7]
	v_fmac_f64_e32 v[26:27], v[4:5], v[8:9]
	ds_read2_b64 v[2:5], v29 offset0:192 offset1:224
	ds_read2_b64 v[6:9], v30 offset0:192 offset1:224
	s_waitcnt lgkmcnt(4)
	v_fmac_f64_e32 v[26:27], v[10:11], v[14:15]
	v_add_u32_e32 v29, 0x3000, v1
	v_fmac_f64_e32 v[26:27], v[12:13], v[16:17]
	ds_read2_b64 v[10:13], v29 offset1:32
	s_waitcnt lgkmcnt(3)
	v_fmac_f64_e32 v[26:27], v[18:19], v[22:23]
	v_add_u32_e32 v30, 0x1000, v28
	v_fmac_f64_e32 v[26:27], v[20:21], v[24:25]
	ds_read2_b64 v[14:17], v30 offset1:32
	ds_read2_b64 v[18:21], v29 offset0:64 offset1:96
	ds_read2_b64 v[22:25], v30 offset0:64 offset1:96
	s_waitcnt lgkmcnt(4)
	v_fmac_f64_e32 v[26:27], v[2:3], v[6:7]
	v_fmac_f64_e32 v[26:27], v[4:5], v[8:9]
	s_waitcnt lgkmcnt(2)
	v_fmac_f64_e32 v[26:27], v[10:11], v[14:15]
	v_fmac_f64_e32 v[26:27], v[12:13], v[16:17]
	ds_read2_b64 v[2:5], v29 offset0:128 offset1:160
	ds_read2_b64 v[6:9], v30 offset0:128 offset1:160
	;; [unrolled: 1-line block ×4, first 2 shown]
	s_waitcnt lgkmcnt(4)
	v_fmac_f64_e32 v[26:27], v[18:19], v[22:23]
	v_add_u32_e32 v29, 0x3800, v1
	v_add_u32_e32 v28, 0x1800, v28
	v_fmac_f64_e32 v[26:27], v[20:21], v[24:25]
	ds_read2_b64 v[18:21], v29 offset1:32
	ds_read2_b64 v[22:25], v28 offset1:32
	s_waitcnt lgkmcnt(4)
	v_fmac_f64_e32 v[26:27], v[2:3], v[6:7]
	v_fmac_f64_e32 v[26:27], v[4:5], v[8:9]
	s_mul_i32 s4, s7, s8
	s_add_i32 s5, s6, s5
	s_waitcnt lgkmcnt(2)
	v_fmac_f64_e32 v[26:27], v[10:11], v[14:15]
	s_lshl_b64 s[4:5], s[4:5], 3
	v_fmac_f64_e32 v[26:27], v[12:13], v[16:17]
	s_add_u32 s4, s0, s4
	s_waitcnt lgkmcnt(0)
	v_fmac_f64_e32 v[26:27], v[18:19], v[22:23]
	s_addc_u32 s5, s1, s5
	s_lshl_b64 s[0:1], s[10:11], 3
	v_fmac_f64_e32 v[26:27], v[20:21], v[24:25]
	ds_read2_b64 v[2:5], v29 offset0:64 offset1:96
	ds_read2_b64 v[6:9], v28 offset0:64 offset1:96
	ds_read2_b64 v[10:13], v29 offset0:128 offset1:160
	ds_read2_b64 v[14:17], v28 offset0:128 offset1:160
	ds_read2_b64 v[18:21], v29 offset0:192 offset1:224
	ds_read2_b64 v[22:25], v28 offset0:192 offset1:224
	s_add_u32 s4, s4, s0
	s_waitcnt lgkmcnt(4)
	v_fmac_f64_e32 v[26:27], v[2:3], v[6:7]
	s_addc_u32 s5, s5, s1
	v_fmac_f64_e32 v[26:27], v[4:5], v[8:9]
	v_mad_u64_u32 v[4:5], s[0:1], v0, s2, 0
	v_mov_b32_e32 v6, v5
	v_mad_u64_u32 v[6:7], s[0:1], v0, s3, v[6:7]
	v_mov_b32_e32 v5, v6
	s_waitcnt lgkmcnt(2)
	v_fmac_f64_e32 v[26:27], v[10:11], v[14:15]
	v_lshlrev_b64 v[4:5], 3, v[4:5]
	v_fmac_f64_e32 v[26:27], v[12:13], v[16:17]
	v_mov_b32_e32 v0, s5
	v_add_co_u32_e32 v4, vcc, s4, v4
	s_waitcnt lgkmcnt(0)
	v_fmac_f64_e32 v[26:27], v[18:19], v[22:23]
	v_addc_co_u32_e32 v5, vcc, v0, v5, vcc
	v_fmac_f64_e32 v[26:27], v[20:21], v[24:25]
	v_add_co_u32_e32 v0, vcc, v4, v1
	v_mul_f64 v[2:3], s[24:25], v[26:27]
	v_addc_co_u32_e32 v1, vcc, 0, v5, vcc
	global_store_dwordx2 v[0:1], v[2:3], off
.LBB68_15:
	s_endpgm
	.section	.rodata,"a",@progbits
	.p2align	6, 0x0
	.amdhsa_kernel _ZL23rocblas_trmm_rTx_kernelILi32ELb0EdPKdS0_dEv13rocblas_fill_17rocblas_diagonal_iiT2_lPT3_llS6_llPT4_lli
		.amdhsa_group_segment_fixed_size 16384
		.amdhsa_private_segment_fixed_size 0
		.amdhsa_kernarg_size 108
		.amdhsa_user_sgpr_count 6
		.amdhsa_user_sgpr_private_segment_buffer 1
		.amdhsa_user_sgpr_dispatch_ptr 0
		.amdhsa_user_sgpr_queue_ptr 0
		.amdhsa_user_sgpr_kernarg_segment_ptr 1
		.amdhsa_user_sgpr_dispatch_id 0
		.amdhsa_user_sgpr_flat_scratch_init 0
		.amdhsa_user_sgpr_kernarg_preload_length 0
		.amdhsa_user_sgpr_kernarg_preload_offset 0
		.amdhsa_user_sgpr_private_segment_size 0
		.amdhsa_uses_dynamic_stack 0
		.amdhsa_system_sgpr_private_segment_wavefront_offset 0
		.amdhsa_system_sgpr_workgroup_id_x 1
		.amdhsa_system_sgpr_workgroup_id_y 0
		.amdhsa_system_sgpr_workgroup_id_z 1
		.amdhsa_system_sgpr_workgroup_info 0
		.amdhsa_system_vgpr_workitem_id 1
		.amdhsa_next_free_vgpr 31
		.amdhsa_next_free_sgpr 26
		.amdhsa_accum_offset 32
		.amdhsa_reserve_vcc 1
		.amdhsa_reserve_flat_scratch 0
		.amdhsa_float_round_mode_32 0
		.amdhsa_float_round_mode_16_64 0
		.amdhsa_float_denorm_mode_32 3
		.amdhsa_float_denorm_mode_16_64 3
		.amdhsa_dx10_clamp 1
		.amdhsa_ieee_mode 1
		.amdhsa_fp16_overflow 0
		.amdhsa_tg_split 0
		.amdhsa_exception_fp_ieee_invalid_op 0
		.amdhsa_exception_fp_denorm_src 0
		.amdhsa_exception_fp_ieee_div_zero 0
		.amdhsa_exception_fp_ieee_overflow 0
		.amdhsa_exception_fp_ieee_underflow 0
		.amdhsa_exception_fp_ieee_inexact 0
		.amdhsa_exception_int_div_zero 0
	.end_amdhsa_kernel
	.section	.text._ZL23rocblas_trmm_rTx_kernelILi32ELb0EdPKdS0_dEv13rocblas_fill_17rocblas_diagonal_iiT2_lPT3_llS6_llPT4_lli,"axG",@progbits,_ZL23rocblas_trmm_rTx_kernelILi32ELb0EdPKdS0_dEv13rocblas_fill_17rocblas_diagonal_iiT2_lPT3_llS6_llPT4_lli,comdat
.Lfunc_end68:
	.size	_ZL23rocblas_trmm_rTx_kernelILi32ELb0EdPKdS0_dEv13rocblas_fill_17rocblas_diagonal_iiT2_lPT3_llS6_llPT4_lli, .Lfunc_end68-_ZL23rocblas_trmm_rTx_kernelILi32ELb0EdPKdS0_dEv13rocblas_fill_17rocblas_diagonal_iiT2_lPT3_llS6_llPT4_lli
                                        ; -- End function
	.section	.AMDGPU.csdata,"",@progbits
; Kernel info:
; codeLenInByte = 1244
; NumSgprs: 30
; NumVgprs: 31
; NumAgprs: 0
; TotalNumVgprs: 31
; ScratchSize: 0
; MemoryBound: 0
; FloatMode: 240
; IeeeMode: 1
; LDSByteSize: 16384 bytes/workgroup (compile time only)
; SGPRBlocks: 3
; VGPRBlocks: 3
; NumSGPRsForWavesPerEU: 30
; NumVGPRsForWavesPerEU: 31
; AccumOffset: 32
; Occupancy: 8
; WaveLimiterHint : 0
; COMPUTE_PGM_RSRC2:SCRATCH_EN: 0
; COMPUTE_PGM_RSRC2:USER_SGPR: 6
; COMPUTE_PGM_RSRC2:TRAP_HANDLER: 0
; COMPUTE_PGM_RSRC2:TGID_X_EN: 1
; COMPUTE_PGM_RSRC2:TGID_Y_EN: 0
; COMPUTE_PGM_RSRC2:TGID_Z_EN: 1
; COMPUTE_PGM_RSRC2:TIDIG_COMP_CNT: 1
; COMPUTE_PGM_RSRC3_GFX90A:ACCUM_OFFSET: 7
; COMPUTE_PGM_RSRC3_GFX90A:TG_SPLIT: 0
	.section	.text._ZL23rocblas_trmm_rTx_kernelILi32ELb0EddKddEv13rocblas_fill_17rocblas_diagonal_iiT2_lPT3_llS5_llPT4_lli,"axG",@progbits,_ZL23rocblas_trmm_rTx_kernelILi32ELb0EddKddEv13rocblas_fill_17rocblas_diagonal_iiT2_lPT3_llS5_llPT4_lli,comdat
	.globl	_ZL23rocblas_trmm_rTx_kernelILi32ELb0EddKddEv13rocblas_fill_17rocblas_diagonal_iiT2_lPT3_llS5_llPT4_lli ; -- Begin function _ZL23rocblas_trmm_rTx_kernelILi32ELb0EddKddEv13rocblas_fill_17rocblas_diagonal_iiT2_lPT3_llS5_llPT4_lli
	.p2align	8
	.type	_ZL23rocblas_trmm_rTx_kernelILi32ELb0EddKddEv13rocblas_fill_17rocblas_diagonal_iiT2_lPT3_llS5_llPT4_lli,@function
_ZL23rocblas_trmm_rTx_kernelILi32ELb0EddKddEv13rocblas_fill_17rocblas_diagonal_iiT2_lPT3_llS5_llPT4_lli: ; @_ZL23rocblas_trmm_rTx_kernelILi32ELb0EddKddEv13rocblas_fill_17rocblas_diagonal_iiT2_lPT3_llS5_llPT4_lli
; %bb.0:
	s_load_dwordx2 s[2:3], s[4:5], 0x10
	s_waitcnt lgkmcnt(0)
	v_cmp_eq_f64_e64 s[0:1], s[2:3], 0
	s_and_b64 vcc, exec, s[0:1]
	s_cbranch_vccnz .LBB69_15
; %bb.1:
	s_load_dwordx4 s[24:27], s[4:5], 0x0
	s_load_dwordx16 s[8:23], s[4:5], 0x20
	s_mov_b32 s0, 0
	v_and_b32_e32 v3, 0x3ff, v0
	v_bfe_u32 v0, v0, 10, 10
	s_mov_b32 s1, s0
	v_lshlrev_b32_e32 v1, 5, v0
	v_pk_mov_b32 v[4:5], s[0:1], s[0:1] op_sel:[0,1]
	s_waitcnt lgkmcnt(0)
	v_cmp_gt_i32_e32 vcc, s27, v0
	v_cmp_gt_i32_e64 s[0:1], s27, v3
	v_add_lshl_u32 v2, v1, v3, 3
	s_and_b64 s[0:1], vcc, s[0:1]
	v_lshlrev_b32_e32 v1, 3, v3
	ds_write2st64_b64 v2, v[4:5], v[4:5] offset1:16
	s_and_saveexec_b64 s[28:29], s[0:1]
	s_cbranch_execz .LBB69_3
; %bb.2:
	s_mul_i32 s0, s7, s13
	s_mul_hi_u32 s1, s7, s12
	s_add_i32 s1, s1, s0
	s_mul_i32 s0, s7, s12
	s_lshl_b64 s[0:1], s[0:1], 3
	s_add_u32 s8, s8, s0
	s_addc_u32 s9, s9, s1
	v_mad_u64_u32 v[4:5], s[0:1], v0, s10, 0
	v_mov_b32_e32 v6, v5
	v_mad_u64_u32 v[6:7], s[0:1], v0, s11, v[6:7]
	v_mov_b32_e32 v5, v6
	v_lshlrev_b64 v[4:5], 3, v[4:5]
	v_mov_b32_e32 v6, s9
	v_add_co_u32_e64 v4, s[0:1], s8, v4
	v_addc_co_u32_e64 v5, s[0:1], v6, v5, s[0:1]
	v_add_co_u32_e64 v4, s[0:1], v4, v1
	v_addc_co_u32_e64 v5, s[0:1], 0, v5, s[0:1]
	global_load_dwordx2 v[4:5], v[4:5], off
	s_waitcnt vmcnt(0)
	ds_write_b64 v2, v[4:5]
.LBB69_3:
	s_or_b64 exec, exec, s[28:29]
	s_add_i32 s0, s26, -1
	s_ashr_i32 s1, s0, 31
	s_lshr_b32 s1, s1, 27
	s_add_i32 s0, s0, s1
	s_ashr_i32 s1, s0, 5
	s_andn2_b32 s0, s0, 31
	s_sub_i32 s0, s26, s0
	s_cmp_ge_i32 s6, s1
	s_cselect_b32 s0, s0, 32
	s_lshl_b32 s8, s6, 5
	v_cmp_gt_i32_e64 s[0:1], s0, v3
	s_ashr_i32 s9, s8, 31
	s_and_b64 s[0:1], vcc, s[0:1]
	s_and_saveexec_b64 s[10:11], s[0:1]
	s_cbranch_execz .LBB69_5
; %bb.4:
	s_mul_i32 s6, s7, s19
	s_mul_hi_u32 s12, s7, s18
	s_add_i32 s13, s12, s6
	s_mul_i32 s12, s7, s18
	s_lshl_b64 s[12:13], s[12:13], 3
	s_add_u32 s6, s14, s12
	s_addc_u32 s14, s15, s13
	s_lshl_b64 s[12:13], s[8:9], 3
	s_add_u32 s6, s6, s12
	s_addc_u32 s14, s14, s13
	v_mad_u64_u32 v[4:5], s[12:13], v0, s16, 0
	v_mov_b32_e32 v6, v5
	v_mad_u64_u32 v[6:7], s[12:13], v0, s17, v[6:7]
	v_mov_b32_e32 v5, v6
	v_lshlrev_b64 v[4:5], 3, v[4:5]
	v_mov_b32_e32 v6, s14
	v_add_co_u32_e32 v4, vcc, s6, v4
	v_addc_co_u32_e32 v5, vcc, v6, v5, vcc
	v_add_co_u32_e32 v4, vcc, v4, v1
	v_addc_co_u32_e32 v5, vcc, 0, v5, vcc
	global_load_dwordx2 v[4:5], v[4:5], off
	v_add_u32_e32 v6, 0x2000, v2
	s_waitcnt vmcnt(0)
	ds_write_b64 v6, v[4:5]
.LBB69_5:
	s_or_b64 exec, exec, s[10:11]
	s_cmpk_eq_i32 s25, 0x84
	s_cselect_b64 s[10:11], -1, 0
	v_cmp_eq_u32_e32 vcc, v0, v3
	s_and_b64 s[12:13], vcc, s[10:11]
	s_and_saveexec_b64 s[10:11], s[12:13]
	s_cbranch_execz .LBB69_7
; %bb.6:
	v_mov_b32_e32 v4, 0
	v_mov_b32_e32 v5, 0x3ff00000
	ds_write_b64 v2, v[4:5]
.LBB69_7:
	s_or_b64 exec, exec, s[10:11]
	s_cmpk_lg_i32 s24, 0x79
	s_cbranch_scc0 .LBB69_9
; %bb.8:
	v_cmp_lt_u32_e32 vcc, v3, v0
	s_and_b64 s[10:11], vcc, exec
	s_cbranch_execz .LBB69_10
	s_branch .LBB69_11
.LBB69_9:
	s_mov_b64 s[10:11], 0
.LBB69_10:
	v_cmp_gt_u32_e32 vcc, v3, v0
	s_andn2_b64 s[10:11], s[10:11], exec
	s_and_b64 s[12:13], vcc, exec
	s_or_b64 s[10:11], s[10:11], s[12:13]
.LBB69_11:
	s_and_saveexec_b64 s[12:13], s[10:11]
	s_cbranch_execz .LBB69_13
; %bb.12:
	v_mov_b32_e32 v4, 0
	v_mov_b32_e32 v5, v4
	ds_write_b64 v2, v[4:5]
.LBB69_13:
	s_or_b64 exec, exec, s[12:13]
	s_waitcnt lgkmcnt(0)
	s_barrier
	s_and_saveexec_b64 s[10:11], s[0:1]
	s_cbranch_execz .LBB69_15
; %bb.14:
	v_add_u32_e32 v18, 0x2000, v1
	v_lshlrev_b32_e32 v28, 3, v0
	ds_read2_b64 v[2:5], v18 offset1:32
	ds_read2_b64 v[6:9], v28 offset1:32
	v_add_u32_e32 v29, 0x2800, v1
	v_add_u32_e32 v30, 0x800, v28
	s_load_dwordx2 s[0:1], s[4:5], 0x60
	s_waitcnt lgkmcnt(0)
	v_fma_f64 v[26:27], v[2:3], v[6:7], 0
	v_fmac_f64_e32 v[26:27], v[4:5], v[8:9]
	ds_read2_b64 v[2:5], v18 offset0:64 offset1:96
	ds_read2_b64 v[6:9], v28 offset0:64 offset1:96
	;; [unrolled: 1-line block ×6, first 2 shown]
	s_waitcnt lgkmcnt(4)
	v_fmac_f64_e32 v[26:27], v[2:3], v[6:7]
	v_fmac_f64_e32 v[26:27], v[4:5], v[8:9]
	ds_read2_b64 v[2:5], v29 offset1:32
	s_waitcnt lgkmcnt(3)
	v_fmac_f64_e32 v[26:27], v[10:11], v[14:15]
	v_fmac_f64_e32 v[26:27], v[12:13], v[16:17]
	s_waitcnt lgkmcnt(1)
	v_fmac_f64_e32 v[26:27], v[18:19], v[22:23]
	v_fmac_f64_e32 v[26:27], v[20:21], v[24:25]
	ds_read2_b64 v[6:9], v30 offset1:32
	ds_read2_b64 v[10:13], v29 offset0:64 offset1:96
	ds_read2_b64 v[14:17], v30 offset0:64 offset1:96
	;; [unrolled: 1-line block ×4, first 2 shown]
	s_waitcnt lgkmcnt(4)
	v_fmac_f64_e32 v[26:27], v[2:3], v[6:7]
	v_fmac_f64_e32 v[26:27], v[4:5], v[8:9]
	ds_read2_b64 v[2:5], v29 offset0:192 offset1:224
	ds_read2_b64 v[6:9], v30 offset0:192 offset1:224
	s_waitcnt lgkmcnt(4)
	v_fmac_f64_e32 v[26:27], v[10:11], v[14:15]
	v_add_u32_e32 v29, 0x3000, v1
	v_fmac_f64_e32 v[26:27], v[12:13], v[16:17]
	ds_read2_b64 v[10:13], v29 offset1:32
	s_waitcnt lgkmcnt(3)
	v_fmac_f64_e32 v[26:27], v[18:19], v[22:23]
	v_add_u32_e32 v30, 0x1000, v28
	v_fmac_f64_e32 v[26:27], v[20:21], v[24:25]
	ds_read2_b64 v[14:17], v30 offset1:32
	ds_read2_b64 v[18:21], v29 offset0:64 offset1:96
	ds_read2_b64 v[22:25], v30 offset0:64 offset1:96
	s_waitcnt lgkmcnt(4)
	v_fmac_f64_e32 v[26:27], v[2:3], v[6:7]
	v_fmac_f64_e32 v[26:27], v[4:5], v[8:9]
	s_waitcnt lgkmcnt(2)
	v_fmac_f64_e32 v[26:27], v[10:11], v[14:15]
	v_fmac_f64_e32 v[26:27], v[12:13], v[16:17]
	ds_read2_b64 v[2:5], v29 offset0:128 offset1:160
	ds_read2_b64 v[6:9], v30 offset0:128 offset1:160
	;; [unrolled: 1-line block ×4, first 2 shown]
	s_waitcnt lgkmcnt(4)
	v_fmac_f64_e32 v[26:27], v[18:19], v[22:23]
	v_add_u32_e32 v29, 0x3800, v1
	v_add_u32_e32 v28, 0x1800, v28
	v_fmac_f64_e32 v[26:27], v[20:21], v[24:25]
	ds_read2_b64 v[18:21], v29 offset1:32
	ds_read2_b64 v[22:25], v28 offset1:32
	s_waitcnt lgkmcnt(4)
	v_fmac_f64_e32 v[26:27], v[2:3], v[6:7]
	s_mul_i32 s1, s7, s1
	s_mul_hi_u32 s4, s7, s0
	v_fmac_f64_e32 v[26:27], v[4:5], v[8:9]
	s_mul_i32 s0, s7, s0
	s_add_i32 s1, s4, s1
	s_waitcnt lgkmcnt(2)
	v_fmac_f64_e32 v[26:27], v[10:11], v[14:15]
	s_lshl_b64 s[0:1], s[0:1], 3
	v_fmac_f64_e32 v[26:27], v[12:13], v[16:17]
	s_add_u32 s4, s20, s0
	s_waitcnt lgkmcnt(0)
	v_fmac_f64_e32 v[26:27], v[18:19], v[22:23]
	s_addc_u32 s5, s21, s1
	s_lshl_b64 s[0:1], s[8:9], 3
	v_fmac_f64_e32 v[26:27], v[20:21], v[24:25]
	ds_read2_b64 v[2:5], v29 offset0:64 offset1:96
	ds_read2_b64 v[6:9], v28 offset0:64 offset1:96
	;; [unrolled: 1-line block ×6, first 2 shown]
	s_add_u32 s4, s4, s0
	s_waitcnt lgkmcnt(4)
	v_fmac_f64_e32 v[26:27], v[2:3], v[6:7]
	s_addc_u32 s5, s5, s1
	v_fmac_f64_e32 v[26:27], v[4:5], v[8:9]
	v_mad_u64_u32 v[4:5], s[0:1], v0, s22, 0
	v_mov_b32_e32 v6, v5
	v_mad_u64_u32 v[6:7], s[0:1], v0, s23, v[6:7]
	v_mov_b32_e32 v5, v6
	s_waitcnt lgkmcnt(2)
	v_fmac_f64_e32 v[26:27], v[10:11], v[14:15]
	v_lshlrev_b64 v[4:5], 3, v[4:5]
	v_fmac_f64_e32 v[26:27], v[12:13], v[16:17]
	v_mov_b32_e32 v0, s5
	v_add_co_u32_e32 v4, vcc, s4, v4
	s_waitcnt lgkmcnt(0)
	v_fmac_f64_e32 v[26:27], v[18:19], v[22:23]
	v_addc_co_u32_e32 v5, vcc, v0, v5, vcc
	v_fmac_f64_e32 v[26:27], v[20:21], v[24:25]
	v_add_co_u32_e32 v0, vcc, v4, v1
	v_mul_f64 v[2:3], v[26:27], s[2:3]
	v_addc_co_u32_e32 v1, vcc, 0, v5, vcc
	global_store_dwordx2 v[0:1], v[2:3], off
.LBB69_15:
	s_endpgm
	.section	.rodata,"a",@progbits
	.p2align	6, 0x0
	.amdhsa_kernel _ZL23rocblas_trmm_rTx_kernelILi32ELb0EddKddEv13rocblas_fill_17rocblas_diagonal_iiT2_lPT3_llS5_llPT4_lli
		.amdhsa_group_segment_fixed_size 16384
		.amdhsa_private_segment_fixed_size 0
		.amdhsa_kernarg_size 108
		.amdhsa_user_sgpr_count 6
		.amdhsa_user_sgpr_private_segment_buffer 1
		.amdhsa_user_sgpr_dispatch_ptr 0
		.amdhsa_user_sgpr_queue_ptr 0
		.amdhsa_user_sgpr_kernarg_segment_ptr 1
		.amdhsa_user_sgpr_dispatch_id 0
		.amdhsa_user_sgpr_flat_scratch_init 0
		.amdhsa_user_sgpr_kernarg_preload_length 0
		.amdhsa_user_sgpr_kernarg_preload_offset 0
		.amdhsa_user_sgpr_private_segment_size 0
		.amdhsa_uses_dynamic_stack 0
		.amdhsa_system_sgpr_private_segment_wavefront_offset 0
		.amdhsa_system_sgpr_workgroup_id_x 1
		.amdhsa_system_sgpr_workgroup_id_y 0
		.amdhsa_system_sgpr_workgroup_id_z 1
		.amdhsa_system_sgpr_workgroup_info 0
		.amdhsa_system_vgpr_workitem_id 1
		.amdhsa_next_free_vgpr 31
		.amdhsa_next_free_sgpr 30
		.amdhsa_accum_offset 32
		.amdhsa_reserve_vcc 1
		.amdhsa_reserve_flat_scratch 0
		.amdhsa_float_round_mode_32 0
		.amdhsa_float_round_mode_16_64 0
		.amdhsa_float_denorm_mode_32 3
		.amdhsa_float_denorm_mode_16_64 3
		.amdhsa_dx10_clamp 1
		.amdhsa_ieee_mode 1
		.amdhsa_fp16_overflow 0
		.amdhsa_tg_split 0
		.amdhsa_exception_fp_ieee_invalid_op 0
		.amdhsa_exception_fp_denorm_src 0
		.amdhsa_exception_fp_ieee_div_zero 0
		.amdhsa_exception_fp_ieee_overflow 0
		.amdhsa_exception_fp_ieee_underflow 0
		.amdhsa_exception_fp_ieee_inexact 0
		.amdhsa_exception_int_div_zero 0
	.end_amdhsa_kernel
	.section	.text._ZL23rocblas_trmm_rTx_kernelILi32ELb0EddKddEv13rocblas_fill_17rocblas_diagonal_iiT2_lPT3_llS5_llPT4_lli,"axG",@progbits,_ZL23rocblas_trmm_rTx_kernelILi32ELb0EddKddEv13rocblas_fill_17rocblas_diagonal_iiT2_lPT3_llS5_llPT4_lli,comdat
.Lfunc_end69:
	.size	_ZL23rocblas_trmm_rTx_kernelILi32ELb0EddKddEv13rocblas_fill_17rocblas_diagonal_iiT2_lPT3_llS5_llPT4_lli, .Lfunc_end69-_ZL23rocblas_trmm_rTx_kernelILi32ELb0EddKddEv13rocblas_fill_17rocblas_diagonal_iiT2_lPT3_llS5_llPT4_lli
                                        ; -- End function
	.section	.AMDGPU.csdata,"",@progbits
; Kernel info:
; codeLenInByte = 1204
; NumSgprs: 34
; NumVgprs: 31
; NumAgprs: 0
; TotalNumVgprs: 31
; ScratchSize: 0
; MemoryBound: 0
; FloatMode: 240
; IeeeMode: 1
; LDSByteSize: 16384 bytes/workgroup (compile time only)
; SGPRBlocks: 4
; VGPRBlocks: 3
; NumSGPRsForWavesPerEU: 34
; NumVGPRsForWavesPerEU: 31
; AccumOffset: 32
; Occupancy: 8
; WaveLimiterHint : 0
; COMPUTE_PGM_RSRC2:SCRATCH_EN: 0
; COMPUTE_PGM_RSRC2:USER_SGPR: 6
; COMPUTE_PGM_RSRC2:TRAP_HANDLER: 0
; COMPUTE_PGM_RSRC2:TGID_X_EN: 1
; COMPUTE_PGM_RSRC2:TGID_Y_EN: 0
; COMPUTE_PGM_RSRC2:TGID_Z_EN: 1
; COMPUTE_PGM_RSRC2:TIDIG_COMP_CNT: 1
; COMPUTE_PGM_RSRC3_GFX90A:ACCUM_OFFSET: 7
; COMPUTE_PGM_RSRC3_GFX90A:TG_SPLIT: 0
	.section	.text._ZL23rocblas_trmm_rTx_kernelILi32ELb1EdPKdS0_dEv13rocblas_fill_17rocblas_diagonal_iiT2_lPT3_llS6_llPT4_lli,"axG",@progbits,_ZL23rocblas_trmm_rTx_kernelILi32ELb1EdPKdS0_dEv13rocblas_fill_17rocblas_diagonal_iiT2_lPT3_llS6_llPT4_lli,comdat
	.globl	_ZL23rocblas_trmm_rTx_kernelILi32ELb1EdPKdS0_dEv13rocblas_fill_17rocblas_diagonal_iiT2_lPT3_llS6_llPT4_lli ; -- Begin function _ZL23rocblas_trmm_rTx_kernelILi32ELb1EdPKdS0_dEv13rocblas_fill_17rocblas_diagonal_iiT2_lPT3_llS6_llPT4_lli
	.p2align	8
	.type	_ZL23rocblas_trmm_rTx_kernelILi32ELb1EdPKdS0_dEv13rocblas_fill_17rocblas_diagonal_iiT2_lPT3_llS6_llPT4_lli,@function
_ZL23rocblas_trmm_rTx_kernelILi32ELb1EdPKdS0_dEv13rocblas_fill_17rocblas_diagonal_iiT2_lPT3_llS6_llPT4_lli: ; @_ZL23rocblas_trmm_rTx_kernelILi32ELb1EdPKdS0_dEv13rocblas_fill_17rocblas_diagonal_iiT2_lPT3_llS6_llPT4_lli
; %bb.0:
	s_load_dwordx16 s[8:23], s[4:5], 0x10
	s_waitcnt lgkmcnt(0)
	s_mul_i32 s0, s7, s11
	s_mul_hi_u32 s1, s7, s10
	s_add_i32 s1, s1, s0
	s_mul_i32 s0, s7, s10
	s_lshl_b64 s[0:1], s[0:1], 3
	s_add_u32 s0, s8, s0
	s_addc_u32 s1, s9, s1
	s_load_dwordx2 s[24:25], s[0:1], 0x0
	s_waitcnt lgkmcnt(0)
	v_cmp_eq_f64_e64 s[0:1], s[24:25], 0
	s_and_b64 vcc, exec, s[0:1]
	s_cbranch_vccnz .LBB70_15
; %bb.1:
	s_load_dwordx4 s[8:11], s[4:5], 0x0
	s_mov_b32 s0, 0
	v_and_b32_e32 v3, 0x3ff, v0
	v_bfe_u32 v0, v0, 10, 10
	s_mov_b32 s1, s0
	v_lshlrev_b32_e32 v1, 5, v0
	v_pk_mov_b32 v[4:5], s[0:1], s[0:1] op_sel:[0,1]
	s_waitcnt lgkmcnt(0)
	v_cmp_gt_i32_e32 vcc, s11, v0
	v_cmp_gt_i32_e64 s[0:1], s11, v3
	v_add_lshl_u32 v2, v1, v3, 3
	s_and_b64 s[0:1], vcc, s[0:1]
	v_lshlrev_b32_e32 v1, 3, v3
	ds_write2st64_b64 v2, v[4:5], v[4:5] offset1:16
	s_and_saveexec_b64 s[2:3], s[0:1]
	s_cbranch_execz .LBB70_3
; %bb.2:
	s_mul_i32 s0, s7, s17
	s_mul_hi_u32 s1, s7, s16
	s_add_i32 s1, s1, s0
	s_mul_i32 s0, s7, s16
	s_lshl_b64 s[0:1], s[0:1], 3
	s_add_u32 s11, s12, s0
	s_addc_u32 s12, s13, s1
	v_mad_u64_u32 v[4:5], s[0:1], v0, s14, 0
	v_mov_b32_e32 v6, v5
	v_mad_u64_u32 v[6:7], s[0:1], v0, s15, v[6:7]
	v_mov_b32_e32 v5, v6
	v_lshlrev_b64 v[4:5], 3, v[4:5]
	v_mov_b32_e32 v6, s12
	v_add_co_u32_e64 v4, s[0:1], s11, v4
	v_addc_co_u32_e64 v5, s[0:1], v6, v5, s[0:1]
	v_add_co_u32_e64 v4, s[0:1], v4, v1
	v_addc_co_u32_e64 v5, s[0:1], 0, v5, s[0:1]
	global_load_dwordx2 v[4:5], v[4:5], off
	s_waitcnt vmcnt(0)
	ds_write_b64 v2, v[4:5]
.LBB70_3:
	s_or_b64 exec, exec, s[2:3]
	s_add_i32 s0, s10, -1
	s_ashr_i32 s1, s0, 31
	s_lshr_b32 s1, s1, 27
	s_add_i32 s0, s0, s1
	s_ashr_i32 s1, s0, 5
	s_andn2_b32 s0, s0, 31
	s_sub_i32 s0, s10, s0
	s_cmp_ge_i32 s6, s1
	s_cselect_b32 s0, s0, 32
	s_lshl_b32 s10, s6, 5
	v_cmp_gt_i32_e64 s[0:1], s0, v3
	s_ashr_i32 s11, s10, 31
	s_and_b64 s[0:1], vcc, s[0:1]
	s_and_saveexec_b64 s[2:3], s[0:1]
	s_cbranch_execz .LBB70_5
; %bb.4:
	s_mul_i32 s6, s7, s23
	s_mul_hi_u32 s12, s7, s22
	s_add_i32 s13, s12, s6
	s_mul_i32 s12, s7, s22
	s_lshl_b64 s[12:13], s[12:13], 3
	s_add_u32 s6, s18, s12
	s_addc_u32 s14, s19, s13
	s_lshl_b64 s[12:13], s[10:11], 3
	s_add_u32 s6, s6, s12
	s_addc_u32 s14, s14, s13
	v_mad_u64_u32 v[4:5], s[12:13], v0, s20, 0
	v_mov_b32_e32 v6, v5
	v_mad_u64_u32 v[6:7], s[12:13], v0, s21, v[6:7]
	v_mov_b32_e32 v5, v6
	v_lshlrev_b64 v[4:5], 3, v[4:5]
	v_mov_b32_e32 v6, s14
	v_add_co_u32_e32 v4, vcc, s6, v4
	v_addc_co_u32_e32 v5, vcc, v6, v5, vcc
	v_add_co_u32_e32 v4, vcc, v4, v1
	v_addc_co_u32_e32 v5, vcc, 0, v5, vcc
	global_load_dwordx2 v[4:5], v[4:5], off
	v_add_u32_e32 v6, 0x2000, v2
	s_waitcnt vmcnt(0)
	ds_write_b64 v6, v[4:5]
.LBB70_5:
	s_or_b64 exec, exec, s[2:3]
	s_cmpk_eq_i32 s9, 0x84
	s_cselect_b64 s[2:3], -1, 0
	v_cmp_eq_u32_e32 vcc, v0, v3
	s_and_b64 s[12:13], vcc, s[2:3]
	s_and_saveexec_b64 s[2:3], s[12:13]
	s_cbranch_execz .LBB70_7
; %bb.6:
	v_mov_b32_e32 v4, 0
	v_mov_b32_e32 v5, 0x3ff00000
	ds_write_b64 v2, v[4:5]
.LBB70_7:
	s_or_b64 exec, exec, s[2:3]
	s_cmpk_lg_i32 s8, 0x79
	s_cbranch_scc0 .LBB70_9
; %bb.8:
	v_cmp_lt_u32_e32 vcc, v3, v0
	s_and_b64 s[2:3], vcc, exec
	s_cbranch_execz .LBB70_10
	s_branch .LBB70_11
.LBB70_9:
	s_mov_b64 s[2:3], 0
.LBB70_10:
	v_cmp_gt_u32_e32 vcc, v3, v0
	s_andn2_b64 s[2:3], s[2:3], exec
	s_and_b64 s[8:9], vcc, exec
	s_or_b64 s[2:3], s[2:3], s[8:9]
.LBB70_11:
	s_and_saveexec_b64 s[8:9], s[2:3]
	s_cbranch_execz .LBB70_13
; %bb.12:
	v_mov_b32_e32 v4, 0
	v_mov_b32_e32 v5, v4
	ds_write_b64 v2, v[4:5]
.LBB70_13:
	s_or_b64 exec, exec, s[8:9]
	s_waitcnt lgkmcnt(0)
	s_barrier
	s_and_saveexec_b64 s[2:3], s[0:1]
	s_cbranch_execz .LBB70_15
; %bb.14:
	v_add_u32_e32 v18, 0x2000, v1
	v_lshlrev_b32_e32 v28, 3, v0
	s_load_dwordx2 s[8:9], s[4:5], 0x60
	s_load_dwordx4 s[0:3], s[4:5], 0x50
	ds_read2_b64 v[2:5], v18 offset1:32
	ds_read2_b64 v[6:9], v28 offset1:32
	v_add_u32_e32 v29, 0x2800, v1
	v_add_u32_e32 v30, 0x800, v28
	s_waitcnt lgkmcnt(0)
	s_mul_i32 s5, s7, s9
	s_mul_hi_u32 s6, s7, s8
	v_fma_f64 v[26:27], v[2:3], v[6:7], 0
	v_fmac_f64_e32 v[26:27], v[4:5], v[8:9]
	ds_read2_b64 v[2:5], v18 offset0:64 offset1:96
	ds_read2_b64 v[6:9], v28 offset0:64 offset1:96
	;; [unrolled: 1-line block ×6, first 2 shown]
	s_waitcnt lgkmcnt(4)
	v_fmac_f64_e32 v[26:27], v[2:3], v[6:7]
	v_fmac_f64_e32 v[26:27], v[4:5], v[8:9]
	ds_read2_b64 v[2:5], v29 offset1:32
	s_waitcnt lgkmcnt(3)
	v_fmac_f64_e32 v[26:27], v[10:11], v[14:15]
	v_fmac_f64_e32 v[26:27], v[12:13], v[16:17]
	s_waitcnt lgkmcnt(1)
	v_fmac_f64_e32 v[26:27], v[18:19], v[22:23]
	v_fmac_f64_e32 v[26:27], v[20:21], v[24:25]
	ds_read2_b64 v[6:9], v30 offset1:32
	ds_read2_b64 v[10:13], v29 offset0:64 offset1:96
	ds_read2_b64 v[14:17], v30 offset0:64 offset1:96
	;; [unrolled: 1-line block ×4, first 2 shown]
	s_waitcnt lgkmcnt(4)
	v_fmac_f64_e32 v[26:27], v[2:3], v[6:7]
	v_fmac_f64_e32 v[26:27], v[4:5], v[8:9]
	ds_read2_b64 v[2:5], v29 offset0:192 offset1:224
	ds_read2_b64 v[6:9], v30 offset0:192 offset1:224
	s_waitcnt lgkmcnt(4)
	v_fmac_f64_e32 v[26:27], v[10:11], v[14:15]
	v_add_u32_e32 v29, 0x3000, v1
	v_fmac_f64_e32 v[26:27], v[12:13], v[16:17]
	ds_read2_b64 v[10:13], v29 offset1:32
	s_waitcnt lgkmcnt(3)
	v_fmac_f64_e32 v[26:27], v[18:19], v[22:23]
	v_add_u32_e32 v30, 0x1000, v28
	v_fmac_f64_e32 v[26:27], v[20:21], v[24:25]
	ds_read2_b64 v[14:17], v30 offset1:32
	ds_read2_b64 v[18:21], v29 offset0:64 offset1:96
	ds_read2_b64 v[22:25], v30 offset0:64 offset1:96
	s_waitcnt lgkmcnt(4)
	v_fmac_f64_e32 v[26:27], v[2:3], v[6:7]
	v_fmac_f64_e32 v[26:27], v[4:5], v[8:9]
	s_waitcnt lgkmcnt(2)
	v_fmac_f64_e32 v[26:27], v[10:11], v[14:15]
	v_fmac_f64_e32 v[26:27], v[12:13], v[16:17]
	ds_read2_b64 v[2:5], v29 offset0:128 offset1:160
	ds_read2_b64 v[6:9], v30 offset0:128 offset1:160
	ds_read2_b64 v[10:13], v29 offset0:192 offset1:224
	ds_read2_b64 v[14:17], v30 offset0:192 offset1:224
	s_waitcnt lgkmcnt(4)
	v_fmac_f64_e32 v[26:27], v[18:19], v[22:23]
	v_add_u32_e32 v29, 0x3800, v1
	v_add_u32_e32 v28, 0x1800, v28
	v_fmac_f64_e32 v[26:27], v[20:21], v[24:25]
	ds_read2_b64 v[18:21], v29 offset1:32
	ds_read2_b64 v[22:25], v28 offset1:32
	s_waitcnt lgkmcnt(4)
	v_fmac_f64_e32 v[26:27], v[2:3], v[6:7]
	v_fmac_f64_e32 v[26:27], v[4:5], v[8:9]
	s_mul_i32 s4, s7, s8
	s_add_i32 s5, s6, s5
	s_waitcnt lgkmcnt(2)
	v_fmac_f64_e32 v[26:27], v[10:11], v[14:15]
	s_lshl_b64 s[4:5], s[4:5], 3
	v_fmac_f64_e32 v[26:27], v[12:13], v[16:17]
	s_add_u32 s4, s0, s4
	s_waitcnt lgkmcnt(0)
	v_fmac_f64_e32 v[26:27], v[18:19], v[22:23]
	s_addc_u32 s5, s1, s5
	s_lshl_b64 s[0:1], s[10:11], 3
	v_fmac_f64_e32 v[26:27], v[20:21], v[24:25]
	ds_read2_b64 v[2:5], v29 offset0:64 offset1:96
	ds_read2_b64 v[6:9], v28 offset0:64 offset1:96
	;; [unrolled: 1-line block ×6, first 2 shown]
	s_add_u32 s4, s4, s0
	s_waitcnt lgkmcnt(4)
	v_fmac_f64_e32 v[26:27], v[2:3], v[6:7]
	s_addc_u32 s5, s5, s1
	v_fmac_f64_e32 v[26:27], v[4:5], v[8:9]
	v_mad_u64_u32 v[4:5], s[0:1], v0, s2, 0
	v_mov_b32_e32 v6, v5
	v_mad_u64_u32 v[6:7], s[0:1], v0, s3, v[6:7]
	v_mov_b32_e32 v5, v6
	s_waitcnt lgkmcnt(2)
	v_fmac_f64_e32 v[26:27], v[10:11], v[14:15]
	v_lshlrev_b64 v[4:5], 3, v[4:5]
	v_fmac_f64_e32 v[26:27], v[12:13], v[16:17]
	v_mov_b32_e32 v0, s5
	v_add_co_u32_e32 v4, vcc, s4, v4
	s_waitcnt lgkmcnt(0)
	v_fmac_f64_e32 v[26:27], v[18:19], v[22:23]
	v_addc_co_u32_e32 v5, vcc, v0, v5, vcc
	v_fmac_f64_e32 v[26:27], v[20:21], v[24:25]
	v_add_co_u32_e32 v0, vcc, v4, v1
	v_mul_f64 v[2:3], s[24:25], v[26:27]
	v_addc_co_u32_e32 v1, vcc, 0, v5, vcc
	global_store_dwordx2 v[0:1], v[2:3], off
.LBB70_15:
	s_endpgm
	.section	.rodata,"a",@progbits
	.p2align	6, 0x0
	.amdhsa_kernel _ZL23rocblas_trmm_rTx_kernelILi32ELb1EdPKdS0_dEv13rocblas_fill_17rocblas_diagonal_iiT2_lPT3_llS6_llPT4_lli
		.amdhsa_group_segment_fixed_size 16384
		.amdhsa_private_segment_fixed_size 0
		.amdhsa_kernarg_size 108
		.amdhsa_user_sgpr_count 6
		.amdhsa_user_sgpr_private_segment_buffer 1
		.amdhsa_user_sgpr_dispatch_ptr 0
		.amdhsa_user_sgpr_queue_ptr 0
		.amdhsa_user_sgpr_kernarg_segment_ptr 1
		.amdhsa_user_sgpr_dispatch_id 0
		.amdhsa_user_sgpr_flat_scratch_init 0
		.amdhsa_user_sgpr_kernarg_preload_length 0
		.amdhsa_user_sgpr_kernarg_preload_offset 0
		.amdhsa_user_sgpr_private_segment_size 0
		.amdhsa_uses_dynamic_stack 0
		.amdhsa_system_sgpr_private_segment_wavefront_offset 0
		.amdhsa_system_sgpr_workgroup_id_x 1
		.amdhsa_system_sgpr_workgroup_id_y 0
		.amdhsa_system_sgpr_workgroup_id_z 1
		.amdhsa_system_sgpr_workgroup_info 0
		.amdhsa_system_vgpr_workitem_id 1
		.amdhsa_next_free_vgpr 31
		.amdhsa_next_free_sgpr 26
		.amdhsa_accum_offset 32
		.amdhsa_reserve_vcc 1
		.amdhsa_reserve_flat_scratch 0
		.amdhsa_float_round_mode_32 0
		.amdhsa_float_round_mode_16_64 0
		.amdhsa_float_denorm_mode_32 3
		.amdhsa_float_denorm_mode_16_64 3
		.amdhsa_dx10_clamp 1
		.amdhsa_ieee_mode 1
		.amdhsa_fp16_overflow 0
		.amdhsa_tg_split 0
		.amdhsa_exception_fp_ieee_invalid_op 0
		.amdhsa_exception_fp_denorm_src 0
		.amdhsa_exception_fp_ieee_div_zero 0
		.amdhsa_exception_fp_ieee_overflow 0
		.amdhsa_exception_fp_ieee_underflow 0
		.amdhsa_exception_fp_ieee_inexact 0
		.amdhsa_exception_int_div_zero 0
	.end_amdhsa_kernel
	.section	.text._ZL23rocblas_trmm_rTx_kernelILi32ELb1EdPKdS0_dEv13rocblas_fill_17rocblas_diagonal_iiT2_lPT3_llS6_llPT4_lli,"axG",@progbits,_ZL23rocblas_trmm_rTx_kernelILi32ELb1EdPKdS0_dEv13rocblas_fill_17rocblas_diagonal_iiT2_lPT3_llS6_llPT4_lli,comdat
.Lfunc_end70:
	.size	_ZL23rocblas_trmm_rTx_kernelILi32ELb1EdPKdS0_dEv13rocblas_fill_17rocblas_diagonal_iiT2_lPT3_llS6_llPT4_lli, .Lfunc_end70-_ZL23rocblas_trmm_rTx_kernelILi32ELb1EdPKdS0_dEv13rocblas_fill_17rocblas_diagonal_iiT2_lPT3_llS6_llPT4_lli
                                        ; -- End function
	.section	.AMDGPU.csdata,"",@progbits
; Kernel info:
; codeLenInByte = 1244
; NumSgprs: 30
; NumVgprs: 31
; NumAgprs: 0
; TotalNumVgprs: 31
; ScratchSize: 0
; MemoryBound: 0
; FloatMode: 240
; IeeeMode: 1
; LDSByteSize: 16384 bytes/workgroup (compile time only)
; SGPRBlocks: 3
; VGPRBlocks: 3
; NumSGPRsForWavesPerEU: 30
; NumVGPRsForWavesPerEU: 31
; AccumOffset: 32
; Occupancy: 8
; WaveLimiterHint : 0
; COMPUTE_PGM_RSRC2:SCRATCH_EN: 0
; COMPUTE_PGM_RSRC2:USER_SGPR: 6
; COMPUTE_PGM_RSRC2:TRAP_HANDLER: 0
; COMPUTE_PGM_RSRC2:TGID_X_EN: 1
; COMPUTE_PGM_RSRC2:TGID_Y_EN: 0
; COMPUTE_PGM_RSRC2:TGID_Z_EN: 1
; COMPUTE_PGM_RSRC2:TIDIG_COMP_CNT: 1
; COMPUTE_PGM_RSRC3_GFX90A:ACCUM_OFFSET: 7
; COMPUTE_PGM_RSRC3_GFX90A:TG_SPLIT: 0
	.section	.text._ZL23rocblas_trmm_rTx_kernelILi32ELb1EddKddEv13rocblas_fill_17rocblas_diagonal_iiT2_lPT3_llS5_llPT4_lli,"axG",@progbits,_ZL23rocblas_trmm_rTx_kernelILi32ELb1EddKddEv13rocblas_fill_17rocblas_diagonal_iiT2_lPT3_llS5_llPT4_lli,comdat
	.globl	_ZL23rocblas_trmm_rTx_kernelILi32ELb1EddKddEv13rocblas_fill_17rocblas_diagonal_iiT2_lPT3_llS5_llPT4_lli ; -- Begin function _ZL23rocblas_trmm_rTx_kernelILi32ELb1EddKddEv13rocblas_fill_17rocblas_diagonal_iiT2_lPT3_llS5_llPT4_lli
	.p2align	8
	.type	_ZL23rocblas_trmm_rTx_kernelILi32ELb1EddKddEv13rocblas_fill_17rocblas_diagonal_iiT2_lPT3_llS5_llPT4_lli,@function
_ZL23rocblas_trmm_rTx_kernelILi32ELb1EddKddEv13rocblas_fill_17rocblas_diagonal_iiT2_lPT3_llS5_llPT4_lli: ; @_ZL23rocblas_trmm_rTx_kernelILi32ELb1EddKddEv13rocblas_fill_17rocblas_diagonal_iiT2_lPT3_llS5_llPT4_lli
; %bb.0:
	s_load_dwordx2 s[2:3], s[4:5], 0x10
	s_waitcnt lgkmcnt(0)
	v_cmp_eq_f64_e64 s[0:1], s[2:3], 0
	s_and_b64 vcc, exec, s[0:1]
	s_cbranch_vccnz .LBB71_15
; %bb.1:
	s_load_dwordx4 s[24:27], s[4:5], 0x0
	s_load_dwordx16 s[8:23], s[4:5], 0x20
	s_mov_b32 s0, 0
	v_and_b32_e32 v3, 0x3ff, v0
	v_bfe_u32 v0, v0, 10, 10
	s_mov_b32 s1, s0
	v_lshlrev_b32_e32 v1, 5, v0
	v_pk_mov_b32 v[4:5], s[0:1], s[0:1] op_sel:[0,1]
	s_waitcnt lgkmcnt(0)
	v_cmp_gt_i32_e32 vcc, s27, v0
	v_cmp_gt_i32_e64 s[0:1], s27, v3
	v_add_lshl_u32 v2, v1, v3, 3
	s_and_b64 s[0:1], vcc, s[0:1]
	v_lshlrev_b32_e32 v1, 3, v3
	ds_write2st64_b64 v2, v[4:5], v[4:5] offset1:16
	s_and_saveexec_b64 s[28:29], s[0:1]
	s_cbranch_execz .LBB71_3
; %bb.2:
	s_mul_i32 s0, s7, s13
	s_mul_hi_u32 s1, s7, s12
	s_add_i32 s1, s1, s0
	s_mul_i32 s0, s7, s12
	s_lshl_b64 s[0:1], s[0:1], 3
	s_add_u32 s8, s8, s0
	s_addc_u32 s9, s9, s1
	v_mad_u64_u32 v[4:5], s[0:1], v0, s10, 0
	v_mov_b32_e32 v6, v5
	v_mad_u64_u32 v[6:7], s[0:1], v0, s11, v[6:7]
	v_mov_b32_e32 v5, v6
	v_lshlrev_b64 v[4:5], 3, v[4:5]
	v_mov_b32_e32 v6, s9
	v_add_co_u32_e64 v4, s[0:1], s8, v4
	v_addc_co_u32_e64 v5, s[0:1], v6, v5, s[0:1]
	v_add_co_u32_e64 v4, s[0:1], v4, v1
	v_addc_co_u32_e64 v5, s[0:1], 0, v5, s[0:1]
	global_load_dwordx2 v[4:5], v[4:5], off
	s_waitcnt vmcnt(0)
	ds_write_b64 v2, v[4:5]
.LBB71_3:
	s_or_b64 exec, exec, s[28:29]
	s_add_i32 s0, s26, -1
	s_ashr_i32 s1, s0, 31
	s_lshr_b32 s1, s1, 27
	s_add_i32 s0, s0, s1
	s_ashr_i32 s1, s0, 5
	s_andn2_b32 s0, s0, 31
	s_sub_i32 s0, s26, s0
	s_cmp_ge_i32 s6, s1
	s_cselect_b32 s0, s0, 32
	s_lshl_b32 s8, s6, 5
	v_cmp_gt_i32_e64 s[0:1], s0, v3
	s_ashr_i32 s9, s8, 31
	s_and_b64 s[0:1], vcc, s[0:1]
	s_and_saveexec_b64 s[10:11], s[0:1]
	s_cbranch_execz .LBB71_5
; %bb.4:
	s_mul_i32 s6, s7, s19
	s_mul_hi_u32 s12, s7, s18
	s_add_i32 s13, s12, s6
	s_mul_i32 s12, s7, s18
	s_lshl_b64 s[12:13], s[12:13], 3
	s_add_u32 s6, s14, s12
	s_addc_u32 s14, s15, s13
	s_lshl_b64 s[12:13], s[8:9], 3
	s_add_u32 s6, s6, s12
	s_addc_u32 s14, s14, s13
	v_mad_u64_u32 v[4:5], s[12:13], v0, s16, 0
	v_mov_b32_e32 v6, v5
	v_mad_u64_u32 v[6:7], s[12:13], v0, s17, v[6:7]
	v_mov_b32_e32 v5, v6
	v_lshlrev_b64 v[4:5], 3, v[4:5]
	v_mov_b32_e32 v6, s14
	v_add_co_u32_e32 v4, vcc, s6, v4
	v_addc_co_u32_e32 v5, vcc, v6, v5, vcc
	v_add_co_u32_e32 v4, vcc, v4, v1
	v_addc_co_u32_e32 v5, vcc, 0, v5, vcc
	global_load_dwordx2 v[4:5], v[4:5], off
	v_add_u32_e32 v6, 0x2000, v2
	s_waitcnt vmcnt(0)
	ds_write_b64 v6, v[4:5]
.LBB71_5:
	s_or_b64 exec, exec, s[10:11]
	s_cmpk_eq_i32 s25, 0x84
	s_cselect_b64 s[10:11], -1, 0
	v_cmp_eq_u32_e32 vcc, v0, v3
	s_and_b64 s[12:13], vcc, s[10:11]
	s_and_saveexec_b64 s[10:11], s[12:13]
	s_cbranch_execz .LBB71_7
; %bb.6:
	v_mov_b32_e32 v4, 0
	v_mov_b32_e32 v5, 0x3ff00000
	ds_write_b64 v2, v[4:5]
.LBB71_7:
	s_or_b64 exec, exec, s[10:11]
	s_cmpk_lg_i32 s24, 0x79
	s_cbranch_scc0 .LBB71_9
; %bb.8:
	v_cmp_lt_u32_e32 vcc, v3, v0
	s_and_b64 s[10:11], vcc, exec
	s_cbranch_execz .LBB71_10
	s_branch .LBB71_11
.LBB71_9:
	s_mov_b64 s[10:11], 0
.LBB71_10:
	v_cmp_gt_u32_e32 vcc, v3, v0
	s_andn2_b64 s[10:11], s[10:11], exec
	s_and_b64 s[12:13], vcc, exec
	s_or_b64 s[10:11], s[10:11], s[12:13]
.LBB71_11:
	s_and_saveexec_b64 s[12:13], s[10:11]
	s_cbranch_execz .LBB71_13
; %bb.12:
	v_mov_b32_e32 v4, 0
	v_mov_b32_e32 v5, v4
	ds_write_b64 v2, v[4:5]
.LBB71_13:
	s_or_b64 exec, exec, s[12:13]
	s_waitcnt lgkmcnt(0)
	s_barrier
	s_and_saveexec_b64 s[10:11], s[0:1]
	s_cbranch_execz .LBB71_15
; %bb.14:
	v_add_u32_e32 v18, 0x2000, v1
	v_lshlrev_b32_e32 v28, 3, v0
	ds_read2_b64 v[2:5], v18 offset1:32
	ds_read2_b64 v[6:9], v28 offset1:32
	v_add_u32_e32 v29, 0x2800, v1
	v_add_u32_e32 v30, 0x800, v28
	s_load_dwordx2 s[0:1], s[4:5], 0x60
	s_waitcnt lgkmcnt(0)
	v_fma_f64 v[26:27], v[2:3], v[6:7], 0
	v_fmac_f64_e32 v[26:27], v[4:5], v[8:9]
	ds_read2_b64 v[2:5], v18 offset0:64 offset1:96
	ds_read2_b64 v[6:9], v28 offset0:64 offset1:96
	;; [unrolled: 1-line block ×6, first 2 shown]
	s_waitcnt lgkmcnt(4)
	v_fmac_f64_e32 v[26:27], v[2:3], v[6:7]
	v_fmac_f64_e32 v[26:27], v[4:5], v[8:9]
	ds_read2_b64 v[2:5], v29 offset1:32
	s_waitcnt lgkmcnt(3)
	v_fmac_f64_e32 v[26:27], v[10:11], v[14:15]
	v_fmac_f64_e32 v[26:27], v[12:13], v[16:17]
	s_waitcnt lgkmcnt(1)
	v_fmac_f64_e32 v[26:27], v[18:19], v[22:23]
	v_fmac_f64_e32 v[26:27], v[20:21], v[24:25]
	ds_read2_b64 v[6:9], v30 offset1:32
	ds_read2_b64 v[10:13], v29 offset0:64 offset1:96
	ds_read2_b64 v[14:17], v30 offset0:64 offset1:96
	;; [unrolled: 1-line block ×4, first 2 shown]
	s_waitcnt lgkmcnt(4)
	v_fmac_f64_e32 v[26:27], v[2:3], v[6:7]
	v_fmac_f64_e32 v[26:27], v[4:5], v[8:9]
	ds_read2_b64 v[2:5], v29 offset0:192 offset1:224
	ds_read2_b64 v[6:9], v30 offset0:192 offset1:224
	s_waitcnt lgkmcnt(4)
	v_fmac_f64_e32 v[26:27], v[10:11], v[14:15]
	v_add_u32_e32 v29, 0x3000, v1
	v_fmac_f64_e32 v[26:27], v[12:13], v[16:17]
	ds_read2_b64 v[10:13], v29 offset1:32
	s_waitcnt lgkmcnt(3)
	v_fmac_f64_e32 v[26:27], v[18:19], v[22:23]
	v_add_u32_e32 v30, 0x1000, v28
	v_fmac_f64_e32 v[26:27], v[20:21], v[24:25]
	ds_read2_b64 v[14:17], v30 offset1:32
	ds_read2_b64 v[18:21], v29 offset0:64 offset1:96
	ds_read2_b64 v[22:25], v30 offset0:64 offset1:96
	s_waitcnt lgkmcnt(4)
	v_fmac_f64_e32 v[26:27], v[2:3], v[6:7]
	v_fmac_f64_e32 v[26:27], v[4:5], v[8:9]
	s_waitcnt lgkmcnt(2)
	v_fmac_f64_e32 v[26:27], v[10:11], v[14:15]
	v_fmac_f64_e32 v[26:27], v[12:13], v[16:17]
	ds_read2_b64 v[2:5], v29 offset0:128 offset1:160
	ds_read2_b64 v[6:9], v30 offset0:128 offset1:160
	;; [unrolled: 1-line block ×4, first 2 shown]
	s_waitcnt lgkmcnt(4)
	v_fmac_f64_e32 v[26:27], v[18:19], v[22:23]
	v_add_u32_e32 v29, 0x3800, v1
	v_add_u32_e32 v28, 0x1800, v28
	v_fmac_f64_e32 v[26:27], v[20:21], v[24:25]
	ds_read2_b64 v[18:21], v29 offset1:32
	ds_read2_b64 v[22:25], v28 offset1:32
	s_waitcnt lgkmcnt(4)
	v_fmac_f64_e32 v[26:27], v[2:3], v[6:7]
	s_mul_i32 s1, s7, s1
	s_mul_hi_u32 s4, s7, s0
	v_fmac_f64_e32 v[26:27], v[4:5], v[8:9]
	s_mul_i32 s0, s7, s0
	s_add_i32 s1, s4, s1
	s_waitcnt lgkmcnt(2)
	v_fmac_f64_e32 v[26:27], v[10:11], v[14:15]
	s_lshl_b64 s[0:1], s[0:1], 3
	v_fmac_f64_e32 v[26:27], v[12:13], v[16:17]
	s_add_u32 s4, s20, s0
	s_waitcnt lgkmcnt(0)
	v_fmac_f64_e32 v[26:27], v[18:19], v[22:23]
	s_addc_u32 s5, s21, s1
	s_lshl_b64 s[0:1], s[8:9], 3
	v_fmac_f64_e32 v[26:27], v[20:21], v[24:25]
	ds_read2_b64 v[2:5], v29 offset0:64 offset1:96
	ds_read2_b64 v[6:9], v28 offset0:64 offset1:96
	;; [unrolled: 1-line block ×6, first 2 shown]
	s_add_u32 s4, s4, s0
	s_waitcnt lgkmcnt(4)
	v_fmac_f64_e32 v[26:27], v[2:3], v[6:7]
	s_addc_u32 s5, s5, s1
	v_fmac_f64_e32 v[26:27], v[4:5], v[8:9]
	v_mad_u64_u32 v[4:5], s[0:1], v0, s22, 0
	v_mov_b32_e32 v6, v5
	v_mad_u64_u32 v[6:7], s[0:1], v0, s23, v[6:7]
	v_mov_b32_e32 v5, v6
	s_waitcnt lgkmcnt(2)
	v_fmac_f64_e32 v[26:27], v[10:11], v[14:15]
	v_lshlrev_b64 v[4:5], 3, v[4:5]
	v_fmac_f64_e32 v[26:27], v[12:13], v[16:17]
	v_mov_b32_e32 v0, s5
	v_add_co_u32_e32 v4, vcc, s4, v4
	s_waitcnt lgkmcnt(0)
	v_fmac_f64_e32 v[26:27], v[18:19], v[22:23]
	v_addc_co_u32_e32 v5, vcc, v0, v5, vcc
	v_fmac_f64_e32 v[26:27], v[20:21], v[24:25]
	v_add_co_u32_e32 v0, vcc, v4, v1
	v_mul_f64 v[2:3], v[26:27], s[2:3]
	v_addc_co_u32_e32 v1, vcc, 0, v5, vcc
	global_store_dwordx2 v[0:1], v[2:3], off
.LBB71_15:
	s_endpgm
	.section	.rodata,"a",@progbits
	.p2align	6, 0x0
	.amdhsa_kernel _ZL23rocblas_trmm_rTx_kernelILi32ELb1EddKddEv13rocblas_fill_17rocblas_diagonal_iiT2_lPT3_llS5_llPT4_lli
		.amdhsa_group_segment_fixed_size 16384
		.amdhsa_private_segment_fixed_size 0
		.amdhsa_kernarg_size 108
		.amdhsa_user_sgpr_count 6
		.amdhsa_user_sgpr_private_segment_buffer 1
		.amdhsa_user_sgpr_dispatch_ptr 0
		.amdhsa_user_sgpr_queue_ptr 0
		.amdhsa_user_sgpr_kernarg_segment_ptr 1
		.amdhsa_user_sgpr_dispatch_id 0
		.amdhsa_user_sgpr_flat_scratch_init 0
		.amdhsa_user_sgpr_kernarg_preload_length 0
		.amdhsa_user_sgpr_kernarg_preload_offset 0
		.amdhsa_user_sgpr_private_segment_size 0
		.amdhsa_uses_dynamic_stack 0
		.amdhsa_system_sgpr_private_segment_wavefront_offset 0
		.amdhsa_system_sgpr_workgroup_id_x 1
		.amdhsa_system_sgpr_workgroup_id_y 0
		.amdhsa_system_sgpr_workgroup_id_z 1
		.amdhsa_system_sgpr_workgroup_info 0
		.amdhsa_system_vgpr_workitem_id 1
		.amdhsa_next_free_vgpr 31
		.amdhsa_next_free_sgpr 30
		.amdhsa_accum_offset 32
		.amdhsa_reserve_vcc 1
		.amdhsa_reserve_flat_scratch 0
		.amdhsa_float_round_mode_32 0
		.amdhsa_float_round_mode_16_64 0
		.amdhsa_float_denorm_mode_32 3
		.amdhsa_float_denorm_mode_16_64 3
		.amdhsa_dx10_clamp 1
		.amdhsa_ieee_mode 1
		.amdhsa_fp16_overflow 0
		.amdhsa_tg_split 0
		.amdhsa_exception_fp_ieee_invalid_op 0
		.amdhsa_exception_fp_denorm_src 0
		.amdhsa_exception_fp_ieee_div_zero 0
		.amdhsa_exception_fp_ieee_overflow 0
		.amdhsa_exception_fp_ieee_underflow 0
		.amdhsa_exception_fp_ieee_inexact 0
		.amdhsa_exception_int_div_zero 0
	.end_amdhsa_kernel
	.section	.text._ZL23rocblas_trmm_rTx_kernelILi32ELb1EddKddEv13rocblas_fill_17rocblas_diagonal_iiT2_lPT3_llS5_llPT4_lli,"axG",@progbits,_ZL23rocblas_trmm_rTx_kernelILi32ELb1EddKddEv13rocblas_fill_17rocblas_diagonal_iiT2_lPT3_llS5_llPT4_lli,comdat
.Lfunc_end71:
	.size	_ZL23rocblas_trmm_rTx_kernelILi32ELb1EddKddEv13rocblas_fill_17rocblas_diagonal_iiT2_lPT3_llS5_llPT4_lli, .Lfunc_end71-_ZL23rocblas_trmm_rTx_kernelILi32ELb1EddKddEv13rocblas_fill_17rocblas_diagonal_iiT2_lPT3_llS5_llPT4_lli
                                        ; -- End function
	.section	.AMDGPU.csdata,"",@progbits
; Kernel info:
; codeLenInByte = 1204
; NumSgprs: 34
; NumVgprs: 31
; NumAgprs: 0
; TotalNumVgprs: 31
; ScratchSize: 0
; MemoryBound: 0
; FloatMode: 240
; IeeeMode: 1
; LDSByteSize: 16384 bytes/workgroup (compile time only)
; SGPRBlocks: 4
; VGPRBlocks: 3
; NumSGPRsForWavesPerEU: 34
; NumVGPRsForWavesPerEU: 31
; AccumOffset: 32
; Occupancy: 8
; WaveLimiterHint : 0
; COMPUTE_PGM_RSRC2:SCRATCH_EN: 0
; COMPUTE_PGM_RSRC2:USER_SGPR: 6
; COMPUTE_PGM_RSRC2:TRAP_HANDLER: 0
; COMPUTE_PGM_RSRC2:TGID_X_EN: 1
; COMPUTE_PGM_RSRC2:TGID_Y_EN: 0
; COMPUTE_PGM_RSRC2:TGID_Z_EN: 1
; COMPUTE_PGM_RSRC2:TIDIG_COMP_CNT: 1
; COMPUTE_PGM_RSRC3_GFX90A:ACCUM_OFFSET: 7
; COMPUTE_PGM_RSRC3_GFX90A:TG_SPLIT: 0
	.section	.text._ZL30rocblas_trmm_outofplace_kernelI19rocblas_complex_numIfELi32ELi2ELb1ELb0ELb0ELb0EPKS1_S2_S1_Ev17rocblas_diagonal_iiT6_lPT7_lllS7_lllPT8_llli,"axG",@progbits,_ZL30rocblas_trmm_outofplace_kernelI19rocblas_complex_numIfELi32ELi2ELb1ELb0ELb0ELb0EPKS1_S2_S1_Ev17rocblas_diagonal_iiT6_lPT7_lllS7_lllPT8_llli,comdat
	.globl	_ZL30rocblas_trmm_outofplace_kernelI19rocblas_complex_numIfELi32ELi2ELb1ELb0ELb0ELb0EPKS1_S2_S1_Ev17rocblas_diagonal_iiT6_lPT7_lllS7_lllPT8_llli ; -- Begin function _ZL30rocblas_trmm_outofplace_kernelI19rocblas_complex_numIfELi32ELi2ELb1ELb0ELb0ELb0EPKS1_S2_S1_Ev17rocblas_diagonal_iiT6_lPT7_lllS7_lllPT8_llli
	.p2align	8
	.type	_ZL30rocblas_trmm_outofplace_kernelI19rocblas_complex_numIfELi32ELi2ELb1ELb0ELb0ELb0EPKS1_S2_S1_Ev17rocblas_diagonal_iiT6_lPT7_lllS7_lllPT8_llli,@function
_ZL30rocblas_trmm_outofplace_kernelI19rocblas_complex_numIfELi32ELi2ELb1ELb0ELb0ELb0EPKS1_S2_S1_Ev17rocblas_diagonal_iiT6_lPT7_lllS7_lllPT8_llli: ; @_ZL30rocblas_trmm_outofplace_kernelI19rocblas_complex_numIfELi32ELi2ELb1ELb0ELb0ELb0EPKS1_S2_S1_Ev17rocblas_diagonal_iiT6_lPT7_lllS7_lllPT8_llli
; %bb.0:
	s_load_dwordx16 s[12:27], s[4:5], 0x10
	s_waitcnt lgkmcnt(0)
	s_mul_i32 s0, s8, s15
	s_mul_hi_u32 s1, s8, s14
	s_add_i32 s1, s1, s0
	s_mul_i32 s0, s8, s14
	s_lshl_b64 s[0:1], s[0:1], 3
	s_add_u32 s0, s12, s0
	s_addc_u32 s1, s13, s1
	s_load_dwordx2 s[34:35], s[0:1], 0x0
	s_waitcnt lgkmcnt(0)
	s_or_b32 s0, s34, s35
	s_bitset0_b32 s0, 31
	s_cmp_eq_u32 s0, 0
	s_cbranch_scc1 .LBB72_63
; %bb.1:
	s_load_dwordx4 s[28:31], s[4:5], 0x0
	s_waitcnt lgkmcnt(0)
	s_add_i32 s0, s30, -1
	s_ashr_i32 s1, s0, 31
	s_lshr_b32 s1, s1, 27
	s_add_i32 s0, s0, s1
	s_ashr_i32 s31, s0, 5
	s_cmp_gt_i32 s7, s31
	s_cbranch_scc1 .LBB72_63
; %bb.2:
	s_mul_i32 s0, s8, s23
	s_mul_hi_u32 s1, s8, s22
	s_add_i32 s1, s1, s0
	s_mul_i32 s0, s8, s22
	s_load_dwordx4 s[44:47], s[4:5], 0x70
	s_load_dword s33, s[4:5], 0x8c
	s_lshl_b64 s[10:11], s[0:1], 3
	s_add_u32 s0, s16, s10
	s_load_dwordx8 s[36:43], s[4:5], 0x50
	s_addc_u32 s1, s17, s11
	s_lshl_b64 s[12:13], s[18:19], 3
	s_add_u32 s2, s0, s12
	s_addc_u32 s3, s1, s13
	s_waitcnt lgkmcnt(0)
	s_mul_i32 s0, s8, s47
	s_mul_hi_u32 s1, s8, s46
	s_add_i32 s1, s1, s0
	s_mul_i32 s0, s8, s46
	s_lshl_b64 s[0:1], s[0:1], 3
	s_add_u32 s4, s40, s0
	s_addc_u32 s5, s41, s1
	s_lshl_b64 s[0:1], s[42:43], 3
	v_bfe_u32 v12, v0, 10, 10
	s_add_u32 s50, s4, s0
	s_addc_u32 s51, s5, s1
	v_and_b32_e32 v16, 0x3ff, v0
	v_mad_u64_u32 v[0:1], s[0:1], v12, s20, 0
	v_mov_b32_e32 v2, v1
	v_mad_u64_u32 v[2:3], s[0:1], v12, s21, v[2:3]
	v_mov_b32_e32 v1, v2
	s_lshl_b32 s52, s6, 5
	v_lshlrev_b64 v[0:1], 3, v[0:1]
	v_mov_b32_e32 v2, s3
	v_add_co_u32_e32 v20, vcc, s2, v0
	s_cmp_gt_i32 s6, -1
	v_add_u32_e32 v18, s52, v16
	v_addc_co_u32_e32 v21, vcc, v2, v1, vcc
	s_cselect_b64 s[18:19], -1, 0
	s_cmpk_eq_i32 s28, 0x84
	v_ashrrev_i32_e32 v19, 31, v18
	s_cselect_b64 s[22:23], -1, 0
	s_ashr_i32 s41, s29, 31
	s_ashr_i32 s6, s30, 31
	s_lshl_b64 s[42:43], s[20:21], 8
	v_add_co_u32_e32 v22, vcc, 16, v18
	v_addc_co_u32_e32 v23, vcc, 0, v19, vcc
	s_add_u32 s46, s29, -16
	s_mul_i32 s9, s39, s8
	s_mul_hi_u32 s28, s38, s8
	s_addc_u32 s47, s41, -1
	v_sub_co_u32_e32 v26, vcc, v18, v12
	s_add_i32 s9, s28, s9
	s_mul_i32 s8, s38, s8
	v_subbrev_co_u32_e32 v27, vcc, 0, v19, vcc
	s_lshl_b64 s[8:9], s[8:9], 3
	s_lshl_b64 s[26:27], s[26:27], 3
	v_add_co_u32_e32 v28, vcc, 16, v26
	s_add_u32 s8, s8, s26
	v_addc_co_u32_e32 v29, vcc, 0, v27, vcc
	s_addc_u32 s9, s9, s27
	v_add_co_u32_e32 v30, vcc, -16, v26
	s_add_u32 s8, s24, s8
	v_lshlrev_b32_e32 v0, 8, v12
	v_lshlrev_b32_e32 v13, 3, v16
	v_addc_co_u32_e32 v31, vcc, -1, v27, vcc
	s_addc_u32 s9, s25, s9
	v_add_u32_e32 v17, v13, v0
	v_add_u32_e32 v49, 0x2000, v0
	v_mov_b32_e32 v0, s9
	v_add_co_u32_e32 v1, vcc, s8, v13
	v_addc_co_u32_e32 v0, vcc, 0, v0, vcc
	s_movk_i32 s8, 0x80
	s_lshl_b64 s[24:25], s[36:37], 3
	s_lshl_b32 s53, s33, 5
	v_add_co_u32_e32 v32, vcc, s8, v1
	s_add_u32 s8, s16, s12
	s_addc_u32 s9, s17, s13
	s_add_u32 s8, s8, s10
	v_addc_co_u32_e32 v33, vcc, 0, v0, vcc
	v_mov_b32_e32 v0, 0x80
	s_addc_u32 s9, s9, s11
	v_lshl_add_u32 v2, v12, 3, v0
	v_pk_mov_b32 v[0:1], s[8:9], s[8:9] op_sel:[0,1]
	v_mad_u64_u32 v[38:39], s[8:9], s20, v2, v[0:1]
	v_mov_b32_e32 v0, v39
	s_mov_b32 s40, s29
	v_add_u32_e32 v24, 16, v18
	v_mad_u64_u32 v[0:1], s[8:9], s21, v2, v[0:1]
	v_mov_b32_e32 v15, 0
	v_cmp_le_i32_e64 s[0:1], s29, v18
	v_cmp_le_i64_e64 s[2:3], s[40:41], v[22:23]
	v_add_u32_e32 v51, v49, v13
	v_cmp_gt_i32_e64 s[4:5], s29, v18
	v_cmp_gt_i32_e64 s[14:15], s29, v24
	v_ashrrev_i32_e32 v25, 31, v24
	v_lshl_add_u32 v34, s7, 5, v12
	v_lshlrev_b64 v[36:37], 3, v[18:19]
	v_mov_b32_e32 v39, v0
	v_mov_b32_e32 v14, 1.0
	s_movk_i32 s54, 0x100
	s_branch .LBB72_4
.LBB72_3:                               ;   in Loop: Header=BB72_4 Depth=1
	s_or_b64 exec, exec, s[8:9]
	s_add_i32 s7, s33, s7
	s_cmp_le_i32 s7, s31
	v_add_u32_e32 v34, s53, v34
	s_cbranch_scc0 .LBB72_63
.LBB72_4:                               ; =>This Loop Header: Depth=1
                                        ;     Child Loop BB72_7 Depth 2
	v_lshl_add_u32 v53, s7, 5, v12
	v_ashrrev_i32_e32 v55, 31, v53
	s_andn2_b64 vcc, exec, s[18:19]
	v_mov_b32_e32 v60, v15
	v_mov_b32_e32 v62, v15
	;; [unrolled: 1-line block ×8, first 2 shown]
	s_cbranch_vccnz .LBB72_55
; %bb.5:                                ;   in Loop: Header=BB72_4 Depth=1
	v_ashrrev_i32_e32 v35, 31, v34
	v_mad_u64_u32 v[40:41], s[8:9], s24, v34, v[32:33]
	v_mul_lo_u32 v0, s25, v34
	v_mul_lo_u32 v1, s24, v35
	v_add3_u32 v41, v0, v41, v1
	v_lshlrev_b64 v[0:1], 3, v[34:35]
	v_add_co_u32_e32 v0, vcc, 0x80, v0
	v_addc_co_u32_e32 v1, vcc, 0, v1, vcc
	v_mul_lo_u32 v1, s36, v1
	v_mul_lo_u32 v2, s37, v0
	v_mad_u64_u32 v[42:43], s[8:9], s36, v0, v[32:33]
	v_add3_u32 v43, v2, v43, v1
	v_mov_b32_e32 v1, s6
	v_sub_co_u32_e32 v0, vcc, s30, v53
	v_subb_co_u32_e32 v1, vcc, v1, v55, vcc
	s_mov_b64 s[20:21], 0
	v_cmp_lt_i64_e64 s[8:9], 0, v[0:1]
	v_cmp_lt_i64_e64 s[10:11], 16, v[0:1]
	v_mov_b32_e32 v48, 0
	v_pk_mov_b32 v[44:45], v[38:39], v[38:39] op_sel:[0,1]
	v_pk_mov_b32 v[46:47], v[20:21], v[20:21] op_sel:[0,1]
	v_mov_b32_e32 v50, 0
	v_mov_b32_e32 v54, 0
	;; [unrolled: 1-line block ×7, first 2 shown]
	s_branch .LBB72_7
.LBB72_6:                               ;   in Loop: Header=BB72_7 Depth=2
	s_or_b64 exec, exec, s[12:13]
	s_waitcnt lgkmcnt(0)
	s_barrier
	ds_read2_b64 v[64:67], v13 offset1:16
	ds_read_b128 v[68:71], v49
	ds_read_b128 v[8:11], v49 offset:16
	ds_read_b128 v[4:7], v49 offset:32
	;; [unrolled: 1-line block ×3, first 2 shown]
	v_add_co_u32_e32 v40, vcc, s54, v40
	s_waitcnt lgkmcnt(3)
	v_mul_f32_e32 v35, v69, v65
	v_mul_f32_e32 v57, v68, v65
	v_fma_f32 v35, v68, v64, -v35
	v_fmac_f32_e32 v57, v69, v64
	v_add_f32_e32 v35, v60, v35
	v_add_f32_e32 v76, v62, v57
	ds_read_b128 v[60:63], v49 offset:4096
	v_mul_f32_e32 v57, v69, v67
	v_mul_f32_e32 v59, v68, v67
	v_fma_f32 v57, v68, v66, -v57
	v_fmac_f32_e32 v59, v69, v66
	v_add_f32_e32 v68, v56, v57
	v_add_f32_e32 v69, v58, v59
	ds_read_b128 v[56:59], v49 offset:4112
	s_waitcnt lgkmcnt(1)
	v_mul_f32_e32 v72, v61, v65
	v_fma_f32 v72, v60, v64, -v72
	v_add_f32_e32 v52, v52, v72
	ds_read2_b64 v[72:75], v13 offset0:32 offset1:48
	v_mul_f32_e32 v65, v60, v65
	v_fmac_f32_e32 v65, v61, v64
	v_mul_f32_e32 v64, v61, v67
	v_fma_f32 v64, v60, v66, -v64
	v_mul_f32_e32 v60, v60, v67
	v_fmac_f32_e32 v60, v61, v66
	v_add_f32_e32 v48, v48, v60
	s_waitcnt lgkmcnt(0)
	v_mul_f32_e32 v60, v71, v73
	v_mul_f32_e32 v61, v70, v73
	v_fma_f32 v60, v70, v72, -v60
	v_fmac_f32_e32 v61, v71, v72
	v_add_f32_e32 v50, v50, v64
	v_add_f32_e32 v35, v35, v60
	;; [unrolled: 1-line block ×3, first 2 shown]
	v_mul_f32_e32 v61, v71, v75
	v_mul_f32_e32 v64, v70, v75
	v_fma_f32 v61, v70, v74, -v61
	v_fmac_f32_e32 v64, v71, v74
	v_add_f32_e32 v61, v68, v61
	v_add_f32_e32 v68, v69, v64
	v_mul_f32_e32 v64, v63, v73
	v_add_f32_e32 v54, v54, v65
	v_fma_f32 v64, v62, v72, -v64
	v_mul_f32_e32 v65, v62, v73
	v_fmac_f32_e32 v65, v63, v72
	v_add_f32_e32 v52, v52, v64
	v_mul_f32_e32 v64, v63, v75
	v_add_f32_e32 v54, v54, v65
	v_fma_f32 v69, v62, v74, -v64
	ds_read2_b64 v[64:67], v13 offset0:64 offset1:80
	v_mul_f32_e32 v62, v62, v75
	v_fmac_f32_e32 v62, v63, v74
	v_add_f32_e32 v50, v50, v69
	v_add_f32_e32 v48, v48, v62
	s_waitcnt lgkmcnt(0)
	v_mul_f32_e32 v63, v8, v65
	v_fmac_f32_e32 v63, v9, v64
	v_mul_f32_e32 v62, v9, v65
	v_add_f32_e32 v69, v60, v63
	v_mul_f32_e32 v60, v9, v67
	v_fma_f32 v62, v8, v64, -v62
	v_fma_f32 v60, v8, v66, -v60
	v_mul_f32_e32 v8, v8, v67
	v_fmac_f32_e32 v8, v9, v66
	v_add_f32_e32 v9, v61, v60
	v_mul_f32_e32 v60, v57, v65
	v_fma_f32 v60, v56, v64, -v60
	v_mul_f32_e32 v61, v56, v65
	v_fmac_f32_e32 v61, v57, v64
	v_add_f32_e32 v52, v52, v60
	v_mul_f32_e32 v60, v57, v67
	v_add_f32_e32 v35, v35, v62
	v_add_f32_e32 v54, v54, v61
	v_fma_f32 v64, v56, v66, -v60
	ds_read2_b64 v[60:63], v13 offset0:96 offset1:112
	v_mul_f32_e32 v56, v56, v67
	v_fmac_f32_e32 v56, v57, v66
	v_add_f32_e32 v48, v48, v56
	v_add_f32_e32 v8, v68, v8
	s_waitcnt lgkmcnt(0)
	v_mul_f32_e32 v56, v11, v61
	v_mul_f32_e32 v57, v10, v61
	v_fma_f32 v56, v10, v60, -v56
	v_fmac_f32_e32 v57, v11, v60
	v_add_f32_e32 v35, v35, v56
	v_add_f32_e32 v56, v69, v57
	v_mul_f32_e32 v57, v11, v63
	v_fma_f32 v57, v10, v62, -v57
	v_mul_f32_e32 v10, v10, v63
	v_fmac_f32_e32 v10, v11, v62
	v_add_f32_e32 v65, v8, v10
	v_mul_f32_e32 v8, v59, v61
	v_add_f32_e32 v50, v50, v64
	v_add_f32_e32 v64, v9, v57
	v_fma_f32 v8, v58, v60, -v8
	v_mul_f32_e32 v9, v58, v61
	v_fmac_f32_e32 v9, v59, v60
	v_add_f32_e32 v52, v52, v8
	v_mul_f32_e32 v8, v59, v63
	v_add_f32_e32 v54, v54, v9
	v_fma_f32 v57, v58, v62, -v8
	ds_read2_b64 v[8:11], v13 offset0:128 offset1:144
	v_mul_f32_e32 v58, v58, v63
	v_fmac_f32_e32 v58, v59, v62
	v_add_f32_e32 v48, v48, v58
	v_add_f32_e32 v50, v50, v57
	s_waitcnt lgkmcnt(0)
	v_mul_f32_e32 v58, v4, v9
	v_mul_f32_e32 v57, v5, v9
	v_fmac_f32_e32 v58, v5, v8
	v_fma_f32 v57, v4, v8, -v57
	v_add_f32_e32 v68, v56, v58
	v_mul_f32_e32 v56, v5, v11
	v_add_f32_e32 v35, v35, v57
	v_fma_f32 v60, v4, v10, -v56
	ds_read_b128 v[56:59], v49 offset:4128
	v_mul_f32_e32 v4, v4, v11
	v_fmac_f32_e32 v4, v5, v10
	v_add_f32_e32 v5, v64, v60
	ds_read_b128 v[60:63], v49 offset:4144
	s_waitcnt lgkmcnt(1)
	v_mul_f32_e32 v64, v57, v9
	v_fma_f32 v64, v56, v8, -v64
	v_mul_f32_e32 v9, v56, v9
	v_add_f32_e32 v4, v65, v4
	v_fmac_f32_e32 v9, v57, v8
	v_add_f32_e32 v8, v52, v64
	ds_read2_b64 v[64:67], v13 offset0:160 offset1:176
	v_mul_f32_e32 v52, v57, v11
	v_mul_f32_e32 v11, v56, v11
	v_fma_f32 v52, v56, v10, -v52
	v_fmac_f32_e32 v11, v57, v10
	v_add_f32_e32 v10, v50, v52
	v_add_f32_e32 v11, v48, v11
	s_waitcnt lgkmcnt(0)
	v_mul_f32_e32 v48, v7, v65
	v_mul_f32_e32 v50, v6, v65
	v_fma_f32 v48, v6, v64, -v48
	v_fmac_f32_e32 v50, v7, v64
	v_add_f32_e32 v35, v35, v48
	v_add_f32_e32 v48, v68, v50
	v_mul_f32_e32 v50, v7, v67
	v_fma_f32 v50, v6, v66, -v50
	v_mul_f32_e32 v6, v6, v67
	v_fmac_f32_e32 v6, v7, v66
	v_add_f32_e32 v52, v4, v6
	v_mul_f32_e32 v4, v59, v65
	v_add_f32_e32 v50, v5, v50
	v_fma_f32 v4, v58, v64, -v4
	v_mul_f32_e32 v5, v58, v65
	v_add_f32_e32 v9, v54, v9
	v_fmac_f32_e32 v5, v59, v64
	v_add_f32_e32 v8, v8, v4
	v_mul_f32_e32 v4, v59, v67
	v_add_f32_e32 v9, v9, v5
	v_fma_f32 v54, v58, v66, -v4
	ds_read2_b64 v[4:7], v13 offset0:192 offset1:208
	v_add_f32_e32 v54, v10, v54
	v_mul_f32_e32 v56, v58, v67
	v_fmac_f32_e32 v56, v59, v66
	v_add_f32_e32 v56, v11, v56
	s_waitcnt lgkmcnt(0)
	v_mul_f32_e32 v10, v1, v5
	v_fma_f32 v10, v0, v4, -v10
	v_add_f32_e32 v35, v35, v10
	v_mul_f32_e32 v10, v1, v7
	v_mul_f32_e32 v11, v0, v5
	v_fma_f32 v10, v0, v6, -v10
	v_mul_f32_e32 v0, v0, v7
	v_fmac_f32_e32 v11, v1, v4
	v_fmac_f32_e32 v0, v1, v6
	v_add_f32_e32 v1, v50, v10
	v_mul_f32_e32 v10, v61, v5
	v_fma_f32 v10, v60, v4, -v10
	v_mul_f32_e32 v5, v60, v5
	v_fmac_f32_e32 v5, v61, v4
	v_add_f32_e32 v4, v8, v10
	v_mul_f32_e32 v8, v61, v7
	v_add_f32_e32 v48, v48, v11
	v_add_f32_e32 v5, v9, v5
	v_fma_f32 v50, v60, v6, -v8
	ds_read2_b64 v[8:11], v13 offset0:224 offset1:240
	v_mul_f32_e32 v7, v60, v7
	v_fmac_f32_e32 v7, v61, v6
	v_add_f32_e32 v0, v52, v0
	v_add_f32_e32 v52, v56, v7
	s_waitcnt lgkmcnt(0)
	v_mul_f32_e32 v6, v3, v9
	v_fma_f32 v6, v2, v8, -v6
	v_add_f32_e32 v35, v35, v6
	v_mul_f32_e32 v6, v3, v11
	v_mul_f32_e32 v7, v2, v9
	v_fma_f32 v6, v2, v10, -v6
	v_mul_f32_e32 v2, v2, v11
	v_fmac_f32_e32 v2, v3, v10
	v_add_f32_e32 v50, v54, v50
	v_add_f32_e32 v54, v0, v2
	v_mul_f32_e32 v0, v63, v9
	v_fma_f32 v0, v62, v8, -v0
	v_mul_f32_e32 v2, v62, v9
	v_add_f32_e32 v68, v4, v0
	v_mul_f32_e32 v0, v63, v11
	v_fmac_f32_e32 v7, v3, v8
	v_fmac_f32_e32 v2, v63, v8
	v_fma_f32 v56, v62, v10, -v0
	v_add_u32_e32 v0, 0x800, v13
	v_add_f32_e32 v48, v48, v7
	v_add_f32_e32 v1, v1, v6
	;; [unrolled: 1-line block ×3, first 2 shown]
	ds_read2_b64 v[2:5], v0 offset1:16
	ds_read_b128 v[6:9], v49 offset:64
	v_mul_f32_e32 v11, v62, v11
	v_fmac_f32_e32 v11, v63, v10
	v_add_f32_e32 v10, v50, v56
	ds_read_b128 v[56:59], v49 offset:80
	ds_read_b128 v[60:63], v49 offset:4160
	s_waitcnt lgkmcnt(2)
	v_mul_f32_e32 v50, v7, v3
	v_fma_f32 v50, v6, v2, -v50
	v_add_f32_e32 v35, v35, v50
	v_mul_f32_e32 v50, v7, v5
	v_add_f32_e32 v11, v52, v11
	v_mul_f32_e32 v52, v6, v3
	v_fma_f32 v50, v6, v4, -v50
	v_mul_f32_e32 v6, v6, v5
	v_fmac_f32_e32 v52, v7, v2
	v_fmac_f32_e32 v6, v7, v4
	s_waitcnt lgkmcnt(0)
	v_mul_f32_e32 v7, v61, v3
	v_mul_f32_e32 v3, v60, v3
	v_fma_f32 v7, v60, v2, -v7
	v_fmac_f32_e32 v3, v61, v2
	v_add_f32_e32 v2, v68, v7
	v_add_f32_e32 v3, v69, v3
	ds_read2_b64 v[68:71], v0 offset0:32 offset1:48
	v_mul_f32_e32 v7, v61, v5
	v_mul_f32_e32 v5, v60, v5
	v_fma_f32 v7, v60, v4, -v7
	v_fmac_f32_e32 v5, v61, v4
	s_waitcnt lgkmcnt(0)
	v_mul_f32_e32 v4, v9, v69
	v_add_f32_e32 v7, v10, v7
	v_add_f32_e32 v10, v11, v5
	v_fma_f32 v4, v8, v68, -v4
	v_mul_f32_e32 v5, v8, v69
	v_add_f32_e32 v48, v48, v52
	v_fmac_f32_e32 v5, v9, v68
	v_add_f32_e32 v11, v35, v4
	v_mul_f32_e32 v4, v9, v71
	v_add_f32_e32 v1, v1, v50
	v_add_f32_e32 v35, v48, v5
	v_fma_f32 v4, v8, v70, -v4
	v_mul_f32_e32 v5, v8, v71
	v_add_f32_e32 v6, v54, v6
	v_fmac_f32_e32 v5, v9, v70
	v_add_f32_e32 v1, v1, v4
	v_mul_f32_e32 v4, v63, v69
	v_add_f32_e32 v6, v6, v5
	v_fma_f32 v4, v62, v68, -v4
	v_mul_f32_e32 v5, v62, v69
	v_fmac_f32_e32 v5, v63, v68
	v_add_f32_e32 v8, v2, v4
	v_mul_f32_e32 v2, v63, v71
	v_add_f32_e32 v9, v3, v5
	v_fma_f32 v48, v62, v70, -v2
	ds_read2_b64 v[2:5], v0 offset0:64 offset1:80
	v_mul_f32_e32 v50, v62, v71
	ds_read_b128 v[64:67], v49 offset:4176
	v_fmac_f32_e32 v50, v63, v70
	v_add_f32_e32 v10, v10, v50
	s_waitcnt lgkmcnt(1)
	v_mul_f32_e32 v50, v56, v3
	v_fmac_f32_e32 v50, v57, v2
	v_add_f32_e32 v35, v35, v50
	v_mul_f32_e32 v50, v56, v5
	v_add_f32_e32 v48, v7, v48
	v_mul_f32_e32 v7, v57, v3
	v_fmac_f32_e32 v50, v57, v4
	v_fma_f32 v7, v56, v2, -v7
	v_add_f32_e32 v50, v6, v50
	s_waitcnt lgkmcnt(0)
	v_mul_f32_e32 v6, v65, v3
	v_add_f32_e32 v11, v11, v7
	v_mul_f32_e32 v7, v57, v5
	v_fma_f32 v6, v64, v2, -v6
	v_mul_f32_e32 v3, v64, v3
	v_fma_f32 v7, v56, v4, -v7
	v_fmac_f32_e32 v3, v65, v2
	v_add_f32_e32 v2, v8, v6
	v_mul_f32_e32 v6, v65, v5
	v_add_f32_e32 v1, v1, v7
	v_add_f32_e32 v3, v9, v3
	v_fma_f32 v52, v64, v4, -v6
	ds_read2_b64 v[6:9], v0 offset0:96 offset1:112
	v_mul_f32_e32 v5, v64, v5
	v_fmac_f32_e32 v5, v65, v4
	v_add_f32_e32 v10, v10, v5
	v_add_f32_e32 v48, v48, v52
	s_waitcnt lgkmcnt(0)
	v_mul_f32_e32 v4, v59, v7
	v_fma_f32 v4, v58, v6, -v4
	v_mul_f32_e32 v5, v58, v7
	v_fmac_f32_e32 v5, v59, v6
	v_add_f32_e32 v11, v11, v4
	v_mul_f32_e32 v4, v59, v9
	v_add_f32_e32 v35, v35, v5
	v_fma_f32 v4, v58, v8, -v4
	v_mul_f32_e32 v5, v58, v9
	v_fmac_f32_e32 v5, v59, v8
	v_add_f32_e32 v1, v1, v4
	v_mul_f32_e32 v4, v67, v7
	v_add_f32_e32 v50, v50, v5
	;; [unrolled: 6-line block ×3, first 2 shown]
	v_fma_f32 v6, v66, v8, -v2
	ds_read2_b64 v[2:5], v0 offset0:128 offset1:144
	ds_read_b128 v[56:59], v49 offset:96
	v_mul_f32_e32 v7, v66, v9
	v_fmac_f32_e32 v7, v67, v8
	v_add_f32_e32 v48, v48, v6
	v_add_f32_e32 v10, v10, v7
	s_waitcnt lgkmcnt(0)
	v_mul_f32_e32 v60, v57, v3
	v_fma_f32 v60, v56, v2, -v60
	v_mul_f32_e32 v61, v56, v3
	v_fmac_f32_e32 v61, v57, v2
	v_add_f32_e32 v11, v11, v60
	v_mul_f32_e32 v60, v57, v5
	ds_read_b128 v[6:9], v49 offset:112
	v_add_f32_e32 v35, v35, v61
	v_fma_f32 v64, v56, v4, -v60
	ds_read_b128 v[60:63], v49 offset:4192
	v_mul_f32_e32 v56, v56, v5
	ds_read2_b64 v[68:71], v0 offset0:160 offset1:176
	v_fmac_f32_e32 v56, v57, v4
	v_add_f32_e32 v50, v50, v56
	s_waitcnt lgkmcnt(1)
	v_mul_f32_e32 v56, v61, v3
	v_fma_f32 v56, v60, v2, -v56
	v_mul_f32_e32 v3, v60, v3
	v_fmac_f32_e32 v3, v61, v2
	v_add_f32_e32 v2, v52, v56
	v_mul_f32_e32 v52, v61, v5
	v_mul_f32_e32 v5, v60, v5
	v_fma_f32 v52, v60, v4, -v52
	v_fmac_f32_e32 v5, v61, v4
	s_waitcnt lgkmcnt(0)
	v_mul_f32_e32 v4, v59, v69
	v_add_f32_e32 v10, v10, v5
	v_fma_f32 v4, v58, v68, -v4
	v_mul_f32_e32 v5, v58, v69
	v_fmac_f32_e32 v5, v59, v68
	v_add_f32_e32 v11, v11, v4
	v_mul_f32_e32 v4, v59, v71
	v_add_f32_e32 v1, v1, v64
	v_add_f32_e32 v35, v35, v5
	v_fma_f32 v4, v58, v70, -v4
	v_mul_f32_e32 v5, v58, v71
	v_fmac_f32_e32 v5, v59, v70
	v_add_f32_e32 v1, v1, v4
	v_mul_f32_e32 v4, v63, v69
	v_add_f32_e32 v50, v50, v5
	v_fma_f32 v4, v62, v68, -v4
	v_mul_f32_e32 v5, v62, v69
	v_add_f32_e32 v3, v54, v3
	v_add_f32_e32 v48, v48, v52
	v_fmac_f32_e32 v5, v63, v68
	v_add_f32_e32 v52, v2, v4
	v_mul_f32_e32 v2, v63, v71
	v_add_f32_e32 v54, v3, v5
	v_fma_f32 v56, v62, v70, -v2
	ds_read2_b64 v[2:5], v0 offset0:192 offset1:208
	ds_read_b128 v[64:67], v49 offset:4208
	v_add_f32_e32 v48, v48, v56
	v_mul_f32_e32 v57, v62, v71
	v_fmac_f32_e32 v57, v63, v70
	s_waitcnt lgkmcnt(1)
	v_mul_f32_e32 v56, v7, v3
	v_fma_f32 v56, v6, v2, -v56
	v_add_f32_e32 v11, v11, v56
	v_mul_f32_e32 v56, v7, v5
	v_add_f32_e32 v10, v10, v57
	v_mul_f32_e32 v57, v6, v3
	v_fma_f32 v56, v6, v4, -v56
	v_mul_f32_e32 v6, v6, v5
	v_fmac_f32_e32 v57, v7, v2
	v_fmac_f32_e32 v6, v7, v4
	v_add_f32_e32 v7, v1, v56
	s_waitcnt lgkmcnt(0)
	v_mul_f32_e32 v1, v65, v3
	v_fma_f32 v1, v64, v2, -v1
	v_mul_f32_e32 v3, v64, v3
	v_add_f32_e32 v6, v50, v6
	v_fmac_f32_e32 v3, v65, v2
	v_add_f32_e32 v50, v52, v1
	v_mul_f32_e32 v1, v65, v5
	v_add_f32_e32 v52, v54, v3
	v_fma_f32 v54, v64, v4, -v1
	ds_read2_b64 v[0:3], v0 offset0:224 offset1:240
	v_mul_f32_e32 v5, v64, v5
	v_fmac_f32_e32 v5, v65, v4
	v_add_f32_e32 v48, v48, v54
	v_add_f32_e32 v54, v10, v5
	s_waitcnt lgkmcnt(0)
	v_mul_f32_e32 v4, v9, v1
	v_fma_f32 v4, v8, v0, -v4
	v_add_f32_e32 v60, v11, v4
	v_mul_f32_e32 v4, v9, v3
	v_mul_f32_e32 v5, v8, v1
	v_fma_f32 v4, v8, v2, -v4
	v_add_f32_e32 v35, v35, v57
	v_fmac_f32_e32 v5, v9, v0
	v_add_f32_e32 v64, v7, v4
	v_mul_f32_e32 v4, v67, v1
	v_mul_f32_e32 v1, v66, v1
	v_add_f32_e32 v35, v35, v5
	v_mul_f32_e32 v5, v8, v3
	v_fma_f32 v4, v66, v0, -v4
	v_fmac_f32_e32 v1, v67, v0
	v_mul_f32_e32 v0, v67, v3
	v_fmac_f32_e32 v5, v9, v2
	v_add_f32_e32 v1, v52, v1
	v_fma_f32 v52, v66, v2, -v0
	v_add_u32_e32 v0, 0x1000, v13
	v_add_f32_e32 v65, v6, v5
	v_add_f32_e32 v50, v50, v4
	ds_read2_b64 v[4:7], v0 offset1:16
	ds_read_b128 v[8:11], v49 offset:128
	v_mul_f32_e32 v3, v66, v3
	v_fmac_f32_e32 v3, v67, v2
	v_add_f32_e32 v48, v48, v52
	v_add_f32_e32 v52, v54, v3
	s_waitcnt lgkmcnt(0)
	v_mul_f32_e32 v2, v9, v5
	v_fma_f32 v2, v8, v4, -v2
	ds_read_b128 v[56:59], v49 offset:144
	v_add_f32_e32 v54, v60, v2
	ds_read_b128 v[60:63], v49 offset:4224
	v_mul_f32_e32 v3, v8, v5
	v_fmac_f32_e32 v3, v9, v4
	v_mul_f32_e32 v2, v9, v7
	v_add_f32_e32 v35, v35, v3
	v_fma_f32 v2, v8, v6, -v2
	v_mul_f32_e32 v3, v8, v7
	v_fmac_f32_e32 v3, v9, v6
	v_add_f32_e32 v8, v64, v2
	s_waitcnt lgkmcnt(0)
	v_mul_f32_e32 v2, v61, v5
	v_add_f32_e32 v9, v65, v3
	v_fma_f32 v2, v60, v4, -v2
	v_mul_f32_e32 v3, v60, v5
	v_fmac_f32_e32 v3, v61, v4
	v_add_f32_e32 v50, v50, v2
	v_mul_f32_e32 v2, v61, v7
	v_add_f32_e32 v1, v1, v3
	v_fma_f32 v68, v60, v6, -v2
	ds_read2_b64 v[2:5], v0 offset0:32 offset1:48
	v_mul_f32_e32 v7, v60, v7
	v_fmac_f32_e32 v7, v61, v6
	v_add_f32_e32 v52, v52, v7
	ds_read_b128 v[64:67], v49 offset:4240
	s_waitcnt lgkmcnt(1)
	v_mul_f32_e32 v6, v11, v3
	v_fma_f32 v6, v10, v2, -v6
	v_mul_f32_e32 v7, v10, v3
	v_add_f32_e32 v54, v54, v6
	v_mul_f32_e32 v6, v11, v5
	v_fmac_f32_e32 v7, v11, v2
	v_fma_f32 v6, v10, v4, -v6
	v_add_f32_e32 v35, v35, v7
	v_mul_f32_e32 v7, v10, v5
	v_add_f32_e32 v10, v8, v6
	v_mul_f32_e32 v6, v63, v3
	v_fmac_f32_e32 v7, v11, v4
	v_fma_f32 v6, v62, v2, -v6
	v_mul_f32_e32 v3, v62, v3
	v_add_f32_e32 v11, v9, v7
	v_fmac_f32_e32 v3, v63, v2
	v_add_f32_e32 v2, v50, v6
	ds_read2_b64 v[6:9], v0 offset0:64 offset1:80
	v_add_f32_e32 v1, v1, v3
	v_mul_f32_e32 v3, v63, v5
	v_add_f32_e32 v48, v48, v68
	v_fma_f32 v3, v62, v4, -v3
	v_mul_f32_e32 v5, v62, v5
	v_add_f32_e32 v48, v48, v3
	s_waitcnt lgkmcnt(0)
	v_mul_f32_e32 v3, v57, v7
	v_fmac_f32_e32 v5, v63, v4
	v_fma_f32 v3, v56, v6, -v3
	v_mul_f32_e32 v4, v56, v7
	v_add_f32_e32 v50, v52, v5
	v_fmac_f32_e32 v4, v57, v6
	v_add_f32_e32 v52, v54, v3
	v_mul_f32_e32 v3, v57, v9
	v_add_f32_e32 v35, v35, v4
	v_fma_f32 v3, v56, v8, -v3
	v_mul_f32_e32 v4, v56, v9
	v_fmac_f32_e32 v4, v57, v8
	v_add_f32_e32 v10, v10, v3
	v_mul_f32_e32 v3, v65, v7
	v_add_f32_e32 v11, v11, v4
	v_fma_f32 v3, v64, v6, -v3
	v_mul_f32_e32 v4, v64, v7
	v_fmac_f32_e32 v4, v65, v6
	v_add_f32_e32 v6, v2, v3
	v_mul_f32_e32 v2, v65, v9
	v_add_f32_e32 v1, v1, v4
	v_fma_f32 v7, v64, v8, -v2
	ds_read2_b64 v[2:5], v0 offset0:96 offset1:112
	v_add_f32_e32 v48, v48, v7
	v_mul_f32_e32 v9, v64, v9
	v_fmac_f32_e32 v9, v65, v8
	v_add_f32_e32 v50, v50, v9
	s_waitcnt lgkmcnt(0)
	v_mul_f32_e32 v7, v59, v3
	v_fma_f32 v7, v58, v2, -v7
	v_mul_f32_e32 v8, v58, v3
	v_add_f32_e32 v52, v52, v7
	v_mul_f32_e32 v7, v59, v5
	v_fmac_f32_e32 v8, v59, v2
	v_fma_f32 v7, v58, v4, -v7
	v_add_f32_e32 v35, v35, v8
	v_mul_f32_e32 v8, v58, v5
	v_add_f32_e32 v10, v10, v7
	v_mul_f32_e32 v7, v67, v3
	v_fmac_f32_e32 v8, v59, v4
	v_fma_f32 v7, v66, v2, -v7
	v_add_f32_e32 v11, v11, v8
	v_add_f32_e32 v54, v6, v7
	ds_read2_b64 v[6:9], v0 offset0:128 offset1:144
	ds_read_b128 v[56:59], v49 offset:160
	v_mul_f32_e32 v3, v66, v3
	v_fmac_f32_e32 v3, v67, v2
	v_add_f32_e32 v1, v1, v3
	v_mul_f32_e32 v2, v67, v5
	s_waitcnt lgkmcnt(0)
	v_mul_f32_e32 v60, v57, v7
	v_mul_f32_e32 v3, v66, v5
	v_fma_f32 v60, v56, v6, -v60
	v_mul_f32_e32 v61, v56, v7
	v_fma_f32 v2, v66, v4, -v2
	v_fmac_f32_e32 v3, v67, v4
	v_fmac_f32_e32 v61, v57, v6
	v_add_f32_e32 v52, v52, v60
	v_mul_f32_e32 v60, v57, v9
	v_add_f32_e32 v48, v48, v2
	v_add_f32_e32 v50, v50, v3
	ds_read_b128 v[2:5], v49 offset:176
	v_add_f32_e32 v35, v35, v61
	v_fma_f32 v64, v56, v8, -v60
	ds_read_b128 v[60:63], v49 offset:4256
	v_mul_f32_e32 v56, v56, v9
	v_fmac_f32_e32 v56, v57, v8
	ds_read2_b64 v[68:71], v0 offset0:160 offset1:176
	v_add_f32_e32 v11, v11, v56
	s_waitcnt lgkmcnt(1)
	v_mul_f32_e32 v56, v61, v7
	v_mul_f32_e32 v7, v60, v7
	v_fmac_f32_e32 v7, v61, v6
	v_add_f32_e32 v1, v1, v7
	v_mul_f32_e32 v7, v61, v9
	v_fma_f32 v7, v60, v8, -v7
	v_mul_f32_e32 v9, v60, v9
	v_add_f32_e32 v48, v48, v7
	s_waitcnt lgkmcnt(0)
	v_mul_f32_e32 v7, v59, v69
	v_fmac_f32_e32 v9, v61, v8
	v_fma_f32 v7, v58, v68, -v7
	v_mul_f32_e32 v8, v58, v69
	v_fmac_f32_e32 v8, v59, v68
	v_add_f32_e32 v52, v52, v7
	v_mul_f32_e32 v7, v59, v71
	v_add_f32_e32 v10, v10, v64
	v_add_f32_e32 v35, v35, v8
	v_fma_f32 v7, v58, v70, -v7
	v_mul_f32_e32 v8, v58, v71
	v_fma_f32 v56, v60, v6, -v56
	v_fmac_f32_e32 v8, v59, v70
	v_add_f32_e32 v10, v10, v7
	v_mul_f32_e32 v7, v63, v69
	v_add_f32_e32 v6, v54, v56
	v_add_f32_e32 v11, v11, v8
	v_fma_f32 v7, v62, v68, -v7
	v_mul_f32_e32 v8, v62, v69
	v_fmac_f32_e32 v8, v63, v68
	v_add_f32_e32 v54, v6, v7
	v_mul_f32_e32 v6, v63, v71
	v_add_f32_e32 v50, v50, v9
	v_add_f32_e32 v1, v1, v8
	v_fma_f32 v56, v62, v70, -v6
	ds_read2_b64 v[6:9], v0 offset0:192 offset1:208
	ds_read_b128 v[64:67], v49 offset:4272
	v_add_f32_e32 v48, v48, v56
	v_mul_f32_e32 v57, v62, v71
	v_fmac_f32_e32 v57, v63, v70
	s_waitcnt lgkmcnt(1)
	v_mul_f32_e32 v56, v3, v7
	v_fma_f32 v56, v2, v6, -v56
	v_add_f32_e32 v52, v52, v56
	v_mul_f32_e32 v56, v3, v9
	v_add_f32_e32 v50, v50, v57
	v_mul_f32_e32 v57, v2, v7
	v_fma_f32 v56, v2, v8, -v56
	v_mul_f32_e32 v2, v2, v9
	v_fmac_f32_e32 v57, v3, v6
	v_fmac_f32_e32 v2, v3, v8
	s_waitcnt lgkmcnt(0)
	v_mul_f32_e32 v3, v64, v7
	v_add_f32_e32 v11, v11, v2
	v_mul_f32_e32 v2, v65, v7
	v_fmac_f32_e32 v3, v65, v6
	v_fma_f32 v2, v64, v6, -v2
	v_add_f32_e32 v7, v1, v3
	v_mul_f32_e32 v1, v65, v9
	v_add_f32_e32 v6, v54, v2
	v_fma_f32 v54, v64, v8, -v1
	ds_read2_b64 v[0:3], v0 offset0:224 offset1:240
	v_mul_f32_e32 v9, v64, v9
	v_fmac_f32_e32 v9, v65, v8
	v_add_f32_e32 v50, v50, v9
	v_add_f32_e32 v35, v35, v57
	s_waitcnt lgkmcnt(0)
	v_mul_f32_e32 v8, v5, v1
	v_fma_f32 v8, v4, v0, -v8
	v_add_f32_e32 v52, v52, v8
	v_mul_f32_e32 v8, v5, v3
	v_mul_f32_e32 v9, v4, v1
	v_fma_f32 v8, v4, v2, -v8
	v_mul_f32_e32 v4, v4, v3
	v_fmac_f32_e32 v4, v5, v2
	v_add_f32_e32 v64, v11, v4
	v_mul_f32_e32 v4, v67, v1
	v_mul_f32_e32 v1, v66, v1
	v_fmac_f32_e32 v9, v5, v0
	v_fma_f32 v4, v66, v0, -v4
	v_fmac_f32_e32 v1, v67, v0
	v_mul_f32_e32 v0, v67, v3
	v_add_f32_e32 v10, v10, v56
	v_fma_f32 v56, v66, v2, -v0
	v_add_u32_e32 v0, 0x1800, v13
	v_add_f32_e32 v48, v48, v54
	v_add_f32_e32 v35, v35, v9
	;; [unrolled: 1-line block ×5, first 2 shown]
	ds_read2_b64 v[4:7], v0 offset1:16
	ds_read_b128 v[8:11], v49 offset:192
	v_mul_f32_e32 v3, v66, v3
	v_add_f32_e32 v48, v48, v56
	ds_read_b128 v[56:59], v49 offset:208
	ds_read_b128 v[60:63], v49 offset:4288
	v_fmac_f32_e32 v3, v67, v2
	s_waitcnt lgkmcnt(2)
	v_mul_f32_e32 v2, v9, v5
	v_add_f32_e32 v50, v50, v3
	v_fma_f32 v2, v8, v4, -v2
	v_mul_f32_e32 v3, v8, v5
	v_fmac_f32_e32 v3, v9, v4
	v_add_f32_e32 v52, v52, v2
	v_mul_f32_e32 v2, v9, v7
	v_add_f32_e32 v35, v35, v3
	v_fma_f32 v2, v8, v6, -v2
	v_mul_f32_e32 v3, v8, v7
	v_fmac_f32_e32 v3, v9, v6
	v_add_f32_e32 v8, v54, v2
	s_waitcnt lgkmcnt(0)
	v_mul_f32_e32 v2, v61, v5
	v_add_f32_e32 v9, v64, v3
	v_fma_f32 v2, v60, v4, -v2
	v_mul_f32_e32 v3, v60, v5
	v_fmac_f32_e32 v3, v61, v4
	v_add_f32_e32 v54, v68, v2
	v_mul_f32_e32 v2, v61, v7
	v_add_f32_e32 v1, v1, v3
	v_fma_f32 v68, v60, v6, -v2
	ds_read2_b64 v[2:5], v0 offset0:32 offset1:48
	v_mul_f32_e32 v7, v60, v7
	v_fmac_f32_e32 v7, v61, v6
	v_add_f32_e32 v50, v50, v7
	ds_read_b128 v[64:67], v49 offset:4304
	s_waitcnt lgkmcnt(1)
	v_mul_f32_e32 v6, v11, v3
	v_fma_f32 v6, v10, v2, -v6
	v_mul_f32_e32 v7, v10, v3
	v_add_f32_e32 v52, v52, v6
	v_mul_f32_e32 v6, v11, v5
	v_fmac_f32_e32 v7, v11, v2
	v_fma_f32 v6, v10, v4, -v6
	v_add_f32_e32 v35, v35, v7
	v_mul_f32_e32 v7, v10, v5
	v_add_f32_e32 v10, v8, v6
	v_mul_f32_e32 v6, v63, v3
	v_fmac_f32_e32 v7, v11, v4
	v_fma_f32 v6, v62, v2, -v6
	v_mul_f32_e32 v3, v62, v3
	v_add_f32_e32 v11, v9, v7
	v_fmac_f32_e32 v3, v63, v2
	v_add_f32_e32 v2, v54, v6
	ds_read2_b64 v[6:9], v0 offset0:64 offset1:80
	v_add_f32_e32 v1, v1, v3
	v_mul_f32_e32 v3, v63, v5
	v_add_f32_e32 v48, v48, v68
	v_fma_f32 v3, v62, v4, -v3
	v_mul_f32_e32 v5, v62, v5
	v_add_f32_e32 v48, v48, v3
	s_waitcnt lgkmcnt(0)
	v_mul_f32_e32 v3, v57, v7
	v_fmac_f32_e32 v5, v63, v4
	v_fma_f32 v3, v56, v6, -v3
	v_mul_f32_e32 v4, v56, v7
	v_fmac_f32_e32 v4, v57, v6
	v_add_f32_e32 v52, v52, v3
	v_mul_f32_e32 v3, v57, v9
	v_add_f32_e32 v35, v35, v4
	v_fma_f32 v3, v56, v8, -v3
	v_mul_f32_e32 v4, v56, v9
	v_fmac_f32_e32 v4, v57, v8
	v_add_f32_e32 v10, v10, v3
	v_mul_f32_e32 v3, v65, v7
	v_add_f32_e32 v11, v11, v4
	;; [unrolled: 6-line block ×3, first 2 shown]
	v_add_f32_e32 v1, v1, v4
	v_fma_f32 v7, v64, v8, -v2
	ds_read2_b64 v[2:5], v0 offset0:96 offset1:112
	v_add_f32_e32 v48, v48, v7
	v_mul_f32_e32 v9, v64, v9
	v_fmac_f32_e32 v9, v65, v8
	v_add_f32_e32 v50, v50, v9
	s_waitcnt lgkmcnt(0)
	v_mul_f32_e32 v7, v59, v3
	v_fma_f32 v7, v58, v2, -v7
	v_mul_f32_e32 v8, v58, v3
	v_add_f32_e32 v52, v52, v7
	v_mul_f32_e32 v7, v59, v5
	v_fmac_f32_e32 v8, v59, v2
	v_fma_f32 v7, v58, v4, -v7
	v_add_f32_e32 v35, v35, v8
	v_mul_f32_e32 v8, v58, v5
	v_add_f32_e32 v10, v10, v7
	v_mul_f32_e32 v7, v67, v3
	v_fmac_f32_e32 v8, v59, v4
	v_fma_f32 v7, v66, v2, -v7
	v_add_f32_e32 v11, v11, v8
	v_add_f32_e32 v54, v6, v7
	ds_read2_b64 v[6:9], v0 offset0:128 offset1:144
	ds_read_b128 v[56:59], v49 offset:224
	v_mul_f32_e32 v3, v66, v3
	v_fmac_f32_e32 v3, v67, v2
	v_add_f32_e32 v1, v1, v3
	v_mul_f32_e32 v2, v67, v5
	s_waitcnt lgkmcnt(0)
	v_mul_f32_e32 v60, v57, v7
	v_mul_f32_e32 v3, v66, v5
	v_fma_f32 v60, v56, v6, -v60
	v_mul_f32_e32 v61, v56, v7
	v_fma_f32 v2, v66, v4, -v2
	v_fmac_f32_e32 v3, v67, v4
	v_fmac_f32_e32 v61, v57, v6
	v_add_f32_e32 v52, v52, v60
	v_mul_f32_e32 v60, v57, v9
	v_add_f32_e32 v48, v48, v2
	v_add_f32_e32 v50, v50, v3
	ds_read_b128 v[2:5], v49 offset:240
	v_add_f32_e32 v35, v35, v61
	v_fma_f32 v64, v56, v8, -v60
	ds_read_b128 v[60:63], v49 offset:4320
	v_mul_f32_e32 v56, v56, v9
	v_fmac_f32_e32 v56, v57, v8
	ds_read2_b64 v[68:71], v0 offset0:160 offset1:176
	v_add_f32_e32 v11, v11, v56
	s_waitcnt lgkmcnt(1)
	v_mul_f32_e32 v56, v61, v7
	v_mul_f32_e32 v7, v60, v7
	v_fmac_f32_e32 v7, v61, v6
	v_add_f32_e32 v1, v1, v7
	v_mul_f32_e32 v7, v61, v9
	v_fma_f32 v7, v60, v8, -v7
	v_mul_f32_e32 v9, v60, v9
	v_add_f32_e32 v48, v48, v7
	s_waitcnt lgkmcnt(0)
	v_mul_f32_e32 v7, v59, v69
	v_fmac_f32_e32 v9, v61, v8
	v_fma_f32 v7, v58, v68, -v7
	v_mul_f32_e32 v8, v58, v69
	v_fmac_f32_e32 v8, v59, v68
	v_add_f32_e32 v52, v52, v7
	v_mul_f32_e32 v7, v59, v71
	v_add_f32_e32 v10, v10, v64
	v_add_f32_e32 v35, v35, v8
	v_fma_f32 v7, v58, v70, -v7
	v_mul_f32_e32 v8, v58, v71
	v_fma_f32 v56, v60, v6, -v56
	v_fmac_f32_e32 v8, v59, v70
	v_add_f32_e32 v10, v10, v7
	v_mul_f32_e32 v7, v63, v69
	v_add_f32_e32 v6, v54, v56
	v_add_f32_e32 v11, v11, v8
	v_fma_f32 v7, v62, v68, -v7
	v_mul_f32_e32 v8, v62, v69
	v_fmac_f32_e32 v8, v63, v68
	v_add_f32_e32 v54, v6, v7
	v_mul_f32_e32 v6, v63, v71
	v_add_f32_e32 v50, v50, v9
	v_add_f32_e32 v1, v1, v8
	v_fma_f32 v56, v62, v70, -v6
	ds_read2_b64 v[6:9], v0 offset0:192 offset1:208
	ds_read_b128 v[64:67], v49 offset:4336
	v_add_f32_e32 v48, v48, v56
	v_mul_f32_e32 v57, v62, v71
	v_fmac_f32_e32 v57, v63, v70
	s_waitcnt lgkmcnt(1)
	v_mul_f32_e32 v56, v3, v7
	v_fma_f32 v56, v2, v6, -v56
	v_add_f32_e32 v52, v52, v56
	v_mul_f32_e32 v56, v3, v9
	v_add_f32_e32 v50, v50, v57
	v_mul_f32_e32 v57, v2, v7
	v_fma_f32 v56, v2, v8, -v56
	v_mul_f32_e32 v2, v2, v9
	v_fmac_f32_e32 v57, v3, v6
	v_fmac_f32_e32 v2, v3, v8
	s_waitcnt lgkmcnt(0)
	v_mul_f32_e32 v3, v64, v7
	v_add_f32_e32 v11, v11, v2
	v_mul_f32_e32 v2, v65, v7
	v_fmac_f32_e32 v3, v65, v6
	v_fma_f32 v2, v64, v6, -v2
	v_add_f32_e32 v7, v1, v3
	v_mul_f32_e32 v1, v65, v9
	v_add_f32_e32 v6, v54, v2
	v_fma_f32 v54, v64, v8, -v1
	ds_read2_b64 v[0:3], v0 offset0:224 offset1:240
	v_mul_f32_e32 v9, v64, v9
	v_fmac_f32_e32 v9, v65, v8
	v_add_f32_e32 v9, v50, v9
	v_add_f32_e32 v35, v35, v57
	s_waitcnt lgkmcnt(0)
	v_mul_f32_e32 v50, v4, v1
	v_fmac_f32_e32 v50, v5, v0
	v_add_f32_e32 v8, v48, v54
	v_mul_f32_e32 v48, v5, v1
	v_add_f32_e32 v62, v35, v50
	v_mul_f32_e32 v35, v5, v3
	v_fma_f32 v48, v4, v0, -v48
	v_fma_f32 v35, v4, v2, -v35
	v_mul_f32_e32 v4, v4, v3
	v_fmac_f32_e32 v4, v5, v2
	v_add_f32_e32 v58, v11, v4
	v_mul_f32_e32 v4, v67, v1
	v_mul_f32_e32 v1, v66, v1
	v_fma_f32 v4, v66, v0, -v4
	v_fmac_f32_e32 v1, v67, v0
	v_mul_f32_e32 v0, v67, v3
	v_fma_f32 v0, v66, v2, -v0
	v_addc_co_u32_e32 v41, vcc, 0, v41, vcc
	v_add_f32_e32 v50, v8, v0
	v_mov_b32_e32 v0, s43
	v_add_co_u32_e32 v46, vcc, s42, v46
	v_addc_co_u32_e32 v47, vcc, v47, v0, vcc
	v_add_co_u32_e32 v44, vcc, s42, v44
	v_add_f32_e32 v54, v7, v1
	v_mul_f32_e32 v1, v66, v3
	s_add_u32 s20, s20, 32
	v_addc_co_u32_e32 v45, vcc, v45, v0, vcc
	v_add_f32_e32 v10, v10, v56
	v_fmac_f32_e32 v1, v67, v2
	s_addc_u32 s21, s21, 0
	s_sub_i32 s12, s20, 32
	v_add_co_u32_e32 v42, vcc, 0x100, v42
	v_add_f32_e32 v60, v52, v48
	v_add_f32_e32 v56, v10, v35
	;; [unrolled: 1-line block ×4, first 2 shown]
	s_cmp_ge_i32 s12, s52
	v_addc_co_u32_e32 v43, vcc, 0, v43, vcc
	s_barrier
	s_cbranch_scc1 .LBB72_55
.LBB72_7:                               ;   Parent Loop BB72_4 Depth=1
                                        ; =>  This Inner Loop Header: Depth=2
	v_mov_b32_e32 v1, s21
	v_add_co_u32_e32 v0, vcc, s20, v12
	v_addc_co_u32_e32 v1, vcc, 0, v1, vcc
	v_add_co_u32_e32 v2, vcc, v46, v36
	v_addc_co_u32_e32 v3, vcc, v47, v37, vcc
	v_cmp_eq_u64_e32 vcc, s[20:21], v[26:27]
	v_cmp_le_i64_e64 s[12:13], s[40:41], v[0:1]
	s_and_b64 s[28:29], s[22:23], vcc
	v_cmp_gt_i64_e32 vcc, v[0:1], v[18:19]
	s_or_b64 s[16:17], s[12:13], vcc
	s_or_b64 s[16:17], s[16:17], s[28:29]
	s_or_b64 s[16:17], s[0:1], s[16:17]
	s_xor_b64 s[16:17], s[16:17], -1
	s_and_saveexec_b64 s[26:27], s[16:17]
	s_xor_b64 s[16:17], exec, s[26:27]
	s_cbranch_execz .LBB72_9
; %bb.8:                                ;   in Loop: Header=BB72_7 Depth=2
	global_load_dwordx2 v[4:5], v[2:3], off
	s_waitcnt vmcnt(0)
	ds_write_b64 v17, v[4:5]
.LBB72_9:                               ;   in Loop: Header=BB72_7 Depth=2
	s_or_saveexec_b64 s[16:17], s[16:17]
	s_xor_b64 s[26:27], s[28:29], -1
	s_xor_b64 exec, exec, s[16:17]
	s_cbranch_execz .LBB72_15
; %bb.10:                               ;   in Loop: Header=BB72_7 Depth=2
	s_and_saveexec_b64 s[38:39], s[26:27]
	s_xor_b64 s[38:39], exec, s[38:39]
	s_cbranch_execz .LBB72_12
; %bb.11:                               ;   in Loop: Header=BB72_7 Depth=2
	v_mov_b32_e32 v4, v15
	v_mov_b32_e32 v5, v15
	ds_write_b64 v17, v[4:5]
.LBB72_12:                              ;   in Loop: Header=BB72_7 Depth=2
	s_andn2_saveexec_b64 s[38:39], s[38:39]
	s_cbranch_execz .LBB72_14
; %bb.13:                               ;   in Loop: Header=BB72_7 Depth=2
	ds_write_b64 v17, v[14:15]
.LBB72_14:                              ;   in Loop: Header=BB72_7 Depth=2
	s_or_b64 exec, exec, s[38:39]
.LBB72_15:                              ;   in Loop: Header=BB72_7 Depth=2
	s_or_b64 exec, exec, s[16:17]
	v_cmp_eq_u64_e64 s[16:17], s[20:21], v[28:29]
	s_and_b64 s[38:39], s[22:23], s[16:17]
	v_cmp_lt_i64_e64 s[16:17], v[22:23], v[0:1]
	s_or_b64 s[12:13], s[12:13], s[16:17]
	s_or_b64 s[12:13], s[12:13], s[38:39]
	;; [unrolled: 1-line block ×3, first 2 shown]
	s_xor_b64 s[12:13], s[12:13], -1
	s_and_saveexec_b64 s[16:17], s[12:13]
	s_xor_b64 s[12:13], exec, s[16:17]
	s_cbranch_execz .LBB72_17
; %bb.16:                               ;   in Loop: Header=BB72_7 Depth=2
	global_load_dwordx2 v[2:3], v[2:3], off offset:128
	s_waitcnt vmcnt(0)
	ds_write_b64 v17, v[2:3] offset:128
.LBB72_17:                              ;   in Loop: Header=BB72_7 Depth=2
	s_andn2_saveexec_b64 s[12:13], s[12:13]
	s_cbranch_execz .LBB72_23
; %bb.18:                               ;   in Loop: Header=BB72_7 Depth=2
	s_xor_b64 s[16:17], s[38:39], -1
	s_and_saveexec_b64 s[38:39], s[16:17]
	s_xor_b64 s[16:17], exec, s[38:39]
	s_cbranch_execz .LBB72_20
; %bb.19:                               ;   in Loop: Header=BB72_7 Depth=2
	v_mov_b32_e32 v2, v15
	v_mov_b32_e32 v3, v15
	ds_write_b64 v17, v[2:3] offset:128
.LBB72_20:                              ;   in Loop: Header=BB72_7 Depth=2
	s_andn2_saveexec_b64 s[16:17], s[16:17]
	s_cbranch_execz .LBB72_22
; %bb.21:                               ;   in Loop: Header=BB72_7 Depth=2
	ds_write_b64 v17, v[14:15] offset:128
.LBB72_22:                              ;   in Loop: Header=BB72_7 Depth=2
	s_or_b64 exec, exec, s[16:17]
.LBB72_23:                              ;   in Loop: Header=BB72_7 Depth=2
	s_or_b64 exec, exec, s[12:13]
	v_add_co_u32_e64 v0, s[12:13], 16, v0
	v_addc_co_u32_e64 v1, s[12:13], 0, v1, s[12:13]
	v_cmp_eq_u64_e64 s[16:17], s[20:21], v[30:31]
	v_cmp_le_i64_e64 s[12:13], s[40:41], v[0:1]
	s_and_b64 s[38:39], s[22:23], s[16:17]
	v_cmp_gt_i64_e64 s[16:17], v[0:1], v[18:19]
	s_or_b64 s[16:17], s[12:13], s[16:17]
	s_or_b64 s[16:17], s[16:17], s[38:39]
	;; [unrolled: 1-line block ×3, first 2 shown]
	s_xor_b64 s[16:17], s[16:17], -1
	s_and_saveexec_b64 s[48:49], s[16:17]
	s_xor_b64 s[48:49], exec, s[48:49]
	s_cbranch_execz .LBB72_25
; %bb.24:                               ;   in Loop: Header=BB72_7 Depth=2
	v_add_co_u32_e64 v0, s[16:17], v44, v36
	v_addc_co_u32_e64 v1, s[16:17], v45, v37, s[16:17]
	global_load_dwordx2 v[0:1], v[0:1], off
	s_waitcnt vmcnt(0)
	ds_write_b64 v17, v[0:1] offset:4096
.LBB72_25:                              ;   in Loop: Header=BB72_7 Depth=2
	s_andn2_saveexec_b64 s[16:17], s[48:49]
	s_cbranch_execz .LBB72_31
; %bb.26:                               ;   in Loop: Header=BB72_7 Depth=2
	s_xor_b64 s[38:39], s[38:39], -1
	s_and_saveexec_b64 s[48:49], s[38:39]
	s_xor_b64 s[38:39], exec, s[48:49]
	s_cbranch_execz .LBB72_28
; %bb.27:                               ;   in Loop: Header=BB72_7 Depth=2
	v_mov_b32_e32 v0, v15
	v_mov_b32_e32 v1, v15
	ds_write_b64 v17, v[0:1] offset:4096
.LBB72_28:                              ;   in Loop: Header=BB72_7 Depth=2
	s_andn2_saveexec_b64 s[38:39], s[38:39]
	s_cbranch_execz .LBB72_30
; %bb.29:                               ;   in Loop: Header=BB72_7 Depth=2
	ds_write_b64 v17, v[14:15] offset:4096
.LBB72_30:                              ;   in Loop: Header=BB72_7 Depth=2
	s_or_b64 exec, exec, s[38:39]
.LBB72_31:                              ;   in Loop: Header=BB72_7 Depth=2
	s_or_b64 exec, exec, s[16:17]
	s_or_b64 s[12:13], s[12:13], vcc
	s_or_b64 s[12:13], s[12:13], s[28:29]
	s_or_b64 s[12:13], s[2:3], s[12:13]
	s_xor_b64 s[12:13], s[12:13], -1
	s_and_saveexec_b64 s[16:17], s[12:13]
	s_xor_b64 s[12:13], exec, s[16:17]
	s_cbranch_execz .LBB72_33
; %bb.32:                               ;   in Loop: Header=BB72_7 Depth=2
	v_add_co_u32_e32 v0, vcc, v44, v36
	v_addc_co_u32_e32 v1, vcc, v45, v37, vcc
	global_load_dwordx2 v[0:1], v[0:1], off offset:128
	s_waitcnt vmcnt(0)
	ds_write_b64 v17, v[0:1] offset:4224
.LBB72_33:                              ;   in Loop: Header=BB72_7 Depth=2
	s_andn2_saveexec_b64 s[12:13], s[12:13]
	s_cbranch_execz .LBB72_39
; %bb.34:                               ;   in Loop: Header=BB72_7 Depth=2
	s_and_saveexec_b64 s[16:17], s[26:27]
	s_xor_b64 s[16:17], exec, s[16:17]
	s_cbranch_execz .LBB72_36
; %bb.35:                               ;   in Loop: Header=BB72_7 Depth=2
	v_mov_b32_e32 v0, v15
	v_mov_b32_e32 v1, v15
	ds_write_b64 v17, v[0:1] offset:4224
.LBB72_36:                              ;   in Loop: Header=BB72_7 Depth=2
	s_andn2_saveexec_b64 s[16:17], s[16:17]
	s_cbranch_execz .LBB72_38
; %bb.37:                               ;   in Loop: Header=BB72_7 Depth=2
	ds_write_b64 v17, v[14:15] offset:4224
.LBB72_38:                              ;   in Loop: Header=BB72_7 Depth=2
	s_or_b64 exec, exec, s[16:17]
.LBB72_39:                              ;   in Loop: Header=BB72_7 Depth=2
	s_or_b64 exec, exec, s[12:13]
	v_mov_b32_e32 v1, s21
	v_add_co_u32_e32 v0, vcc, s20, v16
	v_addc_co_u32_e32 v1, vcc, 0, v1, vcc
	v_cmp_gt_i64_e32 vcc, s[40:41], v[0:1]
	s_and_b64 s[12:13], s[8:9], vcc
	s_xor_b64 s[12:13], s[12:13], -1
	s_and_saveexec_b64 s[16:17], s[12:13]
	s_xor_b64 s[12:13], exec, s[16:17]
	s_cbranch_execz .LBB72_41
; %bb.40:                               ;   in Loop: Header=BB72_7 Depth=2
	v_mov_b32_e32 v2, v15
	v_mov_b32_e32 v3, v15
	ds_write_b64 v51, v[2:3]
.LBB72_41:                              ;   in Loop: Header=BB72_7 Depth=2
	s_andn2_saveexec_b64 s[12:13], s[12:13]
	s_cbranch_execz .LBB72_43
; %bb.42:                               ;   in Loop: Header=BB72_7 Depth=2
	global_load_dwordx2 v[2:3], v[40:41], off offset:-128
	s_waitcnt vmcnt(0)
	ds_write_b64 v51, v[2:3]
.LBB72_43:                              ;   in Loop: Header=BB72_7 Depth=2
	s_or_b64 exec, exec, s[12:13]
	v_cmp_gt_i64_e64 s[12:13], s[46:47], v[0:1]
	s_and_b64 s[16:17], s[8:9], s[12:13]
	s_xor_b64 s[16:17], s[16:17], -1
	s_and_saveexec_b64 s[26:27], s[16:17]
	s_xor_b64 s[16:17], exec, s[26:27]
	s_cbranch_execz .LBB72_45
; %bb.44:                               ;   in Loop: Header=BB72_7 Depth=2
	v_mov_b32_e32 v0, v15
	v_mov_b32_e32 v1, v15
	ds_write_b64 v51, v[0:1] offset:128
.LBB72_45:                              ;   in Loop: Header=BB72_7 Depth=2
	s_andn2_saveexec_b64 s[16:17], s[16:17]
	s_cbranch_execz .LBB72_47
; %bb.46:                               ;   in Loop: Header=BB72_7 Depth=2
	global_load_dwordx2 v[0:1], v[40:41], off
	s_waitcnt vmcnt(0)
	ds_write_b64 v51, v[0:1] offset:128
.LBB72_47:                              ;   in Loop: Header=BB72_7 Depth=2
	s_or_b64 exec, exec, s[16:17]
	s_and_b64 s[16:17], s[10:11], vcc
	s_xor_b64 s[16:17], s[16:17], -1
	s_and_saveexec_b64 s[26:27], s[16:17]
	s_xor_b64 s[16:17], exec, s[26:27]
	s_cbranch_execz .LBB72_49
; %bb.48:                               ;   in Loop: Header=BB72_7 Depth=2
	v_mov_b32_e32 v0, v15
	v_mov_b32_e32 v1, v15
	ds_write_b64 v51, v[0:1] offset:4096
.LBB72_49:                              ;   in Loop: Header=BB72_7 Depth=2
	s_andn2_saveexec_b64 s[16:17], s[16:17]
	s_cbranch_execz .LBB72_51
; %bb.50:                               ;   in Loop: Header=BB72_7 Depth=2
	global_load_dwordx2 v[0:1], v[42:43], off offset:-128
	s_waitcnt vmcnt(0)
	ds_write_b64 v51, v[0:1] offset:4096
.LBB72_51:                              ;   in Loop: Header=BB72_7 Depth=2
	s_or_b64 exec, exec, s[16:17]
	s_and_b64 s[12:13], s[10:11], s[12:13]
	s_xor_b64 s[12:13], s[12:13], -1
	s_and_saveexec_b64 s[16:17], s[12:13]
	s_xor_b64 s[12:13], exec, s[16:17]
	s_cbranch_execz .LBB72_53
; %bb.52:                               ;   in Loop: Header=BB72_7 Depth=2
	v_mov_b32_e32 v0, v15
	v_mov_b32_e32 v1, v15
	ds_write_b64 v51, v[0:1] offset:4224
.LBB72_53:                              ;   in Loop: Header=BB72_7 Depth=2
	s_andn2_saveexec_b64 s[12:13], s[12:13]
	s_cbranch_execz .LBB72_6
; %bb.54:                               ;   in Loop: Header=BB72_7 Depth=2
	global_load_dwordx2 v[0:1], v[42:43], off
	s_waitcnt vmcnt(0)
	ds_write_b64 v51, v[0:1] offset:4224
	s_branch .LBB72_6
.LBB72_55:                              ;   in Loop: Header=BB72_4 Depth=1
	v_mul_lo_u32 v2, v55, s44
	v_mul_lo_u32 v3, v53, s45
	v_mad_u64_u32 v[0:1], s[8:9], v53, s44, 0
	v_add3_u32 v1, v1, v3, v2
	v_lshlrev_b64 v[0:1], 3, v[0:1]
	v_mov_b32_e32 v2, s51
	v_add_co_u32_e64 v0, s[8:9], s50, v0
	v_cmp_gt_i32_e32 vcc, s30, v53
	v_addc_co_u32_e64 v1, s[8:9], v2, v1, s[8:9]
	s_and_b64 s[8:9], s[4:5], vcc
	s_and_saveexec_b64 s[10:11], s[8:9]
	s_cbranch_execz .LBB72_57
; %bb.56:                               ;   in Loop: Header=BB72_4 Depth=1
	v_add_co_u32_e64 v2, s[8:9], v0, v36
	v_addc_co_u32_e64 v3, s[8:9], v1, v37, s[8:9]
	global_load_dwordx2 v[4:5], v[2:3], off
	v_pk_mul_f32 v[6:7], v[62:63], s[34:35] op_sel_hi:[0,1]
	v_pk_fma_f32 v[8:9], v[60:61], s[34:35], v[6:7] op_sel:[0,0,1] op_sel_hi:[1,1,0] neg_lo:[0,0,1] neg_hi:[0,0,1]
	v_pk_fma_f32 v[6:7], v[60:61], s[34:35], v[6:7] op_sel:[0,0,1] op_sel_hi:[0,1,0]
	v_mov_b32_e32 v9, v7
	s_waitcnt vmcnt(0)
	v_pk_add_f32 v[4:5], v[4:5], v[8:9]
	global_store_dwordx2 v[2:3], v[4:5], off
.LBB72_57:                              ;   in Loop: Header=BB72_4 Depth=1
	s_or_b64 exec, exec, s[10:11]
	s_and_b64 s[10:11], s[14:15], vcc
	s_and_saveexec_b64 s[8:9], s[10:11]
	s_cbranch_execz .LBB72_59
; %bb.58:                               ;   in Loop: Header=BB72_4 Depth=1
	v_lshlrev_b64 v[2:3], 3, v[24:25]
	v_add_co_u32_e32 v0, vcc, v0, v2
	v_addc_co_u32_e32 v1, vcc, v1, v3, vcc
	global_load_dwordx2 v[2:3], v[0:1], off
	v_pk_mul_f32 v[4:5], v[58:59], s[34:35] op_sel_hi:[0,1]
	v_pk_fma_f32 v[6:7], v[56:57], s[34:35], v[4:5] op_sel:[0,0,1] op_sel_hi:[1,1,0] neg_lo:[0,0,1] neg_hi:[0,0,1]
	v_pk_fma_f32 v[4:5], v[56:57], s[34:35], v[4:5] op_sel:[0,0,1] op_sel_hi:[0,1,0]
	v_mov_b32_e32 v7, v5
	s_waitcnt vmcnt(0)
	v_pk_add_f32 v[2:3], v[2:3], v[6:7]
	global_store_dwordx2 v[0:1], v[2:3], off
.LBB72_59:                              ;   in Loop: Header=BB72_4 Depth=1
	s_or_b64 exec, exec, s[8:9]
	v_add_u32_e32 v0, 16, v53
	v_ashrrev_i32_e32 v1, 31, v0
	v_cmp_gt_i32_e32 vcc, s30, v0
	v_mul_lo_u32 v2, v1, s44
	v_mul_lo_u32 v3, v0, s45
	v_mad_u64_u32 v[0:1], s[8:9], v0, s44, 0
	v_add3_u32 v1, v1, v3, v2
	v_lshlrev_b64 v[0:1], 3, v[0:1]
	v_mov_b32_e32 v2, s51
	v_add_co_u32_e64 v0, s[8:9], s50, v0
	v_addc_co_u32_e64 v1, s[8:9], v2, v1, s[8:9]
	s_and_b64 s[8:9], s[4:5], vcc
	s_and_saveexec_b64 s[10:11], s[8:9]
	s_cbranch_execz .LBB72_61
; %bb.60:                               ;   in Loop: Header=BB72_4 Depth=1
	v_add_co_u32_e64 v2, s[8:9], v0, v36
	v_addc_co_u32_e64 v3, s[8:9], v1, v37, s[8:9]
	global_load_dwordx2 v[4:5], v[2:3], off
	v_pk_mul_f32 v[6:7], v[54:55], s[34:35] op_sel_hi:[0,1]
	v_pk_fma_f32 v[8:9], v[52:53], s[34:35], v[6:7] op_sel:[0,0,1] op_sel_hi:[1,1,0] neg_lo:[0,0,1] neg_hi:[0,0,1]
	v_pk_fma_f32 v[6:7], v[52:53], s[34:35], v[6:7] op_sel:[0,0,1] op_sel_hi:[0,1,0]
	v_mov_b32_e32 v9, v7
	s_waitcnt vmcnt(0)
	v_pk_add_f32 v[4:5], v[4:5], v[8:9]
	global_store_dwordx2 v[2:3], v[4:5], off
.LBB72_61:                              ;   in Loop: Header=BB72_4 Depth=1
	s_or_b64 exec, exec, s[10:11]
	s_and_b64 s[10:11], s[14:15], vcc
	s_and_saveexec_b64 s[8:9], s[10:11]
	s_cbranch_execz .LBB72_3
; %bb.62:                               ;   in Loop: Header=BB72_4 Depth=1
	v_lshlrev_b64 v[2:3], 3, v[24:25]
	v_add_co_u32_e32 v0, vcc, v0, v2
	v_addc_co_u32_e32 v1, vcc, v1, v3, vcc
	global_load_dwordx2 v[2:3], v[0:1], off
	v_pk_mul_f32 v[4:5], v[48:49], s[34:35] op_sel_hi:[0,1]
	v_pk_fma_f32 v[6:7], v[50:51], s[34:35], v[4:5] op_sel:[0,0,1] op_sel_hi:[1,1,0] neg_lo:[0,0,1] neg_hi:[0,0,1]
	v_pk_fma_f32 v[4:5], v[50:51], s[34:35], v[4:5] op_sel:[0,0,1] op_sel_hi:[0,1,0]
	v_mov_b32_e32 v7, v5
	s_waitcnt vmcnt(0)
	v_pk_add_f32 v[2:3], v[2:3], v[6:7]
	global_store_dwordx2 v[0:1], v[2:3], off
	s_branch .LBB72_3
.LBB72_63:
	s_endpgm
	.section	.rodata,"a",@progbits
	.p2align	6, 0x0
	.amdhsa_kernel _ZL30rocblas_trmm_outofplace_kernelI19rocblas_complex_numIfELi32ELi2ELb1ELb0ELb0ELb0EPKS1_S2_S1_Ev17rocblas_diagonal_iiT6_lPT7_lllS7_lllPT8_llli
		.amdhsa_group_segment_fixed_size 16384
		.amdhsa_private_segment_fixed_size 0
		.amdhsa_kernarg_size 392
		.amdhsa_user_sgpr_count 6
		.amdhsa_user_sgpr_private_segment_buffer 1
		.amdhsa_user_sgpr_dispatch_ptr 0
		.amdhsa_user_sgpr_queue_ptr 0
		.amdhsa_user_sgpr_kernarg_segment_ptr 1
		.amdhsa_user_sgpr_dispatch_id 0
		.amdhsa_user_sgpr_flat_scratch_init 0
		.amdhsa_user_sgpr_kernarg_preload_length 0
		.amdhsa_user_sgpr_kernarg_preload_offset 0
		.amdhsa_user_sgpr_private_segment_size 0
		.amdhsa_uses_dynamic_stack 0
		.amdhsa_system_sgpr_private_segment_wavefront_offset 0
		.amdhsa_system_sgpr_workgroup_id_x 1
		.amdhsa_system_sgpr_workgroup_id_y 1
		.amdhsa_system_sgpr_workgroup_id_z 1
		.amdhsa_system_sgpr_workgroup_info 0
		.amdhsa_system_vgpr_workitem_id 1
		.amdhsa_next_free_vgpr 77
		.amdhsa_next_free_sgpr 55
		.amdhsa_accum_offset 80
		.amdhsa_reserve_vcc 1
		.amdhsa_reserve_flat_scratch 0
		.amdhsa_float_round_mode_32 0
		.amdhsa_float_round_mode_16_64 0
		.amdhsa_float_denorm_mode_32 3
		.amdhsa_float_denorm_mode_16_64 3
		.amdhsa_dx10_clamp 1
		.amdhsa_ieee_mode 1
		.amdhsa_fp16_overflow 0
		.amdhsa_tg_split 0
		.amdhsa_exception_fp_ieee_invalid_op 0
		.amdhsa_exception_fp_denorm_src 0
		.amdhsa_exception_fp_ieee_div_zero 0
		.amdhsa_exception_fp_ieee_overflow 0
		.amdhsa_exception_fp_ieee_underflow 0
		.amdhsa_exception_fp_ieee_inexact 0
		.amdhsa_exception_int_div_zero 0
	.end_amdhsa_kernel
	.section	.text._ZL30rocblas_trmm_outofplace_kernelI19rocblas_complex_numIfELi32ELi2ELb1ELb0ELb0ELb0EPKS1_S2_S1_Ev17rocblas_diagonal_iiT6_lPT7_lllS7_lllPT8_llli,"axG",@progbits,_ZL30rocblas_trmm_outofplace_kernelI19rocblas_complex_numIfELi32ELi2ELb1ELb0ELb0ELb0EPKS1_S2_S1_Ev17rocblas_diagonal_iiT6_lPT7_lllS7_lllPT8_llli,comdat
.Lfunc_end72:
	.size	_ZL30rocblas_trmm_outofplace_kernelI19rocblas_complex_numIfELi32ELi2ELb1ELb0ELb0ELb0EPKS1_S2_S1_Ev17rocblas_diagonal_iiT6_lPT7_lllS7_lllPT8_llli, .Lfunc_end72-_ZL30rocblas_trmm_outofplace_kernelI19rocblas_complex_numIfELi32ELi2ELb1ELb0ELb0ELb0EPKS1_S2_S1_Ev17rocblas_diagonal_iiT6_lPT7_lllS7_lllPT8_llli
                                        ; -- End function
	.section	.AMDGPU.csdata,"",@progbits
; Kernel info:
; codeLenInByte = 6572
; NumSgprs: 59
; NumVgprs: 77
; NumAgprs: 0
; TotalNumVgprs: 77
; ScratchSize: 0
; MemoryBound: 1
; FloatMode: 240
; IeeeMode: 1
; LDSByteSize: 16384 bytes/workgroup (compile time only)
; SGPRBlocks: 7
; VGPRBlocks: 9
; NumSGPRsForWavesPerEU: 59
; NumVGPRsForWavesPerEU: 77
; AccumOffset: 80
; Occupancy: 6
; WaveLimiterHint : 0
; COMPUTE_PGM_RSRC2:SCRATCH_EN: 0
; COMPUTE_PGM_RSRC2:USER_SGPR: 6
; COMPUTE_PGM_RSRC2:TRAP_HANDLER: 0
; COMPUTE_PGM_RSRC2:TGID_X_EN: 1
; COMPUTE_PGM_RSRC2:TGID_Y_EN: 1
; COMPUTE_PGM_RSRC2:TGID_Z_EN: 1
; COMPUTE_PGM_RSRC2:TIDIG_COMP_CNT: 1
; COMPUTE_PGM_RSRC3_GFX90A:ACCUM_OFFSET: 19
; COMPUTE_PGM_RSRC3_GFX90A:TG_SPLIT: 0
	.section	.text._ZL30rocblas_trmm_outofplace_kernelI19rocblas_complex_numIfELi32ELi2ELb1ELb0ELb0ELb0ES1_KS1_S1_Ev17rocblas_diagonal_iiT6_lPT7_lllS6_lllPT8_llli,"axG",@progbits,_ZL30rocblas_trmm_outofplace_kernelI19rocblas_complex_numIfELi32ELi2ELb1ELb0ELb0ELb0ES1_KS1_S1_Ev17rocblas_diagonal_iiT6_lPT7_lllS6_lllPT8_llli,comdat
	.globl	_ZL30rocblas_trmm_outofplace_kernelI19rocblas_complex_numIfELi32ELi2ELb1ELb0ELb0ELb0ES1_KS1_S1_Ev17rocblas_diagonal_iiT6_lPT7_lllS6_lllPT8_llli ; -- Begin function _ZL30rocblas_trmm_outofplace_kernelI19rocblas_complex_numIfELi32ELi2ELb1ELb0ELb0ELb0ES1_KS1_S1_Ev17rocblas_diagonal_iiT6_lPT7_lllS6_lllPT8_llli
	.p2align	8
	.type	_ZL30rocblas_trmm_outofplace_kernelI19rocblas_complex_numIfELi32ELi2ELb1ELb0ELb0ELb0ES1_KS1_S1_Ev17rocblas_diagonal_iiT6_lPT7_lllS6_lllPT8_llli,@function
_ZL30rocblas_trmm_outofplace_kernelI19rocblas_complex_numIfELi32ELi2ELb1ELb0ELb0ELb0ES1_KS1_S1_Ev17rocblas_diagonal_iiT6_lPT7_lllS6_lllPT8_llli: ; @_ZL30rocblas_trmm_outofplace_kernelI19rocblas_complex_numIfELi32ELi2ELb1ELb0ELb0ELb0ES1_KS1_S1_Ev17rocblas_diagonal_iiT6_lPT7_lllS6_lllPT8_llli
; %bb.0:
	s_load_dwordx4 s[28:31], s[4:5], 0x0
	s_load_dword s35, s[4:5], 0x10
	s_waitcnt lgkmcnt(0)
	s_or_b32 s0, s31, s35
	s_bitset0_b32 s0, 31
	s_cmp_eq_u32 s0, 0
	s_cbranch_scc1 .LBB73_63
; %bb.1:
	s_add_i32 s0, s30, -1
	s_ashr_i32 s1, s0, 31
	s_lshr_b32 s1, s1, 27
	s_add_i32 s0, s0, s1
	s_ashr_i32 s33, s0, 5
	s_cmp_gt_i32 s7, s33
	s_cbranch_scc1 .LBB73_63
; %bb.2:
	s_load_dwordx16 s[12:27], s[4:5], 0x20
	s_load_dwordx8 s[36:43], s[4:5], 0x60
	s_mov_b32 s34, s31
	v_bfe_u32 v12, v0, 10, 10
	v_and_b32_e32 v16, 0x3ff, v0
	s_waitcnt lgkmcnt(0)
	s_mul_i32 s0, s8, s19
	s_mul_hi_u32 s1, s8, s18
	s_add_i32 s1, s1, s0
	s_mul_i32 s0, s8, s18
	s_lshl_b64 s[10:11], s[0:1], 3
	s_add_u32 s0, s12, s10
	s_addc_u32 s1, s13, s11
	s_lshl_b64 s[46:47], s[14:15], 3
	s_add_u32 s2, s0, s46
	s_addc_u32 s3, s1, s47
	s_mul_i32 s0, s8, s43
	s_mul_hi_u32 s1, s8, s42
	s_add_i32 s1, s1, s0
	s_mul_i32 s0, s8, s42
	s_lshl_b64 s[0:1], s[0:1], 3
	s_add_u32 s9, s36, s0
	s_addc_u32 s14, s37, s1
	s_lshl_b64 s[0:1], s[38:39], 3
	s_add_u32 s31, s9, s0
	s_addc_u32 s50, s14, s1
	v_mad_u64_u32 v[0:1], s[0:1], v12, s16, 0
	v_mov_b32_e32 v2, v1
	v_mad_u64_u32 v[2:3], s[0:1], v12, s17, v[2:3]
	v_mov_b32_e32 v1, v2
	s_lshl_b32 s51, s6, 5
	v_lshlrev_b64 v[0:1], 3, v[0:1]
	v_mov_b32_e32 v2, s3
	v_add_co_u32_e32 v20, vcc, s2, v0
	s_cmp_gt_i32 s6, -1
	v_add_u32_e32 v18, s51, v16
	v_addc_co_u32_e32 v21, vcc, v2, v1, vcc
	s_cselect_b64 s[18:19], -1, 0
	s_cmpk_eq_i32 s28, 0x84
	v_ashrrev_i32_e32 v19, 31, v18
	s_cselect_b64 s[36:37], -1, 0
	s_ashr_i32 s39, s29, 31
	s_ashr_i32 s6, s30, 31
	s_lshl_b64 s[42:43], s[16:17], 8
	v_add_co_u32_e32 v22, vcc, 16, v18
	v_addc_co_u32_e32 v23, vcc, 0, v19, vcc
	s_add_u32 s44, s29, -16
	s_mul_i32 s9, s27, s8
	s_mul_hi_u32 s27, s26, s8
	s_addc_u32 s45, s39, -1
	v_sub_co_u32_e32 v26, vcc, v18, v12
	s_add_i32 s9, s27, s9
	s_mul_i32 s8, s26, s8
	v_subbrev_co_u32_e32 v27, vcc, 0, v19, vcc
	s_lshl_b64 s[8:9], s[8:9], 3
	s_lshl_b64 s[22:23], s[22:23], 3
	s_load_dword s52, s[4:5], 0x8c
	v_add_co_u32_e32 v28, vcc, 16, v26
	s_add_u32 s8, s8, s22
	v_addc_co_u32_e32 v29, vcc, 0, v27, vcc
	s_addc_u32 s9, s9, s23
	v_add_co_u32_e32 v30, vcc, -16, v26
	s_add_u32 s8, s20, s8
	v_lshlrev_b32_e32 v0, 8, v12
	v_lshlrev_b32_e32 v13, 3, v16
	v_addc_co_u32_e32 v31, vcc, -1, v27, vcc
	s_addc_u32 s9, s21, s9
	v_add_u32_e32 v17, v13, v0
	v_add_u32_e32 v49, 0x2000, v0
	v_mov_b32_e32 v0, s9
	v_add_co_u32_e32 v1, vcc, s8, v13
	v_addc_co_u32_e32 v0, vcc, 0, v0, vcc
	s_movk_i32 s8, 0x80
	s_lshl_b64 s[20:21], s[24:25], 3
	s_waitcnt lgkmcnt(0)
	s_lshl_b32 s53, s52, 5
	v_add_co_u32_e32 v32, vcc, s8, v1
	s_add_u32 s8, s12, s46
	s_addc_u32 s9, s13, s47
	s_add_u32 s8, s8, s10
	v_addc_co_u32_e32 v33, vcc, 0, v0, vcc
	v_mov_b32_e32 v0, 0x80
	s_addc_u32 s9, s9, s11
	v_lshl_add_u32 v2, v12, 3, v0
	v_pk_mov_b32 v[0:1], s[8:9], s[8:9] op_sel:[0,1]
	v_mad_u64_u32 v[38:39], s[8:9], s16, v2, v[0:1]
	v_mov_b32_e32 v0, v39
	s_mov_b32 s38, s29
	v_add_u32_e32 v24, 16, v18
	v_mad_u64_u32 v[0:1], s[8:9], s17, v2, v[0:1]
	v_mov_b32_e32 v15, 0
	v_cmp_le_i32_e64 s[0:1], s29, v18
	v_cmp_le_i64_e64 s[2:3], s[38:39], v[22:23]
	v_add_u32_e32 v51, v49, v13
	v_cmp_gt_i32_e64 s[4:5], s29, v18
	v_cmp_gt_i32_e64 s[14:15], s29, v24
	v_ashrrev_i32_e32 v25, 31, v24
	v_lshl_add_u32 v34, s7, 5, v12
	v_lshlrev_b64 v[36:37], 3, v[18:19]
	v_mov_b32_e32 v39, v0
	v_mov_b32_e32 v14, 1.0
	s_movk_i32 s54, 0x100
	s_branch .LBB73_4
.LBB73_3:                               ;   in Loop: Header=BB73_4 Depth=1
	s_or_b64 exec, exec, s[8:9]
	s_add_i32 s7, s52, s7
	s_cmp_le_i32 s7, s33
	v_add_u32_e32 v34, s53, v34
	s_cbranch_scc0 .LBB73_63
.LBB73_4:                               ; =>This Loop Header: Depth=1
                                        ;     Child Loop BB73_7 Depth 2
	v_lshl_add_u32 v53, s7, 5, v12
	v_ashrrev_i32_e32 v55, 31, v53
	s_andn2_b64 vcc, exec, s[18:19]
	v_mov_b32_e32 v60, v15
	v_mov_b32_e32 v62, v15
	;; [unrolled: 1-line block ×8, first 2 shown]
	s_cbranch_vccnz .LBB73_55
; %bb.5:                                ;   in Loop: Header=BB73_4 Depth=1
	v_ashrrev_i32_e32 v35, 31, v34
	v_mad_u64_u32 v[40:41], s[8:9], s20, v34, v[32:33]
	v_mul_lo_u32 v0, s21, v34
	v_mul_lo_u32 v1, s20, v35
	v_add3_u32 v41, v0, v41, v1
	v_lshlrev_b64 v[0:1], 3, v[34:35]
	v_add_co_u32_e32 v0, vcc, 0x80, v0
	v_addc_co_u32_e32 v1, vcc, 0, v1, vcc
	v_mul_lo_u32 v1, s24, v1
	v_mul_lo_u32 v2, s25, v0
	v_mad_u64_u32 v[42:43], s[8:9], s24, v0, v[32:33]
	v_add3_u32 v43, v2, v43, v1
	v_mov_b32_e32 v1, s6
	v_sub_co_u32_e32 v0, vcc, s30, v53
	v_subb_co_u32_e32 v1, vcc, v1, v55, vcc
	s_mov_b64 s[22:23], 0
	v_cmp_lt_i64_e64 s[8:9], 0, v[0:1]
	v_cmp_lt_i64_e64 s[10:11], 16, v[0:1]
	v_mov_b32_e32 v48, 0
	v_pk_mov_b32 v[44:45], v[38:39], v[38:39] op_sel:[0,1]
	v_pk_mov_b32 v[46:47], v[20:21], v[20:21] op_sel:[0,1]
	v_mov_b32_e32 v50, 0
	v_mov_b32_e32 v54, 0
	;; [unrolled: 1-line block ×7, first 2 shown]
	s_branch .LBB73_7
.LBB73_6:                               ;   in Loop: Header=BB73_7 Depth=2
	s_or_b64 exec, exec, s[12:13]
	s_waitcnt lgkmcnt(0)
	s_barrier
	ds_read2_b64 v[64:67], v13 offset1:16
	ds_read_b128 v[68:71], v49
	ds_read_b128 v[8:11], v49 offset:16
	ds_read_b128 v[4:7], v49 offset:32
	;; [unrolled: 1-line block ×3, first 2 shown]
	v_add_co_u32_e32 v40, vcc, s54, v40
	s_waitcnt lgkmcnt(3)
	v_mul_f32_e32 v35, v69, v65
	v_mul_f32_e32 v57, v68, v65
	v_fma_f32 v35, v68, v64, -v35
	v_fmac_f32_e32 v57, v69, v64
	v_add_f32_e32 v35, v60, v35
	v_add_f32_e32 v76, v62, v57
	ds_read_b128 v[60:63], v49 offset:4096
	v_mul_f32_e32 v57, v69, v67
	v_mul_f32_e32 v59, v68, v67
	v_fma_f32 v57, v68, v66, -v57
	v_fmac_f32_e32 v59, v69, v66
	v_add_f32_e32 v68, v56, v57
	v_add_f32_e32 v69, v58, v59
	ds_read_b128 v[56:59], v49 offset:4112
	s_waitcnt lgkmcnt(1)
	v_mul_f32_e32 v72, v61, v65
	v_fma_f32 v72, v60, v64, -v72
	v_add_f32_e32 v52, v52, v72
	ds_read2_b64 v[72:75], v13 offset0:32 offset1:48
	v_mul_f32_e32 v65, v60, v65
	v_fmac_f32_e32 v65, v61, v64
	v_mul_f32_e32 v64, v61, v67
	v_fma_f32 v64, v60, v66, -v64
	v_mul_f32_e32 v60, v60, v67
	v_fmac_f32_e32 v60, v61, v66
	v_add_f32_e32 v48, v48, v60
	s_waitcnt lgkmcnt(0)
	v_mul_f32_e32 v60, v71, v73
	v_mul_f32_e32 v61, v70, v73
	v_fma_f32 v60, v70, v72, -v60
	v_fmac_f32_e32 v61, v71, v72
	v_add_f32_e32 v50, v50, v64
	v_add_f32_e32 v35, v35, v60
	;; [unrolled: 1-line block ×3, first 2 shown]
	v_mul_f32_e32 v61, v71, v75
	v_mul_f32_e32 v64, v70, v75
	v_fma_f32 v61, v70, v74, -v61
	v_fmac_f32_e32 v64, v71, v74
	v_add_f32_e32 v61, v68, v61
	v_add_f32_e32 v68, v69, v64
	v_mul_f32_e32 v64, v63, v73
	v_add_f32_e32 v54, v54, v65
	v_fma_f32 v64, v62, v72, -v64
	v_mul_f32_e32 v65, v62, v73
	v_fmac_f32_e32 v65, v63, v72
	v_add_f32_e32 v52, v52, v64
	v_mul_f32_e32 v64, v63, v75
	v_add_f32_e32 v54, v54, v65
	v_fma_f32 v69, v62, v74, -v64
	ds_read2_b64 v[64:67], v13 offset0:64 offset1:80
	v_mul_f32_e32 v62, v62, v75
	v_fmac_f32_e32 v62, v63, v74
	v_add_f32_e32 v50, v50, v69
	v_add_f32_e32 v48, v48, v62
	s_waitcnt lgkmcnt(0)
	v_mul_f32_e32 v63, v8, v65
	v_fmac_f32_e32 v63, v9, v64
	v_mul_f32_e32 v62, v9, v65
	v_add_f32_e32 v69, v60, v63
	v_mul_f32_e32 v60, v9, v67
	v_fma_f32 v62, v8, v64, -v62
	v_fma_f32 v60, v8, v66, -v60
	v_mul_f32_e32 v8, v8, v67
	v_fmac_f32_e32 v8, v9, v66
	v_add_f32_e32 v9, v61, v60
	v_mul_f32_e32 v60, v57, v65
	v_fma_f32 v60, v56, v64, -v60
	v_mul_f32_e32 v61, v56, v65
	v_fmac_f32_e32 v61, v57, v64
	v_add_f32_e32 v52, v52, v60
	v_mul_f32_e32 v60, v57, v67
	v_add_f32_e32 v35, v35, v62
	v_add_f32_e32 v54, v54, v61
	v_fma_f32 v64, v56, v66, -v60
	ds_read2_b64 v[60:63], v13 offset0:96 offset1:112
	v_mul_f32_e32 v56, v56, v67
	v_fmac_f32_e32 v56, v57, v66
	v_add_f32_e32 v48, v48, v56
	v_add_f32_e32 v8, v68, v8
	s_waitcnt lgkmcnt(0)
	v_mul_f32_e32 v56, v11, v61
	v_mul_f32_e32 v57, v10, v61
	v_fma_f32 v56, v10, v60, -v56
	v_fmac_f32_e32 v57, v11, v60
	v_add_f32_e32 v35, v35, v56
	v_add_f32_e32 v56, v69, v57
	v_mul_f32_e32 v57, v11, v63
	v_fma_f32 v57, v10, v62, -v57
	v_mul_f32_e32 v10, v10, v63
	v_fmac_f32_e32 v10, v11, v62
	v_add_f32_e32 v65, v8, v10
	v_mul_f32_e32 v8, v59, v61
	v_add_f32_e32 v50, v50, v64
	v_add_f32_e32 v64, v9, v57
	v_fma_f32 v8, v58, v60, -v8
	v_mul_f32_e32 v9, v58, v61
	v_fmac_f32_e32 v9, v59, v60
	v_add_f32_e32 v52, v52, v8
	v_mul_f32_e32 v8, v59, v63
	v_add_f32_e32 v54, v54, v9
	v_fma_f32 v57, v58, v62, -v8
	ds_read2_b64 v[8:11], v13 offset0:128 offset1:144
	v_mul_f32_e32 v58, v58, v63
	v_fmac_f32_e32 v58, v59, v62
	v_add_f32_e32 v48, v48, v58
	v_add_f32_e32 v50, v50, v57
	s_waitcnt lgkmcnt(0)
	v_mul_f32_e32 v58, v4, v9
	v_mul_f32_e32 v57, v5, v9
	v_fmac_f32_e32 v58, v5, v8
	v_fma_f32 v57, v4, v8, -v57
	v_add_f32_e32 v68, v56, v58
	v_mul_f32_e32 v56, v5, v11
	v_add_f32_e32 v35, v35, v57
	v_fma_f32 v60, v4, v10, -v56
	ds_read_b128 v[56:59], v49 offset:4128
	v_mul_f32_e32 v4, v4, v11
	v_fmac_f32_e32 v4, v5, v10
	v_add_f32_e32 v5, v64, v60
	ds_read_b128 v[60:63], v49 offset:4144
	s_waitcnt lgkmcnt(1)
	v_mul_f32_e32 v64, v57, v9
	v_fma_f32 v64, v56, v8, -v64
	v_mul_f32_e32 v9, v56, v9
	v_add_f32_e32 v4, v65, v4
	v_fmac_f32_e32 v9, v57, v8
	v_add_f32_e32 v8, v52, v64
	ds_read2_b64 v[64:67], v13 offset0:160 offset1:176
	v_mul_f32_e32 v52, v57, v11
	v_mul_f32_e32 v11, v56, v11
	v_fma_f32 v52, v56, v10, -v52
	v_fmac_f32_e32 v11, v57, v10
	v_add_f32_e32 v10, v50, v52
	v_add_f32_e32 v11, v48, v11
	s_waitcnt lgkmcnt(0)
	v_mul_f32_e32 v48, v7, v65
	v_mul_f32_e32 v50, v6, v65
	v_fma_f32 v48, v6, v64, -v48
	v_fmac_f32_e32 v50, v7, v64
	v_add_f32_e32 v35, v35, v48
	v_add_f32_e32 v48, v68, v50
	v_mul_f32_e32 v50, v7, v67
	v_fma_f32 v50, v6, v66, -v50
	v_mul_f32_e32 v6, v6, v67
	v_fmac_f32_e32 v6, v7, v66
	v_add_f32_e32 v52, v4, v6
	v_mul_f32_e32 v4, v59, v65
	v_add_f32_e32 v50, v5, v50
	v_fma_f32 v4, v58, v64, -v4
	v_mul_f32_e32 v5, v58, v65
	v_add_f32_e32 v9, v54, v9
	v_fmac_f32_e32 v5, v59, v64
	v_add_f32_e32 v8, v8, v4
	v_mul_f32_e32 v4, v59, v67
	v_add_f32_e32 v9, v9, v5
	v_fma_f32 v54, v58, v66, -v4
	ds_read2_b64 v[4:7], v13 offset0:192 offset1:208
	v_add_f32_e32 v54, v10, v54
	v_mul_f32_e32 v56, v58, v67
	v_fmac_f32_e32 v56, v59, v66
	v_add_f32_e32 v56, v11, v56
	s_waitcnt lgkmcnt(0)
	v_mul_f32_e32 v10, v1, v5
	v_fma_f32 v10, v0, v4, -v10
	v_add_f32_e32 v35, v35, v10
	v_mul_f32_e32 v10, v1, v7
	v_mul_f32_e32 v11, v0, v5
	v_fma_f32 v10, v0, v6, -v10
	v_mul_f32_e32 v0, v0, v7
	v_fmac_f32_e32 v11, v1, v4
	v_fmac_f32_e32 v0, v1, v6
	v_add_f32_e32 v1, v50, v10
	v_mul_f32_e32 v10, v61, v5
	v_fma_f32 v10, v60, v4, -v10
	v_mul_f32_e32 v5, v60, v5
	v_fmac_f32_e32 v5, v61, v4
	v_add_f32_e32 v4, v8, v10
	v_mul_f32_e32 v8, v61, v7
	v_add_f32_e32 v48, v48, v11
	v_add_f32_e32 v5, v9, v5
	v_fma_f32 v50, v60, v6, -v8
	ds_read2_b64 v[8:11], v13 offset0:224 offset1:240
	v_mul_f32_e32 v7, v60, v7
	v_fmac_f32_e32 v7, v61, v6
	v_add_f32_e32 v0, v52, v0
	v_add_f32_e32 v52, v56, v7
	s_waitcnt lgkmcnt(0)
	v_mul_f32_e32 v6, v3, v9
	v_fma_f32 v6, v2, v8, -v6
	v_add_f32_e32 v35, v35, v6
	v_mul_f32_e32 v6, v3, v11
	v_mul_f32_e32 v7, v2, v9
	v_fma_f32 v6, v2, v10, -v6
	v_mul_f32_e32 v2, v2, v11
	v_fmac_f32_e32 v2, v3, v10
	v_add_f32_e32 v50, v54, v50
	v_add_f32_e32 v54, v0, v2
	v_mul_f32_e32 v0, v63, v9
	v_fma_f32 v0, v62, v8, -v0
	v_mul_f32_e32 v2, v62, v9
	v_add_f32_e32 v68, v4, v0
	v_mul_f32_e32 v0, v63, v11
	v_fmac_f32_e32 v7, v3, v8
	v_fmac_f32_e32 v2, v63, v8
	v_fma_f32 v56, v62, v10, -v0
	v_add_u32_e32 v0, 0x800, v13
	v_add_f32_e32 v48, v48, v7
	v_add_f32_e32 v1, v1, v6
	;; [unrolled: 1-line block ×3, first 2 shown]
	ds_read2_b64 v[2:5], v0 offset1:16
	ds_read_b128 v[6:9], v49 offset:64
	v_mul_f32_e32 v11, v62, v11
	v_fmac_f32_e32 v11, v63, v10
	v_add_f32_e32 v10, v50, v56
	ds_read_b128 v[56:59], v49 offset:80
	ds_read_b128 v[60:63], v49 offset:4160
	s_waitcnt lgkmcnt(2)
	v_mul_f32_e32 v50, v7, v3
	v_fma_f32 v50, v6, v2, -v50
	v_add_f32_e32 v35, v35, v50
	v_mul_f32_e32 v50, v7, v5
	v_add_f32_e32 v11, v52, v11
	v_mul_f32_e32 v52, v6, v3
	v_fma_f32 v50, v6, v4, -v50
	v_mul_f32_e32 v6, v6, v5
	v_fmac_f32_e32 v52, v7, v2
	v_fmac_f32_e32 v6, v7, v4
	s_waitcnt lgkmcnt(0)
	v_mul_f32_e32 v7, v61, v3
	v_mul_f32_e32 v3, v60, v3
	v_fma_f32 v7, v60, v2, -v7
	v_fmac_f32_e32 v3, v61, v2
	v_add_f32_e32 v2, v68, v7
	v_add_f32_e32 v3, v69, v3
	ds_read2_b64 v[68:71], v0 offset0:32 offset1:48
	v_mul_f32_e32 v7, v61, v5
	v_mul_f32_e32 v5, v60, v5
	v_fma_f32 v7, v60, v4, -v7
	v_fmac_f32_e32 v5, v61, v4
	s_waitcnt lgkmcnt(0)
	v_mul_f32_e32 v4, v9, v69
	v_add_f32_e32 v7, v10, v7
	v_add_f32_e32 v10, v11, v5
	v_fma_f32 v4, v8, v68, -v4
	v_mul_f32_e32 v5, v8, v69
	v_add_f32_e32 v48, v48, v52
	v_fmac_f32_e32 v5, v9, v68
	v_add_f32_e32 v11, v35, v4
	v_mul_f32_e32 v4, v9, v71
	v_add_f32_e32 v1, v1, v50
	v_add_f32_e32 v35, v48, v5
	v_fma_f32 v4, v8, v70, -v4
	v_mul_f32_e32 v5, v8, v71
	v_add_f32_e32 v6, v54, v6
	v_fmac_f32_e32 v5, v9, v70
	v_add_f32_e32 v1, v1, v4
	v_mul_f32_e32 v4, v63, v69
	v_add_f32_e32 v6, v6, v5
	v_fma_f32 v4, v62, v68, -v4
	v_mul_f32_e32 v5, v62, v69
	v_fmac_f32_e32 v5, v63, v68
	v_add_f32_e32 v8, v2, v4
	v_mul_f32_e32 v2, v63, v71
	v_add_f32_e32 v9, v3, v5
	v_fma_f32 v48, v62, v70, -v2
	ds_read2_b64 v[2:5], v0 offset0:64 offset1:80
	v_mul_f32_e32 v50, v62, v71
	ds_read_b128 v[64:67], v49 offset:4176
	v_fmac_f32_e32 v50, v63, v70
	v_add_f32_e32 v10, v10, v50
	s_waitcnt lgkmcnt(1)
	v_mul_f32_e32 v50, v56, v3
	v_fmac_f32_e32 v50, v57, v2
	v_add_f32_e32 v35, v35, v50
	v_mul_f32_e32 v50, v56, v5
	v_add_f32_e32 v48, v7, v48
	v_mul_f32_e32 v7, v57, v3
	v_fmac_f32_e32 v50, v57, v4
	v_fma_f32 v7, v56, v2, -v7
	v_add_f32_e32 v50, v6, v50
	s_waitcnt lgkmcnt(0)
	v_mul_f32_e32 v6, v65, v3
	v_add_f32_e32 v11, v11, v7
	v_mul_f32_e32 v7, v57, v5
	v_fma_f32 v6, v64, v2, -v6
	v_mul_f32_e32 v3, v64, v3
	v_fma_f32 v7, v56, v4, -v7
	v_fmac_f32_e32 v3, v65, v2
	v_add_f32_e32 v2, v8, v6
	v_mul_f32_e32 v6, v65, v5
	v_add_f32_e32 v1, v1, v7
	v_add_f32_e32 v3, v9, v3
	v_fma_f32 v52, v64, v4, -v6
	ds_read2_b64 v[6:9], v0 offset0:96 offset1:112
	v_mul_f32_e32 v5, v64, v5
	v_fmac_f32_e32 v5, v65, v4
	v_add_f32_e32 v10, v10, v5
	v_add_f32_e32 v48, v48, v52
	s_waitcnt lgkmcnt(0)
	v_mul_f32_e32 v4, v59, v7
	v_fma_f32 v4, v58, v6, -v4
	v_mul_f32_e32 v5, v58, v7
	v_fmac_f32_e32 v5, v59, v6
	v_add_f32_e32 v11, v11, v4
	v_mul_f32_e32 v4, v59, v9
	v_add_f32_e32 v35, v35, v5
	v_fma_f32 v4, v58, v8, -v4
	v_mul_f32_e32 v5, v58, v9
	v_fmac_f32_e32 v5, v59, v8
	v_add_f32_e32 v1, v1, v4
	v_mul_f32_e32 v4, v67, v7
	v_add_f32_e32 v50, v50, v5
	v_fma_f32 v4, v66, v6, -v4
	v_mul_f32_e32 v5, v66, v7
	v_fmac_f32_e32 v5, v67, v6
	v_add_f32_e32 v52, v2, v4
	v_mul_f32_e32 v2, v67, v9
	v_add_f32_e32 v54, v3, v5
	v_fma_f32 v6, v66, v8, -v2
	ds_read2_b64 v[2:5], v0 offset0:128 offset1:144
	ds_read_b128 v[56:59], v49 offset:96
	v_mul_f32_e32 v7, v66, v9
	v_fmac_f32_e32 v7, v67, v8
	v_add_f32_e32 v48, v48, v6
	v_add_f32_e32 v10, v10, v7
	s_waitcnt lgkmcnt(0)
	v_mul_f32_e32 v60, v57, v3
	v_fma_f32 v60, v56, v2, -v60
	v_mul_f32_e32 v61, v56, v3
	v_fmac_f32_e32 v61, v57, v2
	v_add_f32_e32 v11, v11, v60
	v_mul_f32_e32 v60, v57, v5
	ds_read_b128 v[6:9], v49 offset:112
	v_add_f32_e32 v35, v35, v61
	v_fma_f32 v64, v56, v4, -v60
	ds_read_b128 v[60:63], v49 offset:4192
	v_mul_f32_e32 v56, v56, v5
	ds_read2_b64 v[68:71], v0 offset0:160 offset1:176
	v_fmac_f32_e32 v56, v57, v4
	v_add_f32_e32 v50, v50, v56
	s_waitcnt lgkmcnt(1)
	v_mul_f32_e32 v56, v61, v3
	v_fma_f32 v56, v60, v2, -v56
	v_mul_f32_e32 v3, v60, v3
	v_fmac_f32_e32 v3, v61, v2
	v_add_f32_e32 v2, v52, v56
	v_mul_f32_e32 v52, v61, v5
	v_mul_f32_e32 v5, v60, v5
	v_fma_f32 v52, v60, v4, -v52
	v_fmac_f32_e32 v5, v61, v4
	s_waitcnt lgkmcnt(0)
	v_mul_f32_e32 v4, v59, v69
	v_add_f32_e32 v10, v10, v5
	v_fma_f32 v4, v58, v68, -v4
	v_mul_f32_e32 v5, v58, v69
	v_fmac_f32_e32 v5, v59, v68
	v_add_f32_e32 v11, v11, v4
	v_mul_f32_e32 v4, v59, v71
	v_add_f32_e32 v1, v1, v64
	v_add_f32_e32 v35, v35, v5
	v_fma_f32 v4, v58, v70, -v4
	v_mul_f32_e32 v5, v58, v71
	v_fmac_f32_e32 v5, v59, v70
	v_add_f32_e32 v1, v1, v4
	v_mul_f32_e32 v4, v63, v69
	v_add_f32_e32 v50, v50, v5
	v_fma_f32 v4, v62, v68, -v4
	v_mul_f32_e32 v5, v62, v69
	v_add_f32_e32 v3, v54, v3
	v_add_f32_e32 v48, v48, v52
	v_fmac_f32_e32 v5, v63, v68
	v_add_f32_e32 v52, v2, v4
	v_mul_f32_e32 v2, v63, v71
	v_add_f32_e32 v54, v3, v5
	v_fma_f32 v56, v62, v70, -v2
	ds_read2_b64 v[2:5], v0 offset0:192 offset1:208
	ds_read_b128 v[64:67], v49 offset:4208
	v_add_f32_e32 v48, v48, v56
	v_mul_f32_e32 v57, v62, v71
	v_fmac_f32_e32 v57, v63, v70
	s_waitcnt lgkmcnt(1)
	v_mul_f32_e32 v56, v7, v3
	v_fma_f32 v56, v6, v2, -v56
	v_add_f32_e32 v11, v11, v56
	v_mul_f32_e32 v56, v7, v5
	v_add_f32_e32 v10, v10, v57
	v_mul_f32_e32 v57, v6, v3
	v_fma_f32 v56, v6, v4, -v56
	v_mul_f32_e32 v6, v6, v5
	v_fmac_f32_e32 v57, v7, v2
	v_fmac_f32_e32 v6, v7, v4
	v_add_f32_e32 v7, v1, v56
	s_waitcnt lgkmcnt(0)
	v_mul_f32_e32 v1, v65, v3
	v_fma_f32 v1, v64, v2, -v1
	v_mul_f32_e32 v3, v64, v3
	v_add_f32_e32 v6, v50, v6
	v_fmac_f32_e32 v3, v65, v2
	v_add_f32_e32 v50, v52, v1
	v_mul_f32_e32 v1, v65, v5
	v_add_f32_e32 v52, v54, v3
	v_fma_f32 v54, v64, v4, -v1
	ds_read2_b64 v[0:3], v0 offset0:224 offset1:240
	v_mul_f32_e32 v5, v64, v5
	v_fmac_f32_e32 v5, v65, v4
	v_add_f32_e32 v48, v48, v54
	v_add_f32_e32 v54, v10, v5
	s_waitcnt lgkmcnt(0)
	v_mul_f32_e32 v4, v9, v1
	v_fma_f32 v4, v8, v0, -v4
	v_add_f32_e32 v60, v11, v4
	v_mul_f32_e32 v4, v9, v3
	v_mul_f32_e32 v5, v8, v1
	v_fma_f32 v4, v8, v2, -v4
	v_add_f32_e32 v35, v35, v57
	v_fmac_f32_e32 v5, v9, v0
	v_add_f32_e32 v64, v7, v4
	v_mul_f32_e32 v4, v67, v1
	v_mul_f32_e32 v1, v66, v1
	v_add_f32_e32 v35, v35, v5
	v_mul_f32_e32 v5, v8, v3
	v_fma_f32 v4, v66, v0, -v4
	v_fmac_f32_e32 v1, v67, v0
	v_mul_f32_e32 v0, v67, v3
	v_fmac_f32_e32 v5, v9, v2
	v_add_f32_e32 v1, v52, v1
	v_fma_f32 v52, v66, v2, -v0
	v_add_u32_e32 v0, 0x1000, v13
	v_add_f32_e32 v65, v6, v5
	v_add_f32_e32 v50, v50, v4
	ds_read2_b64 v[4:7], v0 offset1:16
	ds_read_b128 v[8:11], v49 offset:128
	v_mul_f32_e32 v3, v66, v3
	v_fmac_f32_e32 v3, v67, v2
	v_add_f32_e32 v48, v48, v52
	v_add_f32_e32 v52, v54, v3
	s_waitcnt lgkmcnt(0)
	v_mul_f32_e32 v2, v9, v5
	v_fma_f32 v2, v8, v4, -v2
	ds_read_b128 v[56:59], v49 offset:144
	v_add_f32_e32 v54, v60, v2
	ds_read_b128 v[60:63], v49 offset:4224
	v_mul_f32_e32 v3, v8, v5
	v_fmac_f32_e32 v3, v9, v4
	v_mul_f32_e32 v2, v9, v7
	v_add_f32_e32 v35, v35, v3
	v_fma_f32 v2, v8, v6, -v2
	v_mul_f32_e32 v3, v8, v7
	v_fmac_f32_e32 v3, v9, v6
	v_add_f32_e32 v8, v64, v2
	s_waitcnt lgkmcnt(0)
	v_mul_f32_e32 v2, v61, v5
	v_add_f32_e32 v9, v65, v3
	v_fma_f32 v2, v60, v4, -v2
	v_mul_f32_e32 v3, v60, v5
	v_fmac_f32_e32 v3, v61, v4
	v_add_f32_e32 v50, v50, v2
	v_mul_f32_e32 v2, v61, v7
	v_add_f32_e32 v1, v1, v3
	v_fma_f32 v68, v60, v6, -v2
	ds_read2_b64 v[2:5], v0 offset0:32 offset1:48
	v_mul_f32_e32 v7, v60, v7
	v_fmac_f32_e32 v7, v61, v6
	v_add_f32_e32 v52, v52, v7
	ds_read_b128 v[64:67], v49 offset:4240
	s_waitcnt lgkmcnt(1)
	v_mul_f32_e32 v6, v11, v3
	v_fma_f32 v6, v10, v2, -v6
	v_mul_f32_e32 v7, v10, v3
	v_add_f32_e32 v54, v54, v6
	v_mul_f32_e32 v6, v11, v5
	v_fmac_f32_e32 v7, v11, v2
	v_fma_f32 v6, v10, v4, -v6
	v_add_f32_e32 v35, v35, v7
	v_mul_f32_e32 v7, v10, v5
	v_add_f32_e32 v10, v8, v6
	v_mul_f32_e32 v6, v63, v3
	v_fmac_f32_e32 v7, v11, v4
	v_fma_f32 v6, v62, v2, -v6
	v_mul_f32_e32 v3, v62, v3
	v_add_f32_e32 v11, v9, v7
	v_fmac_f32_e32 v3, v63, v2
	v_add_f32_e32 v2, v50, v6
	ds_read2_b64 v[6:9], v0 offset0:64 offset1:80
	v_add_f32_e32 v1, v1, v3
	v_mul_f32_e32 v3, v63, v5
	v_add_f32_e32 v48, v48, v68
	v_fma_f32 v3, v62, v4, -v3
	v_mul_f32_e32 v5, v62, v5
	v_add_f32_e32 v48, v48, v3
	s_waitcnt lgkmcnt(0)
	v_mul_f32_e32 v3, v57, v7
	v_fmac_f32_e32 v5, v63, v4
	v_fma_f32 v3, v56, v6, -v3
	v_mul_f32_e32 v4, v56, v7
	v_add_f32_e32 v50, v52, v5
	v_fmac_f32_e32 v4, v57, v6
	v_add_f32_e32 v52, v54, v3
	v_mul_f32_e32 v3, v57, v9
	v_add_f32_e32 v35, v35, v4
	v_fma_f32 v3, v56, v8, -v3
	v_mul_f32_e32 v4, v56, v9
	v_fmac_f32_e32 v4, v57, v8
	v_add_f32_e32 v10, v10, v3
	v_mul_f32_e32 v3, v65, v7
	v_add_f32_e32 v11, v11, v4
	v_fma_f32 v3, v64, v6, -v3
	v_mul_f32_e32 v4, v64, v7
	v_fmac_f32_e32 v4, v65, v6
	v_add_f32_e32 v6, v2, v3
	v_mul_f32_e32 v2, v65, v9
	v_add_f32_e32 v1, v1, v4
	v_fma_f32 v7, v64, v8, -v2
	ds_read2_b64 v[2:5], v0 offset0:96 offset1:112
	v_add_f32_e32 v48, v48, v7
	v_mul_f32_e32 v9, v64, v9
	v_fmac_f32_e32 v9, v65, v8
	v_add_f32_e32 v50, v50, v9
	s_waitcnt lgkmcnt(0)
	v_mul_f32_e32 v7, v59, v3
	v_fma_f32 v7, v58, v2, -v7
	v_mul_f32_e32 v8, v58, v3
	v_add_f32_e32 v52, v52, v7
	v_mul_f32_e32 v7, v59, v5
	v_fmac_f32_e32 v8, v59, v2
	v_fma_f32 v7, v58, v4, -v7
	v_add_f32_e32 v35, v35, v8
	v_mul_f32_e32 v8, v58, v5
	v_add_f32_e32 v10, v10, v7
	v_mul_f32_e32 v7, v67, v3
	v_fmac_f32_e32 v8, v59, v4
	v_fma_f32 v7, v66, v2, -v7
	v_add_f32_e32 v11, v11, v8
	v_add_f32_e32 v54, v6, v7
	ds_read2_b64 v[6:9], v0 offset0:128 offset1:144
	ds_read_b128 v[56:59], v49 offset:160
	v_mul_f32_e32 v3, v66, v3
	v_fmac_f32_e32 v3, v67, v2
	v_add_f32_e32 v1, v1, v3
	v_mul_f32_e32 v2, v67, v5
	s_waitcnt lgkmcnt(0)
	v_mul_f32_e32 v60, v57, v7
	v_mul_f32_e32 v3, v66, v5
	v_fma_f32 v60, v56, v6, -v60
	v_mul_f32_e32 v61, v56, v7
	v_fma_f32 v2, v66, v4, -v2
	v_fmac_f32_e32 v3, v67, v4
	v_fmac_f32_e32 v61, v57, v6
	v_add_f32_e32 v52, v52, v60
	v_mul_f32_e32 v60, v57, v9
	v_add_f32_e32 v48, v48, v2
	v_add_f32_e32 v50, v50, v3
	ds_read_b128 v[2:5], v49 offset:176
	v_add_f32_e32 v35, v35, v61
	v_fma_f32 v64, v56, v8, -v60
	ds_read_b128 v[60:63], v49 offset:4256
	v_mul_f32_e32 v56, v56, v9
	v_fmac_f32_e32 v56, v57, v8
	ds_read2_b64 v[68:71], v0 offset0:160 offset1:176
	v_add_f32_e32 v11, v11, v56
	s_waitcnt lgkmcnt(1)
	v_mul_f32_e32 v56, v61, v7
	v_mul_f32_e32 v7, v60, v7
	v_fmac_f32_e32 v7, v61, v6
	v_add_f32_e32 v1, v1, v7
	v_mul_f32_e32 v7, v61, v9
	v_fma_f32 v7, v60, v8, -v7
	v_mul_f32_e32 v9, v60, v9
	v_add_f32_e32 v48, v48, v7
	s_waitcnt lgkmcnt(0)
	v_mul_f32_e32 v7, v59, v69
	v_fmac_f32_e32 v9, v61, v8
	v_fma_f32 v7, v58, v68, -v7
	v_mul_f32_e32 v8, v58, v69
	v_fmac_f32_e32 v8, v59, v68
	v_add_f32_e32 v52, v52, v7
	v_mul_f32_e32 v7, v59, v71
	v_add_f32_e32 v10, v10, v64
	v_add_f32_e32 v35, v35, v8
	v_fma_f32 v7, v58, v70, -v7
	v_mul_f32_e32 v8, v58, v71
	v_fma_f32 v56, v60, v6, -v56
	v_fmac_f32_e32 v8, v59, v70
	v_add_f32_e32 v10, v10, v7
	v_mul_f32_e32 v7, v63, v69
	v_add_f32_e32 v6, v54, v56
	v_add_f32_e32 v11, v11, v8
	v_fma_f32 v7, v62, v68, -v7
	v_mul_f32_e32 v8, v62, v69
	v_fmac_f32_e32 v8, v63, v68
	v_add_f32_e32 v54, v6, v7
	v_mul_f32_e32 v6, v63, v71
	v_add_f32_e32 v50, v50, v9
	v_add_f32_e32 v1, v1, v8
	v_fma_f32 v56, v62, v70, -v6
	ds_read2_b64 v[6:9], v0 offset0:192 offset1:208
	ds_read_b128 v[64:67], v49 offset:4272
	v_add_f32_e32 v48, v48, v56
	v_mul_f32_e32 v57, v62, v71
	v_fmac_f32_e32 v57, v63, v70
	s_waitcnt lgkmcnt(1)
	v_mul_f32_e32 v56, v3, v7
	v_fma_f32 v56, v2, v6, -v56
	v_add_f32_e32 v52, v52, v56
	v_mul_f32_e32 v56, v3, v9
	v_add_f32_e32 v50, v50, v57
	v_mul_f32_e32 v57, v2, v7
	v_fma_f32 v56, v2, v8, -v56
	v_mul_f32_e32 v2, v2, v9
	v_fmac_f32_e32 v57, v3, v6
	v_fmac_f32_e32 v2, v3, v8
	s_waitcnt lgkmcnt(0)
	v_mul_f32_e32 v3, v64, v7
	v_add_f32_e32 v11, v11, v2
	v_mul_f32_e32 v2, v65, v7
	v_fmac_f32_e32 v3, v65, v6
	v_fma_f32 v2, v64, v6, -v2
	v_add_f32_e32 v7, v1, v3
	v_mul_f32_e32 v1, v65, v9
	v_add_f32_e32 v6, v54, v2
	v_fma_f32 v54, v64, v8, -v1
	ds_read2_b64 v[0:3], v0 offset0:224 offset1:240
	v_mul_f32_e32 v9, v64, v9
	v_fmac_f32_e32 v9, v65, v8
	v_add_f32_e32 v50, v50, v9
	v_add_f32_e32 v35, v35, v57
	s_waitcnt lgkmcnt(0)
	v_mul_f32_e32 v8, v5, v1
	v_fma_f32 v8, v4, v0, -v8
	v_add_f32_e32 v52, v52, v8
	v_mul_f32_e32 v8, v5, v3
	v_mul_f32_e32 v9, v4, v1
	v_fma_f32 v8, v4, v2, -v8
	v_mul_f32_e32 v4, v4, v3
	v_fmac_f32_e32 v4, v5, v2
	v_add_f32_e32 v64, v11, v4
	v_mul_f32_e32 v4, v67, v1
	v_mul_f32_e32 v1, v66, v1
	v_fmac_f32_e32 v9, v5, v0
	v_fma_f32 v4, v66, v0, -v4
	v_fmac_f32_e32 v1, v67, v0
	v_mul_f32_e32 v0, v67, v3
	v_add_f32_e32 v10, v10, v56
	v_fma_f32 v56, v66, v2, -v0
	v_add_u32_e32 v0, 0x1800, v13
	v_add_f32_e32 v48, v48, v54
	v_add_f32_e32 v35, v35, v9
	;; [unrolled: 1-line block ×5, first 2 shown]
	ds_read2_b64 v[4:7], v0 offset1:16
	ds_read_b128 v[8:11], v49 offset:192
	v_mul_f32_e32 v3, v66, v3
	v_add_f32_e32 v48, v48, v56
	ds_read_b128 v[56:59], v49 offset:208
	ds_read_b128 v[60:63], v49 offset:4288
	v_fmac_f32_e32 v3, v67, v2
	s_waitcnt lgkmcnt(2)
	v_mul_f32_e32 v2, v9, v5
	v_add_f32_e32 v50, v50, v3
	v_fma_f32 v2, v8, v4, -v2
	v_mul_f32_e32 v3, v8, v5
	v_fmac_f32_e32 v3, v9, v4
	v_add_f32_e32 v52, v52, v2
	v_mul_f32_e32 v2, v9, v7
	v_add_f32_e32 v35, v35, v3
	v_fma_f32 v2, v8, v6, -v2
	v_mul_f32_e32 v3, v8, v7
	v_fmac_f32_e32 v3, v9, v6
	v_add_f32_e32 v8, v54, v2
	s_waitcnt lgkmcnt(0)
	v_mul_f32_e32 v2, v61, v5
	v_add_f32_e32 v9, v64, v3
	v_fma_f32 v2, v60, v4, -v2
	v_mul_f32_e32 v3, v60, v5
	v_fmac_f32_e32 v3, v61, v4
	v_add_f32_e32 v54, v68, v2
	v_mul_f32_e32 v2, v61, v7
	v_add_f32_e32 v1, v1, v3
	v_fma_f32 v68, v60, v6, -v2
	ds_read2_b64 v[2:5], v0 offset0:32 offset1:48
	v_mul_f32_e32 v7, v60, v7
	v_fmac_f32_e32 v7, v61, v6
	v_add_f32_e32 v50, v50, v7
	ds_read_b128 v[64:67], v49 offset:4304
	s_waitcnt lgkmcnt(1)
	v_mul_f32_e32 v6, v11, v3
	v_fma_f32 v6, v10, v2, -v6
	v_mul_f32_e32 v7, v10, v3
	v_add_f32_e32 v52, v52, v6
	v_mul_f32_e32 v6, v11, v5
	v_fmac_f32_e32 v7, v11, v2
	v_fma_f32 v6, v10, v4, -v6
	v_add_f32_e32 v35, v35, v7
	v_mul_f32_e32 v7, v10, v5
	v_add_f32_e32 v10, v8, v6
	v_mul_f32_e32 v6, v63, v3
	v_fmac_f32_e32 v7, v11, v4
	v_fma_f32 v6, v62, v2, -v6
	v_mul_f32_e32 v3, v62, v3
	v_add_f32_e32 v11, v9, v7
	v_fmac_f32_e32 v3, v63, v2
	v_add_f32_e32 v2, v54, v6
	ds_read2_b64 v[6:9], v0 offset0:64 offset1:80
	v_add_f32_e32 v1, v1, v3
	v_mul_f32_e32 v3, v63, v5
	v_add_f32_e32 v48, v48, v68
	v_fma_f32 v3, v62, v4, -v3
	v_mul_f32_e32 v5, v62, v5
	v_add_f32_e32 v48, v48, v3
	s_waitcnt lgkmcnt(0)
	v_mul_f32_e32 v3, v57, v7
	v_fmac_f32_e32 v5, v63, v4
	v_fma_f32 v3, v56, v6, -v3
	v_mul_f32_e32 v4, v56, v7
	v_fmac_f32_e32 v4, v57, v6
	v_add_f32_e32 v52, v52, v3
	v_mul_f32_e32 v3, v57, v9
	v_add_f32_e32 v35, v35, v4
	v_fma_f32 v3, v56, v8, -v3
	v_mul_f32_e32 v4, v56, v9
	v_fmac_f32_e32 v4, v57, v8
	v_add_f32_e32 v10, v10, v3
	v_mul_f32_e32 v3, v65, v7
	v_add_f32_e32 v11, v11, v4
	;; [unrolled: 6-line block ×3, first 2 shown]
	v_add_f32_e32 v1, v1, v4
	v_fma_f32 v7, v64, v8, -v2
	ds_read2_b64 v[2:5], v0 offset0:96 offset1:112
	v_add_f32_e32 v48, v48, v7
	v_mul_f32_e32 v9, v64, v9
	v_fmac_f32_e32 v9, v65, v8
	v_add_f32_e32 v50, v50, v9
	s_waitcnt lgkmcnt(0)
	v_mul_f32_e32 v7, v59, v3
	v_fma_f32 v7, v58, v2, -v7
	v_mul_f32_e32 v8, v58, v3
	v_add_f32_e32 v52, v52, v7
	v_mul_f32_e32 v7, v59, v5
	v_fmac_f32_e32 v8, v59, v2
	v_fma_f32 v7, v58, v4, -v7
	v_add_f32_e32 v35, v35, v8
	v_mul_f32_e32 v8, v58, v5
	v_add_f32_e32 v10, v10, v7
	v_mul_f32_e32 v7, v67, v3
	v_fmac_f32_e32 v8, v59, v4
	v_fma_f32 v7, v66, v2, -v7
	v_add_f32_e32 v11, v11, v8
	v_add_f32_e32 v54, v6, v7
	ds_read2_b64 v[6:9], v0 offset0:128 offset1:144
	ds_read_b128 v[56:59], v49 offset:224
	v_mul_f32_e32 v3, v66, v3
	v_fmac_f32_e32 v3, v67, v2
	v_add_f32_e32 v1, v1, v3
	v_mul_f32_e32 v2, v67, v5
	s_waitcnt lgkmcnt(0)
	v_mul_f32_e32 v60, v57, v7
	v_mul_f32_e32 v3, v66, v5
	v_fma_f32 v60, v56, v6, -v60
	v_mul_f32_e32 v61, v56, v7
	v_fma_f32 v2, v66, v4, -v2
	v_fmac_f32_e32 v3, v67, v4
	v_fmac_f32_e32 v61, v57, v6
	v_add_f32_e32 v52, v52, v60
	v_mul_f32_e32 v60, v57, v9
	v_add_f32_e32 v48, v48, v2
	v_add_f32_e32 v50, v50, v3
	ds_read_b128 v[2:5], v49 offset:240
	v_add_f32_e32 v35, v35, v61
	v_fma_f32 v64, v56, v8, -v60
	ds_read_b128 v[60:63], v49 offset:4320
	v_mul_f32_e32 v56, v56, v9
	v_fmac_f32_e32 v56, v57, v8
	ds_read2_b64 v[68:71], v0 offset0:160 offset1:176
	v_add_f32_e32 v11, v11, v56
	s_waitcnt lgkmcnt(1)
	v_mul_f32_e32 v56, v61, v7
	v_mul_f32_e32 v7, v60, v7
	v_fmac_f32_e32 v7, v61, v6
	v_add_f32_e32 v1, v1, v7
	v_mul_f32_e32 v7, v61, v9
	v_fma_f32 v7, v60, v8, -v7
	v_mul_f32_e32 v9, v60, v9
	v_add_f32_e32 v48, v48, v7
	s_waitcnt lgkmcnt(0)
	v_mul_f32_e32 v7, v59, v69
	v_fmac_f32_e32 v9, v61, v8
	v_fma_f32 v7, v58, v68, -v7
	v_mul_f32_e32 v8, v58, v69
	v_fmac_f32_e32 v8, v59, v68
	v_add_f32_e32 v52, v52, v7
	v_mul_f32_e32 v7, v59, v71
	v_add_f32_e32 v10, v10, v64
	v_add_f32_e32 v35, v35, v8
	v_fma_f32 v7, v58, v70, -v7
	v_mul_f32_e32 v8, v58, v71
	v_fma_f32 v56, v60, v6, -v56
	v_fmac_f32_e32 v8, v59, v70
	v_add_f32_e32 v10, v10, v7
	v_mul_f32_e32 v7, v63, v69
	v_add_f32_e32 v6, v54, v56
	v_add_f32_e32 v11, v11, v8
	v_fma_f32 v7, v62, v68, -v7
	v_mul_f32_e32 v8, v62, v69
	v_fmac_f32_e32 v8, v63, v68
	v_add_f32_e32 v54, v6, v7
	v_mul_f32_e32 v6, v63, v71
	v_add_f32_e32 v50, v50, v9
	v_add_f32_e32 v1, v1, v8
	v_fma_f32 v56, v62, v70, -v6
	ds_read2_b64 v[6:9], v0 offset0:192 offset1:208
	ds_read_b128 v[64:67], v49 offset:4336
	v_add_f32_e32 v48, v48, v56
	v_mul_f32_e32 v57, v62, v71
	v_fmac_f32_e32 v57, v63, v70
	s_waitcnt lgkmcnt(1)
	v_mul_f32_e32 v56, v3, v7
	v_fma_f32 v56, v2, v6, -v56
	v_add_f32_e32 v52, v52, v56
	v_mul_f32_e32 v56, v3, v9
	v_add_f32_e32 v50, v50, v57
	v_mul_f32_e32 v57, v2, v7
	v_fma_f32 v56, v2, v8, -v56
	v_mul_f32_e32 v2, v2, v9
	v_fmac_f32_e32 v57, v3, v6
	v_fmac_f32_e32 v2, v3, v8
	s_waitcnt lgkmcnt(0)
	v_mul_f32_e32 v3, v64, v7
	v_add_f32_e32 v11, v11, v2
	v_mul_f32_e32 v2, v65, v7
	v_fmac_f32_e32 v3, v65, v6
	v_fma_f32 v2, v64, v6, -v2
	v_add_f32_e32 v7, v1, v3
	v_mul_f32_e32 v1, v65, v9
	v_add_f32_e32 v6, v54, v2
	v_fma_f32 v54, v64, v8, -v1
	ds_read2_b64 v[0:3], v0 offset0:224 offset1:240
	v_mul_f32_e32 v9, v64, v9
	v_fmac_f32_e32 v9, v65, v8
	v_add_f32_e32 v9, v50, v9
	v_add_f32_e32 v35, v35, v57
	s_waitcnt lgkmcnt(0)
	v_mul_f32_e32 v50, v4, v1
	v_fmac_f32_e32 v50, v5, v0
	v_add_f32_e32 v8, v48, v54
	v_mul_f32_e32 v48, v5, v1
	v_add_f32_e32 v62, v35, v50
	v_mul_f32_e32 v35, v5, v3
	v_fma_f32 v48, v4, v0, -v48
	v_fma_f32 v35, v4, v2, -v35
	v_mul_f32_e32 v4, v4, v3
	v_fmac_f32_e32 v4, v5, v2
	v_add_f32_e32 v58, v11, v4
	v_mul_f32_e32 v4, v67, v1
	v_mul_f32_e32 v1, v66, v1
	v_fma_f32 v4, v66, v0, -v4
	v_fmac_f32_e32 v1, v67, v0
	v_mul_f32_e32 v0, v67, v3
	v_fma_f32 v0, v66, v2, -v0
	v_addc_co_u32_e32 v41, vcc, 0, v41, vcc
	v_add_f32_e32 v50, v8, v0
	v_mov_b32_e32 v0, s43
	v_add_co_u32_e32 v46, vcc, s42, v46
	v_addc_co_u32_e32 v47, vcc, v47, v0, vcc
	v_add_co_u32_e32 v44, vcc, s42, v44
	v_add_f32_e32 v54, v7, v1
	v_mul_f32_e32 v1, v66, v3
	s_add_u32 s22, s22, 32
	v_addc_co_u32_e32 v45, vcc, v45, v0, vcc
	v_add_f32_e32 v10, v10, v56
	v_fmac_f32_e32 v1, v67, v2
	s_addc_u32 s23, s23, 0
	s_sub_i32 s12, s22, 32
	v_add_co_u32_e32 v42, vcc, 0x100, v42
	v_add_f32_e32 v60, v52, v48
	v_add_f32_e32 v56, v10, v35
	;; [unrolled: 1-line block ×4, first 2 shown]
	s_cmp_ge_i32 s12, s51
	v_addc_co_u32_e32 v43, vcc, 0, v43, vcc
	s_barrier
	s_cbranch_scc1 .LBB73_55
.LBB73_7:                               ;   Parent Loop BB73_4 Depth=1
                                        ; =>  This Inner Loop Header: Depth=2
	v_mov_b32_e32 v1, s23
	v_add_co_u32_e32 v0, vcc, s22, v12
	v_addc_co_u32_e32 v1, vcc, 0, v1, vcc
	v_add_co_u32_e32 v2, vcc, v46, v36
	v_addc_co_u32_e32 v3, vcc, v47, v37, vcc
	v_cmp_eq_u64_e32 vcc, s[22:23], v[26:27]
	v_cmp_le_i64_e64 s[12:13], s[38:39], v[0:1]
	s_and_b64 s[28:29], s[36:37], vcc
	v_cmp_gt_i64_e32 vcc, v[0:1], v[18:19]
	s_or_b64 s[16:17], s[12:13], vcc
	s_or_b64 s[16:17], s[16:17], s[28:29]
	s_or_b64 s[16:17], s[0:1], s[16:17]
	s_xor_b64 s[16:17], s[16:17], -1
	s_and_saveexec_b64 s[26:27], s[16:17]
	s_xor_b64 s[16:17], exec, s[26:27]
	s_cbranch_execz .LBB73_9
; %bb.8:                                ;   in Loop: Header=BB73_7 Depth=2
	global_load_dwordx2 v[4:5], v[2:3], off
	s_waitcnt vmcnt(0)
	ds_write_b64 v17, v[4:5]
.LBB73_9:                               ;   in Loop: Header=BB73_7 Depth=2
	s_or_saveexec_b64 s[16:17], s[16:17]
	s_xor_b64 s[26:27], s[28:29], -1
	s_xor_b64 exec, exec, s[16:17]
	s_cbranch_execz .LBB73_15
; %bb.10:                               ;   in Loop: Header=BB73_7 Depth=2
	s_and_saveexec_b64 s[46:47], s[26:27]
	s_xor_b64 s[46:47], exec, s[46:47]
	s_cbranch_execz .LBB73_12
; %bb.11:                               ;   in Loop: Header=BB73_7 Depth=2
	v_mov_b32_e32 v4, v15
	v_mov_b32_e32 v5, v15
	ds_write_b64 v17, v[4:5]
.LBB73_12:                              ;   in Loop: Header=BB73_7 Depth=2
	s_andn2_saveexec_b64 s[46:47], s[46:47]
	s_cbranch_execz .LBB73_14
; %bb.13:                               ;   in Loop: Header=BB73_7 Depth=2
	ds_write_b64 v17, v[14:15]
.LBB73_14:                              ;   in Loop: Header=BB73_7 Depth=2
	s_or_b64 exec, exec, s[46:47]
.LBB73_15:                              ;   in Loop: Header=BB73_7 Depth=2
	s_or_b64 exec, exec, s[16:17]
	v_cmp_eq_u64_e64 s[16:17], s[22:23], v[28:29]
	s_and_b64 s[46:47], s[36:37], s[16:17]
	v_cmp_lt_i64_e64 s[16:17], v[22:23], v[0:1]
	s_or_b64 s[12:13], s[12:13], s[16:17]
	s_or_b64 s[12:13], s[12:13], s[46:47]
	;; [unrolled: 1-line block ×3, first 2 shown]
	s_xor_b64 s[12:13], s[12:13], -1
	s_and_saveexec_b64 s[16:17], s[12:13]
	s_xor_b64 s[12:13], exec, s[16:17]
	s_cbranch_execz .LBB73_17
; %bb.16:                               ;   in Loop: Header=BB73_7 Depth=2
	global_load_dwordx2 v[2:3], v[2:3], off offset:128
	s_waitcnt vmcnt(0)
	ds_write_b64 v17, v[2:3] offset:128
.LBB73_17:                              ;   in Loop: Header=BB73_7 Depth=2
	s_andn2_saveexec_b64 s[12:13], s[12:13]
	s_cbranch_execz .LBB73_23
; %bb.18:                               ;   in Loop: Header=BB73_7 Depth=2
	s_xor_b64 s[16:17], s[46:47], -1
	s_and_saveexec_b64 s[46:47], s[16:17]
	s_xor_b64 s[16:17], exec, s[46:47]
	s_cbranch_execz .LBB73_20
; %bb.19:                               ;   in Loop: Header=BB73_7 Depth=2
	v_mov_b32_e32 v2, v15
	v_mov_b32_e32 v3, v15
	ds_write_b64 v17, v[2:3] offset:128
.LBB73_20:                              ;   in Loop: Header=BB73_7 Depth=2
	s_andn2_saveexec_b64 s[16:17], s[16:17]
	s_cbranch_execz .LBB73_22
; %bb.21:                               ;   in Loop: Header=BB73_7 Depth=2
	ds_write_b64 v17, v[14:15] offset:128
.LBB73_22:                              ;   in Loop: Header=BB73_7 Depth=2
	s_or_b64 exec, exec, s[16:17]
.LBB73_23:                              ;   in Loop: Header=BB73_7 Depth=2
	s_or_b64 exec, exec, s[12:13]
	v_add_co_u32_e64 v0, s[12:13], 16, v0
	v_addc_co_u32_e64 v1, s[12:13], 0, v1, s[12:13]
	v_cmp_eq_u64_e64 s[16:17], s[22:23], v[30:31]
	v_cmp_le_i64_e64 s[12:13], s[38:39], v[0:1]
	s_and_b64 s[46:47], s[36:37], s[16:17]
	v_cmp_gt_i64_e64 s[16:17], v[0:1], v[18:19]
	s_or_b64 s[16:17], s[12:13], s[16:17]
	s_or_b64 s[16:17], s[16:17], s[46:47]
	;; [unrolled: 1-line block ×3, first 2 shown]
	s_xor_b64 s[16:17], s[16:17], -1
	s_and_saveexec_b64 s[48:49], s[16:17]
	s_xor_b64 s[48:49], exec, s[48:49]
	s_cbranch_execz .LBB73_25
; %bb.24:                               ;   in Loop: Header=BB73_7 Depth=2
	v_add_co_u32_e64 v0, s[16:17], v44, v36
	v_addc_co_u32_e64 v1, s[16:17], v45, v37, s[16:17]
	global_load_dwordx2 v[0:1], v[0:1], off
	s_waitcnt vmcnt(0)
	ds_write_b64 v17, v[0:1] offset:4096
.LBB73_25:                              ;   in Loop: Header=BB73_7 Depth=2
	s_andn2_saveexec_b64 s[16:17], s[48:49]
	s_cbranch_execz .LBB73_31
; %bb.26:                               ;   in Loop: Header=BB73_7 Depth=2
	s_xor_b64 s[46:47], s[46:47], -1
	s_and_saveexec_b64 s[48:49], s[46:47]
	s_xor_b64 s[46:47], exec, s[48:49]
	s_cbranch_execz .LBB73_28
; %bb.27:                               ;   in Loop: Header=BB73_7 Depth=2
	v_mov_b32_e32 v0, v15
	v_mov_b32_e32 v1, v15
	ds_write_b64 v17, v[0:1] offset:4096
.LBB73_28:                              ;   in Loop: Header=BB73_7 Depth=2
	s_andn2_saveexec_b64 s[46:47], s[46:47]
	s_cbranch_execz .LBB73_30
; %bb.29:                               ;   in Loop: Header=BB73_7 Depth=2
	ds_write_b64 v17, v[14:15] offset:4096
.LBB73_30:                              ;   in Loop: Header=BB73_7 Depth=2
	s_or_b64 exec, exec, s[46:47]
.LBB73_31:                              ;   in Loop: Header=BB73_7 Depth=2
	s_or_b64 exec, exec, s[16:17]
	s_or_b64 s[12:13], s[12:13], vcc
	s_or_b64 s[12:13], s[12:13], s[28:29]
	s_or_b64 s[12:13], s[2:3], s[12:13]
	s_xor_b64 s[12:13], s[12:13], -1
	s_and_saveexec_b64 s[16:17], s[12:13]
	s_xor_b64 s[12:13], exec, s[16:17]
	s_cbranch_execz .LBB73_33
; %bb.32:                               ;   in Loop: Header=BB73_7 Depth=2
	v_add_co_u32_e32 v0, vcc, v44, v36
	v_addc_co_u32_e32 v1, vcc, v45, v37, vcc
	global_load_dwordx2 v[0:1], v[0:1], off offset:128
	s_waitcnt vmcnt(0)
	ds_write_b64 v17, v[0:1] offset:4224
.LBB73_33:                              ;   in Loop: Header=BB73_7 Depth=2
	s_andn2_saveexec_b64 s[12:13], s[12:13]
	s_cbranch_execz .LBB73_39
; %bb.34:                               ;   in Loop: Header=BB73_7 Depth=2
	s_and_saveexec_b64 s[16:17], s[26:27]
	s_xor_b64 s[16:17], exec, s[16:17]
	s_cbranch_execz .LBB73_36
; %bb.35:                               ;   in Loop: Header=BB73_7 Depth=2
	v_mov_b32_e32 v0, v15
	v_mov_b32_e32 v1, v15
	ds_write_b64 v17, v[0:1] offset:4224
.LBB73_36:                              ;   in Loop: Header=BB73_7 Depth=2
	s_andn2_saveexec_b64 s[16:17], s[16:17]
	s_cbranch_execz .LBB73_38
; %bb.37:                               ;   in Loop: Header=BB73_7 Depth=2
	ds_write_b64 v17, v[14:15] offset:4224
.LBB73_38:                              ;   in Loop: Header=BB73_7 Depth=2
	s_or_b64 exec, exec, s[16:17]
.LBB73_39:                              ;   in Loop: Header=BB73_7 Depth=2
	s_or_b64 exec, exec, s[12:13]
	v_mov_b32_e32 v1, s23
	v_add_co_u32_e32 v0, vcc, s22, v16
	v_addc_co_u32_e32 v1, vcc, 0, v1, vcc
	v_cmp_gt_i64_e32 vcc, s[38:39], v[0:1]
	s_and_b64 s[12:13], s[8:9], vcc
	s_xor_b64 s[12:13], s[12:13], -1
	s_and_saveexec_b64 s[16:17], s[12:13]
	s_xor_b64 s[12:13], exec, s[16:17]
	s_cbranch_execz .LBB73_41
; %bb.40:                               ;   in Loop: Header=BB73_7 Depth=2
	v_mov_b32_e32 v2, v15
	v_mov_b32_e32 v3, v15
	ds_write_b64 v51, v[2:3]
.LBB73_41:                              ;   in Loop: Header=BB73_7 Depth=2
	s_andn2_saveexec_b64 s[12:13], s[12:13]
	s_cbranch_execz .LBB73_43
; %bb.42:                               ;   in Loop: Header=BB73_7 Depth=2
	global_load_dwordx2 v[2:3], v[40:41], off offset:-128
	s_waitcnt vmcnt(0)
	ds_write_b64 v51, v[2:3]
.LBB73_43:                              ;   in Loop: Header=BB73_7 Depth=2
	s_or_b64 exec, exec, s[12:13]
	v_cmp_gt_i64_e64 s[12:13], s[44:45], v[0:1]
	s_and_b64 s[16:17], s[8:9], s[12:13]
	s_xor_b64 s[16:17], s[16:17], -1
	s_and_saveexec_b64 s[26:27], s[16:17]
	s_xor_b64 s[16:17], exec, s[26:27]
	s_cbranch_execz .LBB73_45
; %bb.44:                               ;   in Loop: Header=BB73_7 Depth=2
	v_mov_b32_e32 v0, v15
	v_mov_b32_e32 v1, v15
	ds_write_b64 v51, v[0:1] offset:128
.LBB73_45:                              ;   in Loop: Header=BB73_7 Depth=2
	s_andn2_saveexec_b64 s[16:17], s[16:17]
	s_cbranch_execz .LBB73_47
; %bb.46:                               ;   in Loop: Header=BB73_7 Depth=2
	global_load_dwordx2 v[0:1], v[40:41], off
	s_waitcnt vmcnt(0)
	ds_write_b64 v51, v[0:1] offset:128
.LBB73_47:                              ;   in Loop: Header=BB73_7 Depth=2
	s_or_b64 exec, exec, s[16:17]
	s_and_b64 s[16:17], s[10:11], vcc
	s_xor_b64 s[16:17], s[16:17], -1
	s_and_saveexec_b64 s[26:27], s[16:17]
	s_xor_b64 s[16:17], exec, s[26:27]
	s_cbranch_execz .LBB73_49
; %bb.48:                               ;   in Loop: Header=BB73_7 Depth=2
	v_mov_b32_e32 v0, v15
	v_mov_b32_e32 v1, v15
	ds_write_b64 v51, v[0:1] offset:4096
.LBB73_49:                              ;   in Loop: Header=BB73_7 Depth=2
	s_andn2_saveexec_b64 s[16:17], s[16:17]
	s_cbranch_execz .LBB73_51
; %bb.50:                               ;   in Loop: Header=BB73_7 Depth=2
	global_load_dwordx2 v[0:1], v[42:43], off offset:-128
	s_waitcnt vmcnt(0)
	ds_write_b64 v51, v[0:1] offset:4096
.LBB73_51:                              ;   in Loop: Header=BB73_7 Depth=2
	s_or_b64 exec, exec, s[16:17]
	s_and_b64 s[12:13], s[10:11], s[12:13]
	s_xor_b64 s[12:13], s[12:13], -1
	s_and_saveexec_b64 s[16:17], s[12:13]
	s_xor_b64 s[12:13], exec, s[16:17]
	s_cbranch_execz .LBB73_53
; %bb.52:                               ;   in Loop: Header=BB73_7 Depth=2
	v_mov_b32_e32 v0, v15
	v_mov_b32_e32 v1, v15
	ds_write_b64 v51, v[0:1] offset:4224
.LBB73_53:                              ;   in Loop: Header=BB73_7 Depth=2
	s_andn2_saveexec_b64 s[12:13], s[12:13]
	s_cbranch_execz .LBB73_6
; %bb.54:                               ;   in Loop: Header=BB73_7 Depth=2
	global_load_dwordx2 v[0:1], v[42:43], off
	s_waitcnt vmcnt(0)
	ds_write_b64 v51, v[0:1] offset:4224
	s_branch .LBB73_6
.LBB73_55:                              ;   in Loop: Header=BB73_4 Depth=1
	v_mul_lo_u32 v2, v55, s40
	v_mul_lo_u32 v3, v53, s41
	v_mad_u64_u32 v[0:1], s[8:9], v53, s40, 0
	v_add3_u32 v1, v1, v3, v2
	v_lshlrev_b64 v[0:1], 3, v[0:1]
	v_mov_b32_e32 v2, s50
	v_add_co_u32_e64 v0, s[8:9], s31, v0
	v_cmp_gt_i32_e32 vcc, s30, v53
	v_addc_co_u32_e64 v1, s[8:9], v2, v1, s[8:9]
	s_and_b64 s[8:9], s[4:5], vcc
	s_and_saveexec_b64 s[10:11], s[8:9]
	s_cbranch_execz .LBB73_57
; %bb.56:                               ;   in Loop: Header=BB73_4 Depth=1
	v_add_co_u32_e64 v2, s[8:9], v0, v36
	v_addc_co_u32_e64 v3, s[8:9], v1, v37, s[8:9]
	global_load_dwordx2 v[4:5], v[2:3], off
	v_pk_mul_f32 v[6:7], v[62:63], s[34:35] op_sel_hi:[0,1]
	v_pk_fma_f32 v[8:9], v[60:61], s[34:35], v[6:7] op_sel:[0,0,1] op_sel_hi:[1,1,0] neg_lo:[0,0,1] neg_hi:[0,0,1]
	v_pk_fma_f32 v[6:7], v[60:61], s[34:35], v[6:7] op_sel:[0,0,1] op_sel_hi:[0,1,0]
	v_mov_b32_e32 v9, v7
	s_waitcnt vmcnt(0)
	v_pk_add_f32 v[4:5], v[4:5], v[8:9]
	global_store_dwordx2 v[2:3], v[4:5], off
.LBB73_57:                              ;   in Loop: Header=BB73_4 Depth=1
	s_or_b64 exec, exec, s[10:11]
	s_and_b64 s[10:11], s[14:15], vcc
	s_and_saveexec_b64 s[8:9], s[10:11]
	s_cbranch_execz .LBB73_59
; %bb.58:                               ;   in Loop: Header=BB73_4 Depth=1
	v_lshlrev_b64 v[2:3], 3, v[24:25]
	v_add_co_u32_e32 v0, vcc, v0, v2
	v_addc_co_u32_e32 v1, vcc, v1, v3, vcc
	global_load_dwordx2 v[2:3], v[0:1], off
	v_pk_mul_f32 v[4:5], v[58:59], s[34:35] op_sel_hi:[0,1]
	v_pk_fma_f32 v[6:7], v[56:57], s[34:35], v[4:5] op_sel:[0,0,1] op_sel_hi:[1,1,0] neg_lo:[0,0,1] neg_hi:[0,0,1]
	v_pk_fma_f32 v[4:5], v[56:57], s[34:35], v[4:5] op_sel:[0,0,1] op_sel_hi:[0,1,0]
	v_mov_b32_e32 v7, v5
	s_waitcnt vmcnt(0)
	v_pk_add_f32 v[2:3], v[2:3], v[6:7]
	global_store_dwordx2 v[0:1], v[2:3], off
.LBB73_59:                              ;   in Loop: Header=BB73_4 Depth=1
	s_or_b64 exec, exec, s[8:9]
	v_add_u32_e32 v0, 16, v53
	v_ashrrev_i32_e32 v1, 31, v0
	v_cmp_gt_i32_e32 vcc, s30, v0
	v_mul_lo_u32 v2, v1, s40
	v_mul_lo_u32 v3, v0, s41
	v_mad_u64_u32 v[0:1], s[8:9], v0, s40, 0
	v_add3_u32 v1, v1, v3, v2
	v_lshlrev_b64 v[0:1], 3, v[0:1]
	v_mov_b32_e32 v2, s50
	v_add_co_u32_e64 v0, s[8:9], s31, v0
	v_addc_co_u32_e64 v1, s[8:9], v2, v1, s[8:9]
	s_and_b64 s[8:9], s[4:5], vcc
	s_and_saveexec_b64 s[10:11], s[8:9]
	s_cbranch_execz .LBB73_61
; %bb.60:                               ;   in Loop: Header=BB73_4 Depth=1
	v_add_co_u32_e64 v2, s[8:9], v0, v36
	v_addc_co_u32_e64 v3, s[8:9], v1, v37, s[8:9]
	global_load_dwordx2 v[4:5], v[2:3], off
	v_pk_mul_f32 v[6:7], v[54:55], s[34:35] op_sel_hi:[0,1]
	v_pk_fma_f32 v[8:9], v[52:53], s[34:35], v[6:7] op_sel:[0,0,1] op_sel_hi:[1,1,0] neg_lo:[0,0,1] neg_hi:[0,0,1]
	v_pk_fma_f32 v[6:7], v[52:53], s[34:35], v[6:7] op_sel:[0,0,1] op_sel_hi:[0,1,0]
	v_mov_b32_e32 v9, v7
	s_waitcnt vmcnt(0)
	v_pk_add_f32 v[4:5], v[4:5], v[8:9]
	global_store_dwordx2 v[2:3], v[4:5], off
.LBB73_61:                              ;   in Loop: Header=BB73_4 Depth=1
	s_or_b64 exec, exec, s[10:11]
	s_and_b64 s[10:11], s[14:15], vcc
	s_and_saveexec_b64 s[8:9], s[10:11]
	s_cbranch_execz .LBB73_3
; %bb.62:                               ;   in Loop: Header=BB73_4 Depth=1
	v_lshlrev_b64 v[2:3], 3, v[24:25]
	v_add_co_u32_e32 v0, vcc, v0, v2
	v_addc_co_u32_e32 v1, vcc, v1, v3, vcc
	global_load_dwordx2 v[2:3], v[0:1], off
	v_pk_mul_f32 v[4:5], v[48:49], s[34:35] op_sel_hi:[0,1]
	v_pk_fma_f32 v[6:7], v[50:51], s[34:35], v[4:5] op_sel:[0,0,1] op_sel_hi:[1,1,0] neg_lo:[0,0,1] neg_hi:[0,0,1]
	v_pk_fma_f32 v[4:5], v[50:51], s[34:35], v[4:5] op_sel:[0,0,1] op_sel_hi:[0,1,0]
	v_mov_b32_e32 v7, v5
	s_waitcnt vmcnt(0)
	v_pk_add_f32 v[2:3], v[2:3], v[6:7]
	global_store_dwordx2 v[0:1], v[2:3], off
	s_branch .LBB73_3
.LBB73_63:
	s_endpgm
	.section	.rodata,"a",@progbits
	.p2align	6, 0x0
	.amdhsa_kernel _ZL30rocblas_trmm_outofplace_kernelI19rocblas_complex_numIfELi32ELi2ELb1ELb0ELb0ELb0ES1_KS1_S1_Ev17rocblas_diagonal_iiT6_lPT7_lllS6_lllPT8_llli
		.amdhsa_group_segment_fixed_size 16384
		.amdhsa_private_segment_fixed_size 0
		.amdhsa_kernarg_size 392
		.amdhsa_user_sgpr_count 6
		.amdhsa_user_sgpr_private_segment_buffer 1
		.amdhsa_user_sgpr_dispatch_ptr 0
		.amdhsa_user_sgpr_queue_ptr 0
		.amdhsa_user_sgpr_kernarg_segment_ptr 1
		.amdhsa_user_sgpr_dispatch_id 0
		.amdhsa_user_sgpr_flat_scratch_init 0
		.amdhsa_user_sgpr_kernarg_preload_length 0
		.amdhsa_user_sgpr_kernarg_preload_offset 0
		.amdhsa_user_sgpr_private_segment_size 0
		.amdhsa_uses_dynamic_stack 0
		.amdhsa_system_sgpr_private_segment_wavefront_offset 0
		.amdhsa_system_sgpr_workgroup_id_x 1
		.amdhsa_system_sgpr_workgroup_id_y 1
		.amdhsa_system_sgpr_workgroup_id_z 1
		.amdhsa_system_sgpr_workgroup_info 0
		.amdhsa_system_vgpr_workitem_id 1
		.amdhsa_next_free_vgpr 77
		.amdhsa_next_free_sgpr 55
		.amdhsa_accum_offset 80
		.amdhsa_reserve_vcc 1
		.amdhsa_reserve_flat_scratch 0
		.amdhsa_float_round_mode_32 0
		.amdhsa_float_round_mode_16_64 0
		.amdhsa_float_denorm_mode_32 3
		.amdhsa_float_denorm_mode_16_64 3
		.amdhsa_dx10_clamp 1
		.amdhsa_ieee_mode 1
		.amdhsa_fp16_overflow 0
		.amdhsa_tg_split 0
		.amdhsa_exception_fp_ieee_invalid_op 0
		.amdhsa_exception_fp_denorm_src 0
		.amdhsa_exception_fp_ieee_div_zero 0
		.amdhsa_exception_fp_ieee_overflow 0
		.amdhsa_exception_fp_ieee_underflow 0
		.amdhsa_exception_fp_ieee_inexact 0
		.amdhsa_exception_int_div_zero 0
	.end_amdhsa_kernel
	.section	.text._ZL30rocblas_trmm_outofplace_kernelI19rocblas_complex_numIfELi32ELi2ELb1ELb0ELb0ELb0ES1_KS1_S1_Ev17rocblas_diagonal_iiT6_lPT7_lllS6_lllPT8_llli,"axG",@progbits,_ZL30rocblas_trmm_outofplace_kernelI19rocblas_complex_numIfELi32ELi2ELb1ELb0ELb0ELb0ES1_KS1_S1_Ev17rocblas_diagonal_iiT6_lPT7_lllS6_lllPT8_llli,comdat
.Lfunc_end73:
	.size	_ZL30rocblas_trmm_outofplace_kernelI19rocblas_complex_numIfELi32ELi2ELb1ELb0ELb0ELb0ES1_KS1_S1_Ev17rocblas_diagonal_iiT6_lPT7_lllS6_lllPT8_llli, .Lfunc_end73-_ZL30rocblas_trmm_outofplace_kernelI19rocblas_complex_numIfELi32ELi2ELb1ELb0ELb0ELb0ES1_KS1_S1_Ev17rocblas_diagonal_iiT6_lPT7_lllS6_lllPT8_llli
                                        ; -- End function
	.section	.AMDGPU.csdata,"",@progbits
; Kernel info:
; codeLenInByte = 6536
; NumSgprs: 59
; NumVgprs: 77
; NumAgprs: 0
; TotalNumVgprs: 77
; ScratchSize: 0
; MemoryBound: 1
; FloatMode: 240
; IeeeMode: 1
; LDSByteSize: 16384 bytes/workgroup (compile time only)
; SGPRBlocks: 7
; VGPRBlocks: 9
; NumSGPRsForWavesPerEU: 59
; NumVGPRsForWavesPerEU: 77
; AccumOffset: 80
; Occupancy: 6
; WaveLimiterHint : 0
; COMPUTE_PGM_RSRC2:SCRATCH_EN: 0
; COMPUTE_PGM_RSRC2:USER_SGPR: 6
; COMPUTE_PGM_RSRC2:TRAP_HANDLER: 0
; COMPUTE_PGM_RSRC2:TGID_X_EN: 1
; COMPUTE_PGM_RSRC2:TGID_Y_EN: 1
; COMPUTE_PGM_RSRC2:TGID_Z_EN: 1
; COMPUTE_PGM_RSRC2:TIDIG_COMP_CNT: 1
; COMPUTE_PGM_RSRC3_GFX90A:ACCUM_OFFSET: 19
; COMPUTE_PGM_RSRC3_GFX90A:TG_SPLIT: 0
	.section	.text._ZL30rocblas_trmm_outofplace_kernelI19rocblas_complex_numIfELi32ELi2ELb1ELb1ELb0ELb0EPKS1_S2_S1_Ev17rocblas_diagonal_iiT6_lPT7_lllS7_lllPT8_llli,"axG",@progbits,_ZL30rocblas_trmm_outofplace_kernelI19rocblas_complex_numIfELi32ELi2ELb1ELb1ELb0ELb0EPKS1_S2_S1_Ev17rocblas_diagonal_iiT6_lPT7_lllS7_lllPT8_llli,comdat
	.globl	_ZL30rocblas_trmm_outofplace_kernelI19rocblas_complex_numIfELi32ELi2ELb1ELb1ELb0ELb0EPKS1_S2_S1_Ev17rocblas_diagonal_iiT6_lPT7_lllS7_lllPT8_llli ; -- Begin function _ZL30rocblas_trmm_outofplace_kernelI19rocblas_complex_numIfELi32ELi2ELb1ELb1ELb0ELb0EPKS1_S2_S1_Ev17rocblas_diagonal_iiT6_lPT7_lllS7_lllPT8_llli
	.p2align	8
	.type	_ZL30rocblas_trmm_outofplace_kernelI19rocblas_complex_numIfELi32ELi2ELb1ELb1ELb0ELb0EPKS1_S2_S1_Ev17rocblas_diagonal_iiT6_lPT7_lllS7_lllPT8_llli,@function
_ZL30rocblas_trmm_outofplace_kernelI19rocblas_complex_numIfELi32ELi2ELb1ELb1ELb0ELb0EPKS1_S2_S1_Ev17rocblas_diagonal_iiT6_lPT7_lllS7_lllPT8_llli: ; @_ZL30rocblas_trmm_outofplace_kernelI19rocblas_complex_numIfELi32ELi2ELb1ELb1ELb0ELb0EPKS1_S2_S1_Ev17rocblas_diagonal_iiT6_lPT7_lllS7_lllPT8_llli
; %bb.0:
	s_load_dwordx16 s[12:27], s[4:5], 0x10
	s_waitcnt lgkmcnt(0)
	s_mul_i32 s0, s8, s15
	s_mul_hi_u32 s1, s8, s14
	s_add_i32 s1, s1, s0
	s_mul_i32 s0, s8, s14
	s_lshl_b64 s[0:1], s[0:1], 3
	s_add_u32 s0, s12, s0
	s_addc_u32 s1, s13, s1
	s_load_dwordx2 s[34:35], s[0:1], 0x0
	s_waitcnt lgkmcnt(0)
	s_or_b32 s0, s34, s35
	s_bitset0_b32 s0, 31
	s_cmp_eq_u32 s0, 0
	s_cbranch_scc1 .LBB74_63
; %bb.1:
	s_load_dwordx4 s[28:31], s[4:5], 0x0
	s_waitcnt lgkmcnt(0)
	s_add_i32 s0, s30, -1
	s_ashr_i32 s1, s0, 31
	s_lshr_b32 s1, s1, 27
	s_add_i32 s0, s0, s1
	s_ashr_i32 s31, s0, 5
	s_cmp_gt_i32 s7, s31
	s_cbranch_scc1 .LBB74_63
; %bb.2:
	s_mul_i32 s0, s8, s23
	s_mul_hi_u32 s1, s8, s22
	s_add_i32 s1, s1, s0
	s_mul_i32 s0, s8, s22
	s_load_dwordx4 s[44:47], s[4:5], 0x70
	s_load_dword s33, s[4:5], 0x8c
	s_lshl_b64 s[10:11], s[0:1], 3
	s_add_u32 s0, s16, s10
	s_load_dwordx8 s[36:43], s[4:5], 0x50
	s_addc_u32 s1, s17, s11
	s_lshl_b64 s[12:13], s[18:19], 3
	s_add_u32 s2, s0, s12
	s_addc_u32 s3, s1, s13
	s_waitcnt lgkmcnt(0)
	s_mul_i32 s0, s8, s47
	s_mul_hi_u32 s1, s8, s46
	s_add_i32 s1, s1, s0
	s_mul_i32 s0, s8, s46
	s_lshl_b64 s[0:1], s[0:1], 3
	s_add_u32 s4, s40, s0
	s_addc_u32 s5, s41, s1
	s_lshl_b64 s[0:1], s[42:43], 3
	s_add_u32 s52, s4, s0
	v_bfe_u32 v45, v0, 10, 10
	s_addc_u32 s53, s5, s1
	s_lshl_b32 s4, s6, 5
	v_add_u32_e32 v12, s4, v45
	v_ashrrev_i32_e32 v13, 31, v12
	v_and_b32_e32 v2, 0x3ff, v0
	v_mul_lo_u32 v3, v13, s20
	v_mul_lo_u32 v4, v12, s21
	v_mad_u64_u32 v[0:1], s[0:1], v12, s20, 0
	s_sub_i32 s6, s29, s4
	v_add3_u32 v1, v1, v4, v3
	s_cmp_gt_i32 s6, 0
	v_lshlrev_b64 v[0:1], 3, v[0:1]
	s_cselect_b64 s[18:19], -1, 0
	s_cmpk_eq_i32 s28, 0x84
	v_mov_b32_e32 v3, s3
	v_add_co_u32_e32 v16, vcc, s2, v0
	s_cselect_b64 s[22:23], -1, 0
	s_ashr_i32 s41, s29, 31
	s_ashr_i32 s54, s30, 31
	s_lshl_b64 s[42:43], s[20:21], 8
	v_add_u32_e32 v14, s4, v2
	v_addc_co_u32_e32 v17, vcc, v3, v1, vcc
	s_add_u32 s46, s29, -16
	s_mul_i32 s9, s39, s8
	s_mul_hi_u32 s28, s38, s8
	v_ashrrev_i32_e32 v15, 31, v14
	v_add_co_u32_e32 v18, vcc, 16, v14
	s_addc_u32 s47, s41, -1
	s_add_i32 s9, s28, s9
	s_mul_i32 s8, s38, s8
	v_addc_co_u32_e32 v19, vcc, 0, v15, vcc
	s_lshl_b64 s[8:9], s[8:9], 3
	s_lshl_b64 s[26:27], s[26:27], 3
	v_sub_co_u32_e32 v22, vcc, v14, v12
	s_add_u32 s8, s8, s26
	v_subb_co_u32_e32 v23, vcc, v15, v13, vcc
	s_addc_u32 s9, s9, s27
	v_add_co_u32_e32 v24, vcc, 16, v22
	s_add_u32 s8, s8, s24
	v_addc_co_u32_e32 v25, vcc, 0, v23, vcc
	s_addc_u32 s9, s9, s25
	v_lshlrev_b32_e32 v0, 8, v45
	v_lshlrev_b32_e32 v47, 3, v2
	v_add_co_u32_e32 v26, vcc, -16, v22
	s_add_u32 s24, s8, 0x80
	v_add_u32_e32 v49, v47, v0
	v_add_u32_e32 v51, 0x2000, v0
	v_addc_co_u32_e32 v27, vcc, -1, v23, vcc
	s_addc_u32 s25, s9, 0
	s_lshl_b64 s[26:27], s[36:37], 3
	s_lshl_b32 s55, s33, 5
	v_lshlrev_b64 v[0:1], 3, v[12:13]
	s_movk_i32 s8, 0x80
	v_add_co_u32_e32 v2, vcc, s8, v0
	s_add_u32 s8, s16, s12
	s_addc_u32 s9, s17, s13
	s_add_u32 s8, s8, s10
	s_addc_u32 s9, s9, s11
	v_addc_co_u32_e32 v3, vcc, 0, v1, vcc
	v_pk_mov_b32 v[0:1], s[8:9], s[8:9] op_sel:[0,1]
	s_mov_b32 s40, s29
	v_add_u32_e32 v20, 16, v14
	v_mad_u64_u32 v[32:33], s[8:9], s20, v2, v[0:1]
	v_mul_lo_u32 v0, s20, v3
	v_mul_lo_u32 v1, s21, v2
	v_cmp_le_i32_e64 s[0:1], s29, v14
	v_cmp_le_i64_e64 s[2:3], s[40:41], v[18:19]
	v_add_u32_e32 v53, v51, v47
	v_cmp_gt_i32_e64 s[4:5], s29, v14
	v_cmp_gt_i32_e64 s[14:15], s29, v20
	v_ashrrev_i32_e32 v21, 31, v20
	v_lshlrev_b64 v[28:29], 3, v[14:15]
	v_lshl_add_u32 v30, s7, 5, v45
	v_add3_u32 v33, v1, v33, v0
	v_mov_b32_e32 v35, 0
	v_mov_b32_e32 v34, 1.0
	s_movk_i32 s56, 0x100
	s_branch .LBB74_4
.LBB74_3:                               ;   in Loop: Header=BB74_4 Depth=1
	s_or_b64 exec, exec, s[8:9]
	s_add_i32 s7, s33, s7
	s_cmp_le_i32 s7, s31
	v_add_u32_e32 v30, s55, v30
	s_cbranch_scc0 .LBB74_63
.LBB74_4:                               ; =>This Loop Header: Depth=1
                                        ;     Child Loop BB74_7 Depth 2
	v_lshl_add_u32 v55, s7, 5, v45
	v_ashrrev_i32_e32 v57, 31, v55
	s_andn2_b64 vcc, exec, s[18:19]
	v_mov_b32_e32 v56, v35
	v_mov_b32_e32 v58, v35
	;; [unrolled: 1-line block ×8, first 2 shown]
	s_cbranch_vccnz .LBB74_55
; %bb.5:                                ;   in Loop: Header=BB74_4 Depth=1
	v_ashrrev_i32_e32 v31, 31, v30
	v_pk_mov_b32 v[0:1], s[24:25], s[24:25] op_sel:[0,1]
	v_mad_u64_u32 v[36:37], s[8:9], s26, v30, v[0:1]
	v_mul_lo_u32 v2, s27, v30
	v_mul_lo_u32 v3, s26, v31
	v_add3_u32 v37, v2, v37, v3
	v_lshlrev_b64 v[2:3], 3, v[30:31]
	v_add_co_u32_e32 v2, vcc, 0x80, v2
	v_addc_co_u32_e32 v3, vcc, 0, v3, vcc
	v_mad_u64_u32 v[38:39], s[8:9], s36, v2, v[0:1]
	v_mov_b32_e32 v1, s54
	v_sub_co_u32_e32 v0, vcc, s30, v55
	v_mul_lo_u32 v3, s36, v3
	v_mul_lo_u32 v4, s37, v2
	v_subb_co_u32_e32 v1, vcc, v1, v57, vcc
	v_add3_u32 v39, v4, v39, v3
	s_mov_b64 s[20:21], 0
	v_cmp_lt_i64_e64 s[8:9], 0, v[0:1]
	v_cmp_lt_i64_e64 s[10:11], 16, v[0:1]
	v_mov_b32_e32 v44, 0
	v_pk_mov_b32 v[40:41], v[32:33], v[32:33] op_sel:[0,1]
	v_pk_mov_b32 v[42:43], v[16:17], v[16:17] op_sel:[0,1]
	v_mov_b32_e32 v46, 0
	v_mov_b32_e32 v50, 0
	;; [unrolled: 1-line block ×7, first 2 shown]
	s_branch .LBB74_7
.LBB74_6:                               ;   in Loop: Header=BB74_7 Depth=2
	s_or_b64 exec, exec, s[12:13]
	s_waitcnt lgkmcnt(0)
	s_barrier
	ds_read2_b64 v[60:63], v47 offset1:16
	ds_read_b128 v[64:67], v51
	ds_read_b128 v[8:11], v51 offset:16
	ds_read_b128 v[4:7], v51 offset:32
	;; [unrolled: 1-line block ×5, first 2 shown]
	s_waitcnt lgkmcnt(5)
	v_mul_f32_e32 v31, v65, v61
	v_mul_f32_e32 v59, v64, v61
	v_fma_f32 v31, v64, v60, -v31
	v_fmac_f32_e32 v59, v65, v60
	v_add_f32_e32 v31, v56, v31
	v_add_f32_e32 v56, v58, v59
	v_mul_f32_e32 v58, v65, v63
	v_fma_f32 v58, v64, v62, -v58
	v_mul_f32_e32 v59, v64, v63
	v_fmac_f32_e32 v59, v65, v62
	v_add_f32_e32 v52, v52, v58
	s_waitcnt lgkmcnt(1)
	v_mul_f32_e32 v58, v69, v61
	v_add_f32_e32 v54, v54, v59
	v_fma_f32 v58, v68, v60, -v58
	v_mul_f32_e32 v59, v68, v61
	v_fmac_f32_e32 v59, v69, v60
	v_add_f32_e32 v48, v48, v58
	v_mul_f32_e32 v58, v69, v63
	v_add_f32_e32 v50, v50, v59
	v_fma_f32 v64, v68, v62, -v58
	ds_read2_b64 v[58:61], v47 offset0:32 offset1:48
	v_mul_f32_e32 v63, v68, v63
	v_fmac_f32_e32 v63, v69, v62
	v_add_f32_e32 v44, v44, v63
	v_add_f32_e32 v46, v46, v64
	s_waitcnt lgkmcnt(0)
	v_mul_f32_e32 v62, v67, v59
	v_fma_f32 v62, v66, v58, -v62
	v_mul_f32_e32 v63, v66, v59
	v_add_f32_e32 v31, v31, v62
	v_mul_f32_e32 v62, v67, v61
	v_fmac_f32_e32 v63, v67, v58
	v_fma_f32 v62, v66, v60, -v62
	v_add_f32_e32 v56, v56, v63
	v_mul_f32_e32 v63, v66, v61
	v_add_f32_e32 v52, v52, v62
	v_mul_f32_e32 v62, v71, v59
	v_fmac_f32_e32 v63, v67, v60
	v_fma_f32 v62, v70, v58, -v62
	v_add_f32_e32 v54, v54, v63
	v_add_f32_e32 v48, v48, v62
	ds_read2_b64 v[62:65], v47 offset0:64 offset1:80
	v_mul_f32_e32 v59, v70, v59
	v_fmac_f32_e32 v59, v71, v58
	v_mul_f32_e32 v58, v71, v61
	v_fma_f32 v58, v70, v60, -v58
	v_add_f32_e32 v50, v50, v59
	v_mul_f32_e32 v59, v70, v61
	v_add_f32_e32 v46, v46, v58
	s_waitcnt lgkmcnt(0)
	v_mul_f32_e32 v58, v9, v63
	v_fmac_f32_e32 v59, v71, v60
	v_fma_f32 v58, v8, v62, -v58
	v_add_f32_e32 v44, v44, v59
	v_mul_f32_e32 v59, v8, v63
	v_add_f32_e32 v31, v31, v58
	v_mul_f32_e32 v58, v9, v65
	v_fmac_f32_e32 v59, v9, v62
	v_fma_f32 v58, v8, v64, -v58
	v_mul_f32_e32 v8, v8, v65
	v_add_f32_e32 v56, v56, v59
	v_fmac_f32_e32 v8, v9, v64
	v_add_f32_e32 v9, v52, v58
	ds_read2_b64 v[58:61], v47 offset0:96 offset1:112
	v_add_f32_e32 v8, v54, v8
	v_mul_f32_e32 v52, v73, v63
	v_mul_f32_e32 v54, v72, v63
	v_fma_f32 v52, v72, v62, -v52
	v_fmac_f32_e32 v54, v73, v62
	v_add_f32_e32 v48, v48, v52
	v_add_f32_e32 v50, v50, v54
	v_mul_f32_e32 v52, v73, v65
	v_mul_f32_e32 v54, v72, v65
	v_fma_f32 v52, v72, v64, -v52
	v_fmac_f32_e32 v54, v73, v64
	v_add_f32_e32 v46, v46, v52
	v_add_f32_e32 v44, v44, v54
	s_waitcnt lgkmcnt(0)
	v_mul_f32_e32 v52, v11, v59
	v_mul_f32_e32 v54, v10, v59
	v_fma_f32 v52, v10, v58, -v52
	v_fmac_f32_e32 v54, v11, v58
	v_add_f32_e32 v31, v31, v52
	v_add_f32_e32 v52, v56, v54
	v_mul_f32_e32 v54, v11, v61
	v_fma_f32 v54, v10, v60, -v54
	v_mul_f32_e32 v10, v10, v61
	v_fmac_f32_e32 v10, v11, v60
	v_add_f32_e32 v56, v8, v10
	v_mul_f32_e32 v8, v75, v59
	v_add_f32_e32 v54, v9, v54
	v_fma_f32 v8, v74, v58, -v8
	v_mul_f32_e32 v9, v74, v59
	v_fmac_f32_e32 v9, v75, v58
	v_add_f32_e32 v48, v48, v8
	v_mul_f32_e32 v8, v75, v61
	v_add_f32_e32 v50, v50, v9
	v_fma_f32 v58, v74, v60, -v8
	ds_read2_b64 v[8:11], v47 offset0:128 offset1:144
	v_mul_f32_e32 v59, v74, v61
	v_fmac_f32_e32 v59, v75, v60
	v_add_f32_e32 v46, v46, v58
	v_add_f32_e32 v44, v44, v59
	s_waitcnt lgkmcnt(0)
	v_mul_f32_e32 v58, v5, v9
	v_fma_f32 v58, v4, v8, -v58
	v_mul_f32_e32 v59, v4, v9
	v_fmac_f32_e32 v59, v5, v8
	v_add_f32_e32 v31, v31, v58
	v_mul_f32_e32 v58, v5, v11
	v_add_f32_e32 v52, v52, v59
	v_fma_f32 v62, v4, v10, -v58
	ds_read_b128 v[58:61], v51 offset:4128
	v_mul_f32_e32 v4, v4, v11
	ds_read2_b64 v[66:69], v47 offset0:160 offset1:176
	v_fmac_f32_e32 v4, v5, v10
	v_add_f32_e32 v5, v54, v62
	ds_read_b128 v[62:65], v51 offset:4144
	s_waitcnt lgkmcnt(2)
	v_mul_f32_e32 v54, v59, v9
	v_fma_f32 v54, v58, v8, -v54
	v_mul_f32_e32 v9, v58, v9
	v_fmac_f32_e32 v9, v59, v8
	v_add_f32_e32 v8, v48, v54
	v_mul_f32_e32 v48, v59, v11
	v_mul_f32_e32 v11, v58, v11
	v_fma_f32 v48, v58, v10, -v48
	v_fmac_f32_e32 v11, v59, v10
	v_add_f32_e32 v10, v46, v48
	v_add_f32_e32 v11, v44, v11
	s_waitcnt lgkmcnt(1)
	v_mul_f32_e32 v44, v7, v67
	v_mul_f32_e32 v46, v6, v67
	v_fma_f32 v44, v6, v66, -v44
	v_fmac_f32_e32 v46, v7, v66
	v_add_f32_e32 v31, v31, v44
	v_add_f32_e32 v44, v52, v46
	v_mul_f32_e32 v46, v7, v69
	v_fma_f32 v46, v6, v68, -v46
	v_mul_f32_e32 v6, v6, v69
	v_add_f32_e32 v4, v56, v4
	v_fmac_f32_e32 v6, v7, v68
	v_add_f32_e32 v48, v4, v6
	v_mul_f32_e32 v4, v61, v67
	v_add_f32_e32 v46, v5, v46
	v_fma_f32 v4, v60, v66, -v4
	v_mul_f32_e32 v5, v60, v67
	v_add_f32_e32 v9, v50, v9
	v_fmac_f32_e32 v5, v61, v66
	v_add_f32_e32 v8, v8, v4
	v_mul_f32_e32 v4, v61, v69
	v_add_f32_e32 v9, v9, v5
	v_fma_f32 v50, v60, v68, -v4
	ds_read2_b64 v[4:7], v47 offset0:192 offset1:208
	v_add_f32_e32 v50, v10, v50
	v_mul_f32_e32 v52, v60, v69
	v_fmac_f32_e32 v52, v61, v68
	v_add_f32_e32 v52, v11, v52
	s_waitcnt lgkmcnt(0)
	v_mul_f32_e32 v10, v1, v5
	v_fma_f32 v10, v0, v4, -v10
	v_add_f32_e32 v31, v31, v10
	v_mul_f32_e32 v10, v1, v7
	v_mul_f32_e32 v11, v0, v5
	v_fma_f32 v10, v0, v6, -v10
	v_mul_f32_e32 v0, v0, v7
	v_fmac_f32_e32 v11, v1, v4
	v_fmac_f32_e32 v0, v1, v6
	v_add_f32_e32 v1, v46, v10
	v_mul_f32_e32 v10, v63, v5
	v_fma_f32 v10, v62, v4, -v10
	v_mul_f32_e32 v5, v62, v5
	v_fmac_f32_e32 v5, v63, v4
	v_add_f32_e32 v4, v8, v10
	v_mul_f32_e32 v8, v63, v7
	v_add_f32_e32 v44, v44, v11
	v_add_f32_e32 v5, v9, v5
	v_fma_f32 v46, v62, v6, -v8
	ds_read2_b64 v[8:11], v47 offset0:224 offset1:240
	v_mul_f32_e32 v7, v62, v7
	v_fmac_f32_e32 v7, v63, v6
	v_add_f32_e32 v0, v48, v0
	v_add_f32_e32 v48, v52, v7
	s_waitcnt lgkmcnt(0)
	v_mul_f32_e32 v6, v3, v9
	v_fma_f32 v6, v2, v8, -v6
	v_add_f32_e32 v31, v31, v6
	v_mul_f32_e32 v6, v3, v11
	v_mul_f32_e32 v7, v2, v9
	v_fma_f32 v6, v2, v10, -v6
	v_mul_f32_e32 v2, v2, v11
	v_fmac_f32_e32 v2, v3, v10
	v_add_f32_e32 v46, v50, v46
	v_add_f32_e32 v50, v0, v2
	v_mul_f32_e32 v0, v65, v9
	v_fma_f32 v0, v64, v8, -v0
	v_mul_f32_e32 v2, v64, v9
	v_add_f32_e32 v52, v4, v0
	v_mul_f32_e32 v0, v65, v11
	v_fmac_f32_e32 v7, v3, v8
	v_fmac_f32_e32 v2, v65, v8
	v_fma_f32 v56, v64, v10, -v0
	v_add_u32_e32 v0, 0x800, v47
	v_add_f32_e32 v44, v44, v7
	v_add_f32_e32 v1, v1, v6
	;; [unrolled: 1-line block ×3, first 2 shown]
	ds_read2_b64 v[2:5], v0 offset1:16
	ds_read_b128 v[6:9], v51 offset:64
	v_mul_f32_e32 v11, v64, v11
	v_fmac_f32_e32 v11, v65, v10
	ds_read_b128 v[58:61], v51 offset:80
	ds_read_b128 v[62:65], v51 offset:4160
	v_add_f32_e32 v10, v46, v56
	s_waitcnt lgkmcnt(2)
	v_mul_f32_e32 v46, v7, v3
	v_fma_f32 v46, v6, v2, -v46
	v_add_f32_e32 v31, v31, v46
	v_mul_f32_e32 v46, v7, v5
	ds_read2_b64 v[70:73], v0 offset0:32 offset1:48
	v_add_f32_e32 v11, v48, v11
	v_mul_f32_e32 v48, v6, v3
	v_fma_f32 v46, v6, v4, -v46
	v_mul_f32_e32 v6, v6, v5
	v_fmac_f32_e32 v48, v7, v2
	v_fmac_f32_e32 v6, v7, v4
	s_waitcnt lgkmcnt(1)
	v_mul_f32_e32 v7, v63, v3
	v_fma_f32 v7, v62, v2, -v7
	v_mul_f32_e32 v3, v62, v3
	v_fmac_f32_e32 v3, v63, v2
	v_add_f32_e32 v2, v52, v7
	v_mul_f32_e32 v7, v63, v5
	v_mul_f32_e32 v5, v62, v5
	v_fma_f32 v7, v62, v4, -v7
	v_fmac_f32_e32 v5, v63, v4
	s_waitcnt lgkmcnt(0)
	v_mul_f32_e32 v4, v9, v71
	v_add_f32_e32 v7, v10, v7
	v_add_f32_e32 v10, v11, v5
	v_fma_f32 v4, v8, v70, -v4
	v_mul_f32_e32 v5, v8, v71
	v_add_f32_e32 v44, v44, v48
	v_fmac_f32_e32 v5, v9, v70
	v_add_f32_e32 v11, v31, v4
	v_mul_f32_e32 v4, v9, v73
	v_add_f32_e32 v1, v1, v46
	v_add_f32_e32 v31, v44, v5
	v_fma_f32 v4, v8, v72, -v4
	v_mul_f32_e32 v5, v8, v73
	v_add_f32_e32 v6, v50, v6
	v_fmac_f32_e32 v5, v9, v72
	v_add_f32_e32 v1, v1, v4
	v_mul_f32_e32 v4, v65, v71
	v_add_f32_e32 v6, v6, v5
	v_fma_f32 v4, v64, v70, -v4
	v_mul_f32_e32 v5, v64, v71
	v_add_f32_e32 v3, v54, v3
	v_fmac_f32_e32 v5, v65, v70
	v_add_f32_e32 v8, v2, v4
	v_mul_f32_e32 v2, v65, v73
	v_add_f32_e32 v9, v3, v5
	v_fma_f32 v44, v64, v72, -v2
	ds_read2_b64 v[2:5], v0 offset0:64 offset1:80
	v_mul_f32_e32 v46, v64, v73
	ds_read_b128 v[66:69], v51 offset:4176
	v_fmac_f32_e32 v46, v65, v72
	v_add_f32_e32 v10, v10, v46
	s_waitcnt lgkmcnt(1)
	v_mul_f32_e32 v46, v58, v3
	v_fmac_f32_e32 v46, v59, v2
	v_add_f32_e32 v31, v31, v46
	v_mul_f32_e32 v46, v58, v5
	v_add_f32_e32 v44, v7, v44
	v_mul_f32_e32 v7, v59, v3
	v_fmac_f32_e32 v46, v59, v4
	v_fma_f32 v7, v58, v2, -v7
	v_add_f32_e32 v46, v6, v46
	s_waitcnt lgkmcnt(0)
	v_mul_f32_e32 v6, v67, v3
	v_add_f32_e32 v11, v11, v7
	v_mul_f32_e32 v7, v59, v5
	v_fma_f32 v6, v66, v2, -v6
	v_mul_f32_e32 v3, v66, v3
	v_fma_f32 v7, v58, v4, -v7
	v_fmac_f32_e32 v3, v67, v2
	v_add_f32_e32 v2, v8, v6
	v_mul_f32_e32 v6, v67, v5
	v_add_f32_e32 v1, v1, v7
	v_add_f32_e32 v3, v9, v3
	v_fma_f32 v48, v66, v4, -v6
	ds_read2_b64 v[6:9], v0 offset0:96 offset1:112
	v_mul_f32_e32 v5, v66, v5
	v_fmac_f32_e32 v5, v67, v4
	v_add_f32_e32 v10, v10, v5
	v_add_f32_e32 v44, v44, v48
	s_waitcnt lgkmcnt(0)
	v_mul_f32_e32 v4, v61, v7
	v_fma_f32 v4, v60, v6, -v4
	v_mul_f32_e32 v5, v60, v7
	v_fmac_f32_e32 v5, v61, v6
	v_add_f32_e32 v11, v11, v4
	v_mul_f32_e32 v4, v61, v9
	v_add_f32_e32 v31, v31, v5
	v_fma_f32 v4, v60, v8, -v4
	v_mul_f32_e32 v5, v60, v9
	v_fmac_f32_e32 v5, v61, v8
	v_add_f32_e32 v1, v1, v4
	v_mul_f32_e32 v4, v69, v7
	v_add_f32_e32 v46, v46, v5
	;; [unrolled: 6-line block ×3, first 2 shown]
	v_fma_f32 v6, v68, v8, -v2
	ds_read2_b64 v[2:5], v0 offset0:128 offset1:144
	ds_read_b128 v[58:61], v51 offset:96
	v_mul_f32_e32 v7, v68, v9
	v_fmac_f32_e32 v7, v69, v8
	v_add_f32_e32 v44, v44, v6
	v_add_f32_e32 v10, v10, v7
	ds_read_b128 v[6:9], v51 offset:112
	ds_read_b128 v[62:65], v51 offset:4192
	s_waitcnt lgkmcnt(2)
	v_mul_f32_e32 v52, v59, v3
	v_fma_f32 v52, v58, v2, -v52
	v_add_f32_e32 v11, v11, v52
	v_mul_f32_e32 v52, v59, v5
	ds_read2_b64 v[70:73], v0 offset0:160 offset1:176
	v_fma_f32 v52, v58, v4, -v52
	v_mul_f32_e32 v54, v58, v3
	v_add_f32_e32 v1, v1, v52
	s_waitcnt lgkmcnt(1)
	v_mul_f32_e32 v52, v63, v3
	v_fmac_f32_e32 v54, v59, v2
	v_fma_f32 v52, v62, v2, -v52
	v_mul_f32_e32 v3, v62, v3
	v_add_f32_e32 v31, v31, v54
	v_mul_f32_e32 v54, v58, v5
	v_fmac_f32_e32 v3, v63, v2
	v_add_f32_e32 v2, v48, v52
	v_mul_f32_e32 v48, v63, v5
	v_mul_f32_e32 v5, v62, v5
	v_fmac_f32_e32 v54, v59, v4
	v_fma_f32 v48, v62, v4, -v48
	v_fmac_f32_e32 v5, v63, v4
	s_waitcnt lgkmcnt(0)
	v_mul_f32_e32 v4, v61, v71
	v_add_f32_e32 v10, v10, v5
	v_fma_f32 v4, v60, v70, -v4
	v_mul_f32_e32 v5, v60, v71
	v_fmac_f32_e32 v5, v61, v70
	v_add_f32_e32 v11, v11, v4
	v_mul_f32_e32 v4, v61, v73
	v_add_f32_e32 v31, v31, v5
	v_fma_f32 v4, v60, v72, -v4
	v_mul_f32_e32 v5, v60, v73
	v_add_f32_e32 v46, v46, v54
	v_fmac_f32_e32 v5, v61, v72
	v_add_f32_e32 v1, v1, v4
	v_mul_f32_e32 v4, v65, v71
	v_add_f32_e32 v46, v46, v5
	v_fma_f32 v4, v64, v70, -v4
	v_mul_f32_e32 v5, v64, v71
	v_add_f32_e32 v3, v50, v3
	v_add_f32_e32 v44, v44, v48
	v_fmac_f32_e32 v5, v65, v70
	v_add_f32_e32 v48, v2, v4
	v_mul_f32_e32 v2, v65, v73
	v_add_f32_e32 v50, v3, v5
	v_fma_f32 v52, v64, v72, -v2
	ds_read2_b64 v[2:5], v0 offset0:192 offset1:208
	ds_read_b128 v[66:69], v51 offset:4208
	v_add_f32_e32 v44, v44, v52
	v_mul_f32_e32 v54, v64, v73
	v_fmac_f32_e32 v54, v65, v72
	s_waitcnt lgkmcnt(1)
	v_mul_f32_e32 v52, v7, v3
	v_fma_f32 v52, v6, v2, -v52
	v_add_f32_e32 v11, v11, v52
	v_mul_f32_e32 v52, v7, v5
	v_add_f32_e32 v10, v10, v54
	v_mul_f32_e32 v54, v6, v3
	v_fma_f32 v52, v6, v4, -v52
	v_mul_f32_e32 v6, v6, v5
	v_fmac_f32_e32 v54, v7, v2
	v_fmac_f32_e32 v6, v7, v4
	v_add_f32_e32 v7, v1, v52
	s_waitcnt lgkmcnt(0)
	v_mul_f32_e32 v1, v67, v3
	v_fma_f32 v1, v66, v2, -v1
	v_mul_f32_e32 v3, v66, v3
	v_add_f32_e32 v6, v46, v6
	v_fmac_f32_e32 v3, v67, v2
	v_add_f32_e32 v46, v48, v1
	v_mul_f32_e32 v1, v67, v5
	v_add_f32_e32 v48, v50, v3
	v_fma_f32 v50, v66, v4, -v1
	ds_read2_b64 v[0:3], v0 offset0:224 offset1:240
	v_mul_f32_e32 v5, v66, v5
	v_fmac_f32_e32 v5, v67, v4
	v_add_f32_e32 v44, v44, v50
	v_add_f32_e32 v50, v10, v5
	s_waitcnt lgkmcnt(0)
	v_mul_f32_e32 v4, v9, v1
	v_fma_f32 v4, v8, v0, -v4
	v_add_f32_e32 v52, v11, v4
	v_mul_f32_e32 v4, v9, v3
	v_mul_f32_e32 v5, v8, v1
	v_fma_f32 v4, v8, v2, -v4
	v_add_f32_e32 v31, v31, v54
	v_fmac_f32_e32 v5, v9, v0
	v_add_f32_e32 v54, v7, v4
	v_mul_f32_e32 v4, v69, v1
	v_mul_f32_e32 v1, v68, v1
	v_add_f32_e32 v31, v31, v5
	v_mul_f32_e32 v5, v8, v3
	v_fma_f32 v4, v68, v0, -v4
	v_fmac_f32_e32 v1, v69, v0
	v_mul_f32_e32 v0, v69, v3
	v_fmac_f32_e32 v5, v9, v2
	v_add_f32_e32 v1, v48, v1
	v_fma_f32 v48, v68, v2, -v0
	v_add_u32_e32 v0, 0x1000, v47
	v_add_f32_e32 v56, v6, v5
	v_add_f32_e32 v46, v46, v4
	ds_read2_b64 v[4:7], v0 offset1:16
	ds_read_b128 v[8:11], v51 offset:128
	v_mul_f32_e32 v3, v68, v3
	ds_read_b128 v[58:61], v51 offset:144
	ds_read_b128 v[62:65], v51 offset:4224
	v_fmac_f32_e32 v3, v69, v2
	s_waitcnt lgkmcnt(2)
	v_mul_f32_e32 v2, v9, v5
	v_add_f32_e32 v44, v44, v48
	v_add_f32_e32 v48, v50, v3
	v_fma_f32 v2, v8, v4, -v2
	v_mul_f32_e32 v3, v8, v5
	v_fmac_f32_e32 v3, v9, v4
	v_add_f32_e32 v50, v52, v2
	v_mul_f32_e32 v2, v9, v7
	v_add_f32_e32 v31, v31, v3
	v_fma_f32 v2, v8, v6, -v2
	v_mul_f32_e32 v3, v8, v7
	v_fmac_f32_e32 v3, v9, v6
	v_add_f32_e32 v8, v54, v2
	s_waitcnt lgkmcnt(0)
	v_mul_f32_e32 v2, v63, v5
	v_add_f32_e32 v9, v56, v3
	v_fma_f32 v2, v62, v4, -v2
	v_mul_f32_e32 v3, v62, v5
	v_fmac_f32_e32 v3, v63, v4
	v_add_f32_e32 v46, v46, v2
	v_mul_f32_e32 v2, v63, v7
	v_add_f32_e32 v1, v1, v3
	v_fma_f32 v52, v62, v6, -v2
	ds_read2_b64 v[2:5], v0 offset0:32 offset1:48
	v_mul_f32_e32 v7, v62, v7
	v_fmac_f32_e32 v7, v63, v6
	v_add_f32_e32 v48, v48, v7
	ds_read_b128 v[66:69], v51 offset:4240
	s_waitcnt lgkmcnt(1)
	v_mul_f32_e32 v6, v11, v3
	v_fma_f32 v6, v10, v2, -v6
	v_mul_f32_e32 v7, v10, v3
	v_add_f32_e32 v50, v50, v6
	v_mul_f32_e32 v6, v11, v5
	v_fmac_f32_e32 v7, v11, v2
	v_fma_f32 v6, v10, v4, -v6
	v_add_f32_e32 v31, v31, v7
	v_mul_f32_e32 v7, v10, v5
	v_add_f32_e32 v10, v8, v6
	v_mul_f32_e32 v6, v65, v3
	v_fmac_f32_e32 v7, v11, v4
	v_fma_f32 v6, v64, v2, -v6
	v_mul_f32_e32 v3, v64, v3
	v_add_f32_e32 v11, v9, v7
	v_fmac_f32_e32 v3, v65, v2
	v_add_f32_e32 v2, v46, v6
	ds_read2_b64 v[6:9], v0 offset0:64 offset1:80
	v_add_f32_e32 v1, v1, v3
	v_mul_f32_e32 v3, v65, v5
	v_add_f32_e32 v44, v44, v52
	v_fma_f32 v3, v64, v4, -v3
	v_mul_f32_e32 v5, v64, v5
	v_add_f32_e32 v44, v44, v3
	s_waitcnt lgkmcnt(0)
	v_mul_f32_e32 v3, v59, v7
	v_fmac_f32_e32 v5, v65, v4
	v_fma_f32 v3, v58, v6, -v3
	v_mul_f32_e32 v4, v58, v7
	v_add_f32_e32 v46, v48, v5
	v_fmac_f32_e32 v4, v59, v6
	v_add_f32_e32 v48, v50, v3
	v_mul_f32_e32 v3, v59, v9
	v_add_f32_e32 v31, v31, v4
	v_fma_f32 v3, v58, v8, -v3
	v_mul_f32_e32 v4, v58, v9
	v_fmac_f32_e32 v4, v59, v8
	v_add_f32_e32 v10, v10, v3
	v_mul_f32_e32 v3, v67, v7
	v_add_f32_e32 v11, v11, v4
	v_fma_f32 v3, v66, v6, -v3
	v_mul_f32_e32 v4, v66, v7
	v_fmac_f32_e32 v4, v67, v6
	v_add_f32_e32 v6, v2, v3
	v_mul_f32_e32 v2, v67, v9
	v_add_f32_e32 v1, v1, v4
	v_fma_f32 v7, v66, v8, -v2
	ds_read2_b64 v[2:5], v0 offset0:96 offset1:112
	v_add_f32_e32 v44, v44, v7
	v_mul_f32_e32 v9, v66, v9
	v_fmac_f32_e32 v9, v67, v8
	v_add_f32_e32 v46, v46, v9
	s_waitcnt lgkmcnt(0)
	v_mul_f32_e32 v7, v61, v3
	v_fma_f32 v7, v60, v2, -v7
	v_mul_f32_e32 v8, v60, v3
	v_add_f32_e32 v48, v48, v7
	v_mul_f32_e32 v7, v61, v5
	v_fmac_f32_e32 v8, v61, v2
	v_fma_f32 v7, v60, v4, -v7
	v_add_f32_e32 v31, v31, v8
	v_mul_f32_e32 v8, v60, v5
	v_add_f32_e32 v10, v10, v7
	v_mul_f32_e32 v7, v69, v3
	v_fmac_f32_e32 v8, v61, v4
	v_fma_f32 v7, v68, v2, -v7
	v_add_f32_e32 v11, v11, v8
	v_mul_f32_e32 v3, v68, v3
	v_add_f32_e32 v50, v6, v7
	ds_read2_b64 v[6:9], v0 offset0:128 offset1:144
	ds_read_b128 v[58:61], v51 offset:160
	v_fmac_f32_e32 v3, v69, v2
	v_add_f32_e32 v1, v1, v3
	v_mul_f32_e32 v2, v69, v5
	v_mul_f32_e32 v3, v68, v5
	v_fma_f32 v2, v68, v4, -v2
	v_fmac_f32_e32 v3, v69, v4
	v_add_f32_e32 v44, v44, v2
	v_add_f32_e32 v46, v46, v3
	ds_read_b128 v[2:5], v51 offset:176
	ds_read_b128 v[62:65], v51 offset:4256
	s_waitcnt lgkmcnt(2)
	v_mul_f32_e32 v52, v59, v7
	v_fma_f32 v52, v58, v6, -v52
	v_add_f32_e32 v48, v48, v52
	v_mul_f32_e32 v52, v59, v9
	v_fma_f32 v52, v58, v8, -v52
	ds_read2_b64 v[70:73], v0 offset0:160 offset1:176
	v_mul_f32_e32 v54, v58, v7
	v_add_f32_e32 v10, v10, v52
	s_waitcnt lgkmcnt(1)
	v_mul_f32_e32 v52, v63, v7
	v_mul_f32_e32 v7, v62, v7
	v_fmac_f32_e32 v7, v63, v6
	v_add_f32_e32 v1, v1, v7
	v_mul_f32_e32 v7, v63, v9
	v_fmac_f32_e32 v54, v59, v6
	v_fma_f32 v7, v62, v8, -v7
	v_add_f32_e32 v31, v31, v54
	v_mul_f32_e32 v54, v58, v9
	v_mul_f32_e32 v9, v62, v9
	v_add_f32_e32 v44, v44, v7
	s_waitcnt lgkmcnt(0)
	v_mul_f32_e32 v7, v61, v71
	v_fmac_f32_e32 v54, v59, v8
	v_fmac_f32_e32 v9, v63, v8
	v_fma_f32 v7, v60, v70, -v7
	v_mul_f32_e32 v8, v60, v71
	v_fmac_f32_e32 v8, v61, v70
	v_add_f32_e32 v48, v48, v7
	v_mul_f32_e32 v7, v61, v73
	v_add_f32_e32 v31, v31, v8
	v_fma_f32 v7, v60, v72, -v7
	v_mul_f32_e32 v8, v60, v73
	v_add_f32_e32 v11, v11, v54
	v_fma_f32 v52, v62, v6, -v52
	v_fmac_f32_e32 v8, v61, v72
	v_add_f32_e32 v10, v10, v7
	v_mul_f32_e32 v7, v65, v71
	v_add_f32_e32 v6, v50, v52
	v_add_f32_e32 v11, v11, v8
	v_fma_f32 v7, v64, v70, -v7
	v_mul_f32_e32 v8, v64, v71
	v_fmac_f32_e32 v8, v65, v70
	v_add_f32_e32 v50, v6, v7
	v_mul_f32_e32 v6, v65, v73
	v_add_f32_e32 v46, v46, v9
	v_add_f32_e32 v1, v1, v8
	v_fma_f32 v52, v64, v72, -v6
	ds_read2_b64 v[6:9], v0 offset0:192 offset1:208
	ds_read_b128 v[66:69], v51 offset:4272
	v_add_f32_e32 v44, v44, v52
	v_mul_f32_e32 v54, v64, v73
	v_fmac_f32_e32 v54, v65, v72
	s_waitcnt lgkmcnt(1)
	v_mul_f32_e32 v52, v3, v7
	v_fma_f32 v52, v2, v6, -v52
	v_add_f32_e32 v48, v48, v52
	v_mul_f32_e32 v52, v3, v9
	v_add_f32_e32 v46, v46, v54
	v_mul_f32_e32 v54, v2, v7
	v_fma_f32 v52, v2, v8, -v52
	v_mul_f32_e32 v2, v2, v9
	v_fmac_f32_e32 v54, v3, v6
	v_fmac_f32_e32 v2, v3, v8
	s_waitcnt lgkmcnt(0)
	v_mul_f32_e32 v3, v66, v7
	v_add_f32_e32 v11, v11, v2
	v_mul_f32_e32 v2, v67, v7
	v_fmac_f32_e32 v3, v67, v6
	v_fma_f32 v2, v66, v6, -v2
	v_add_f32_e32 v7, v1, v3
	v_mul_f32_e32 v1, v67, v9
	v_add_f32_e32 v6, v50, v2
	v_fma_f32 v50, v66, v8, -v1
	ds_read2_b64 v[0:3], v0 offset0:224 offset1:240
	v_mul_f32_e32 v9, v66, v9
	v_fmac_f32_e32 v9, v67, v8
	v_add_f32_e32 v46, v46, v9
	v_add_f32_e32 v10, v10, v52
	s_waitcnt lgkmcnt(0)
	v_mul_f32_e32 v8, v5, v1
	v_fma_f32 v8, v4, v0, -v8
	v_add_f32_e32 v48, v48, v8
	v_mul_f32_e32 v8, v5, v3
	v_mul_f32_e32 v9, v4, v1
	v_fma_f32 v8, v4, v2, -v8
	v_mul_f32_e32 v4, v4, v3
	v_fmac_f32_e32 v4, v5, v2
	v_add_f32_e32 v52, v11, v4
	v_mul_f32_e32 v4, v69, v1
	v_mul_f32_e32 v1, v68, v1
	v_fmac_f32_e32 v9, v5, v0
	v_fma_f32 v4, v68, v0, -v4
	v_fmac_f32_e32 v1, v69, v0
	v_mul_f32_e32 v0, v69, v3
	v_add_f32_e32 v31, v31, v54
	v_fma_f32 v56, v68, v2, -v0
	v_add_u32_e32 v0, 0x1800, v47
	v_add_f32_e32 v44, v44, v50
	v_add_f32_e32 v31, v31, v9
	;; [unrolled: 1-line block ×5, first 2 shown]
	ds_read2_b64 v[4:7], v0 offset1:16
	ds_read_b128 v[8:11], v51 offset:192
	v_mul_f32_e32 v3, v68, v3
	ds_read_b128 v[58:61], v51 offset:208
	ds_read_b128 v[62:65], v51 offset:4288
	v_fmac_f32_e32 v3, v69, v2
	s_waitcnt lgkmcnt(2)
	v_mul_f32_e32 v2, v9, v5
	v_add_f32_e32 v46, v46, v3
	v_fma_f32 v2, v8, v4, -v2
	v_mul_f32_e32 v3, v8, v5
	v_fmac_f32_e32 v3, v9, v4
	v_add_f32_e32 v48, v48, v2
	v_mul_f32_e32 v2, v9, v7
	v_add_f32_e32 v31, v31, v3
	v_fma_f32 v2, v8, v6, -v2
	v_mul_f32_e32 v3, v8, v7
	v_fmac_f32_e32 v3, v9, v6
	v_add_f32_e32 v8, v50, v2
	s_waitcnt lgkmcnt(0)
	v_mul_f32_e32 v2, v63, v5
	v_add_f32_e32 v9, v52, v3
	v_fma_f32 v2, v62, v4, -v2
	v_mul_f32_e32 v3, v62, v5
	v_fmac_f32_e32 v3, v63, v4
	v_add_f32_e32 v50, v54, v2
	v_mul_f32_e32 v2, v63, v7
	v_add_f32_e32 v1, v1, v3
	v_fma_f32 v52, v62, v6, -v2
	ds_read2_b64 v[2:5], v0 offset0:32 offset1:48
	v_mul_f32_e32 v7, v62, v7
	v_fmac_f32_e32 v7, v63, v6
	v_add_f32_e32 v46, v46, v7
	v_add_f32_e32 v44, v44, v56
	s_waitcnt lgkmcnt(0)
	v_mul_f32_e32 v6, v11, v3
	v_fma_f32 v6, v10, v2, -v6
	v_mul_f32_e32 v7, v10, v3
	v_add_f32_e32 v48, v48, v6
	v_mul_f32_e32 v6, v11, v5
	v_fmac_f32_e32 v7, v11, v2
	v_fma_f32 v6, v10, v4, -v6
	v_add_f32_e32 v31, v31, v7
	v_mul_f32_e32 v7, v10, v5
	v_add_f32_e32 v10, v8, v6
	v_mul_f32_e32 v6, v65, v3
	v_fmac_f32_e32 v7, v11, v4
	v_fma_f32 v6, v64, v2, -v6
	v_mul_f32_e32 v3, v64, v3
	v_add_f32_e32 v11, v9, v7
	v_fmac_f32_e32 v3, v65, v2
	v_add_f32_e32 v2, v50, v6
	ds_read2_b64 v[6:9], v0 offset0:64 offset1:80
	v_add_f32_e32 v1, v1, v3
	v_mul_f32_e32 v3, v65, v5
	ds_read_b128 v[66:69], v51 offset:4304
	v_add_f32_e32 v44, v44, v52
	v_fma_f32 v3, v64, v4, -v3
	v_mul_f32_e32 v5, v64, v5
	v_add_f32_e32 v44, v44, v3
	s_waitcnt lgkmcnt(1)
	v_mul_f32_e32 v3, v59, v7
	v_fmac_f32_e32 v5, v65, v4
	v_fma_f32 v3, v58, v6, -v3
	v_mul_f32_e32 v4, v58, v7
	v_fmac_f32_e32 v4, v59, v6
	v_add_f32_e32 v48, v48, v3
	v_mul_f32_e32 v3, v59, v9
	v_add_f32_e32 v31, v31, v4
	v_fma_f32 v3, v58, v8, -v3
	v_mul_f32_e32 v4, v58, v9
	v_fmac_f32_e32 v4, v59, v8
	v_add_f32_e32 v10, v10, v3
	s_waitcnt lgkmcnt(0)
	v_mul_f32_e32 v3, v67, v7
	v_add_f32_e32 v11, v11, v4
	v_fma_f32 v3, v66, v6, -v3
	v_mul_f32_e32 v4, v66, v7
	v_fmac_f32_e32 v4, v67, v6
	v_add_f32_e32 v6, v2, v3
	v_mul_f32_e32 v2, v67, v9
	v_add_f32_e32 v46, v46, v5
	v_add_f32_e32 v1, v1, v4
	v_fma_f32 v7, v66, v8, -v2
	ds_read2_b64 v[2:5], v0 offset0:96 offset1:112
	v_add_f32_e32 v44, v44, v7
	v_mul_f32_e32 v9, v66, v9
	v_fmac_f32_e32 v9, v67, v8
	v_add_f32_e32 v46, v46, v9
	s_waitcnt lgkmcnt(0)
	v_mul_f32_e32 v7, v61, v3
	v_fma_f32 v7, v60, v2, -v7
	v_mul_f32_e32 v8, v60, v3
	v_add_f32_e32 v48, v48, v7
	v_mul_f32_e32 v7, v61, v5
	v_fmac_f32_e32 v8, v61, v2
	v_fma_f32 v7, v60, v4, -v7
	v_add_f32_e32 v31, v31, v8
	v_mul_f32_e32 v8, v60, v5
	v_add_f32_e32 v10, v10, v7
	v_mul_f32_e32 v7, v69, v3
	v_fmac_f32_e32 v8, v61, v4
	v_fma_f32 v7, v68, v2, -v7
	v_add_f32_e32 v11, v11, v8
	v_mul_f32_e32 v3, v68, v3
	v_add_f32_e32 v50, v6, v7
	ds_read2_b64 v[6:9], v0 offset0:128 offset1:144
	ds_read_b128 v[58:61], v51 offset:224
	v_fmac_f32_e32 v3, v69, v2
	v_add_f32_e32 v1, v1, v3
	v_mul_f32_e32 v2, v69, v5
	v_mul_f32_e32 v3, v68, v5
	v_fma_f32 v2, v68, v4, -v2
	v_fmac_f32_e32 v3, v69, v4
	v_add_f32_e32 v44, v44, v2
	v_add_f32_e32 v46, v46, v3
	ds_read_b128 v[2:5], v51 offset:240
	ds_read_b128 v[62:65], v51 offset:4320
	s_waitcnt lgkmcnt(2)
	v_mul_f32_e32 v52, v59, v7
	v_fma_f32 v52, v58, v6, -v52
	v_add_f32_e32 v48, v48, v52
	v_mul_f32_e32 v52, v59, v9
	v_fma_f32 v52, v58, v8, -v52
	ds_read2_b64 v[70:73], v0 offset0:160 offset1:176
	v_mul_f32_e32 v54, v58, v7
	v_add_f32_e32 v10, v10, v52
	s_waitcnt lgkmcnt(1)
	v_mul_f32_e32 v52, v63, v7
	v_mul_f32_e32 v7, v62, v7
	v_fmac_f32_e32 v7, v63, v6
	v_add_f32_e32 v1, v1, v7
	v_mul_f32_e32 v7, v63, v9
	v_fmac_f32_e32 v54, v59, v6
	v_fma_f32 v7, v62, v8, -v7
	v_add_f32_e32 v31, v31, v54
	v_mul_f32_e32 v54, v58, v9
	v_mul_f32_e32 v9, v62, v9
	v_add_f32_e32 v44, v44, v7
	s_waitcnt lgkmcnt(0)
	v_mul_f32_e32 v7, v61, v71
	v_fmac_f32_e32 v54, v59, v8
	v_fmac_f32_e32 v9, v63, v8
	v_fma_f32 v7, v60, v70, -v7
	v_mul_f32_e32 v8, v60, v71
	v_fmac_f32_e32 v8, v61, v70
	v_add_f32_e32 v48, v48, v7
	v_mul_f32_e32 v7, v61, v73
	v_add_f32_e32 v31, v31, v8
	v_fma_f32 v7, v60, v72, -v7
	v_mul_f32_e32 v8, v60, v73
	v_add_f32_e32 v11, v11, v54
	v_fma_f32 v52, v62, v6, -v52
	v_fmac_f32_e32 v8, v61, v72
	v_add_f32_e32 v10, v10, v7
	v_mul_f32_e32 v7, v65, v71
	v_add_f32_e32 v6, v50, v52
	v_add_f32_e32 v11, v11, v8
	v_fma_f32 v7, v64, v70, -v7
	v_mul_f32_e32 v8, v64, v71
	v_fmac_f32_e32 v8, v65, v70
	v_add_f32_e32 v50, v6, v7
	v_mul_f32_e32 v6, v65, v73
	v_add_f32_e32 v46, v46, v9
	v_add_f32_e32 v1, v1, v8
	v_fma_f32 v52, v64, v72, -v6
	ds_read2_b64 v[6:9], v0 offset0:192 offset1:208
	ds_read_b128 v[66:69], v51 offset:4336
	v_add_f32_e32 v44, v44, v52
	v_mul_f32_e32 v54, v64, v73
	v_fmac_f32_e32 v54, v65, v72
	s_waitcnt lgkmcnt(1)
	v_mul_f32_e32 v52, v3, v7
	v_fma_f32 v52, v2, v6, -v52
	v_add_f32_e32 v48, v48, v52
	v_mul_f32_e32 v52, v3, v9
	v_add_f32_e32 v46, v46, v54
	v_mul_f32_e32 v54, v2, v7
	v_fma_f32 v52, v2, v8, -v52
	v_mul_f32_e32 v2, v2, v9
	v_fmac_f32_e32 v54, v3, v6
	v_fmac_f32_e32 v2, v3, v8
	s_waitcnt lgkmcnt(0)
	v_mul_f32_e32 v3, v66, v7
	v_add_f32_e32 v11, v11, v2
	v_mul_f32_e32 v2, v67, v7
	v_fmac_f32_e32 v3, v67, v6
	v_fma_f32 v2, v66, v6, -v2
	v_add_f32_e32 v7, v1, v3
	v_mul_f32_e32 v1, v67, v9
	v_add_f32_e32 v6, v50, v2
	v_fma_f32 v50, v66, v8, -v1
	ds_read2_b64 v[0:3], v0 offset0:224 offset1:240
	v_mul_f32_e32 v9, v66, v9
	v_fmac_f32_e32 v9, v67, v8
	v_add_f32_e32 v9, v46, v9
	v_add_f32_e32 v31, v31, v54
	s_waitcnt lgkmcnt(0)
	v_mul_f32_e32 v46, v4, v1
	v_fmac_f32_e32 v46, v5, v0
	v_add_f32_e32 v8, v44, v50
	v_mul_f32_e32 v44, v5, v1
	v_add_f32_e32 v58, v31, v46
	v_mul_f32_e32 v31, v5, v3
	v_fma_f32 v44, v4, v0, -v44
	v_fma_f32 v31, v4, v2, -v31
	v_mul_f32_e32 v4, v4, v3
	v_fmac_f32_e32 v4, v5, v2
	v_add_f32_e32 v54, v11, v4
	v_mul_f32_e32 v4, v69, v1
	v_mul_f32_e32 v1, v68, v1
	v_fma_f32 v4, v68, v0, -v4
	v_fmac_f32_e32 v1, v69, v0
	v_mul_f32_e32 v0, v69, v3
	v_add_co_u32_e32 v36, vcc, s56, v36
	v_fma_f32 v0, v68, v2, -v0
	v_addc_co_u32_e32 v37, vcc, 0, v37, vcc
	v_add_f32_e32 v46, v8, v0
	v_mov_b32_e32 v0, s43
	v_add_co_u32_e32 v42, vcc, s42, v42
	v_addc_co_u32_e32 v43, vcc, v43, v0, vcc
	v_add_co_u32_e32 v40, vcc, s42, v40
	v_add_f32_e32 v50, v7, v1
	v_mul_f32_e32 v1, v68, v3
	s_add_u32 s20, s20, 32
	v_addc_co_u32_e32 v41, vcc, v41, v0, vcc
	v_add_f32_e32 v10, v10, v52
	v_fmac_f32_e32 v1, v69, v2
	s_addc_u32 s21, s21, 0
	v_add_co_u32_e32 v38, vcc, 0x100, v38
	v_add_f32_e32 v56, v48, v44
	v_add_f32_e32 v52, v10, v31
	;; [unrolled: 1-line block ×4, first 2 shown]
	s_cmp_ge_i32 s20, s6
	v_addc_co_u32_e32 v39, vcc, 0, v39, vcc
	s_barrier
	s_cbranch_scc1 .LBB74_55
.LBB74_7:                               ;   Parent Loop BB74_4 Depth=1
                                        ; =>  This Inner Loop Header: Depth=2
	v_mov_b32_e32 v1, s21
	v_add_co_u32_e32 v0, vcc, s20, v12
	v_addc_co_u32_e32 v1, vcc, v13, v1, vcc
	v_add_co_u32_e32 v2, vcc, v42, v28
	v_addc_co_u32_e32 v3, vcc, v43, v29, vcc
	v_cmp_eq_u64_e32 vcc, s[20:21], v[22:23]
	v_cmp_le_i64_e64 s[12:13], s[40:41], v[0:1]
	s_and_b64 s[38:39], s[22:23], vcc
	v_cmp_lt_i64_e32 vcc, v[0:1], v[14:15]
	s_or_b64 s[16:17], s[12:13], vcc
	s_or_b64 s[16:17], s[16:17], s[38:39]
	s_or_b64 s[16:17], s[0:1], s[16:17]
	s_xor_b64 s[16:17], s[16:17], -1
	s_and_saveexec_b64 s[28:29], s[16:17]
	s_xor_b64 s[16:17], exec, s[28:29]
	s_cbranch_execz .LBB74_9
; %bb.8:                                ;   in Loop: Header=BB74_7 Depth=2
	global_load_dwordx2 v[4:5], v[2:3], off
	s_waitcnt vmcnt(0)
	ds_write_b64 v49, v[4:5]
.LBB74_9:                               ;   in Loop: Header=BB74_7 Depth=2
	s_or_saveexec_b64 s[16:17], s[16:17]
	s_xor_b64 s[28:29], s[38:39], -1
	s_xor_b64 exec, exec, s[16:17]
	s_cbranch_execz .LBB74_15
; %bb.10:                               ;   in Loop: Header=BB74_7 Depth=2
	s_and_saveexec_b64 s[48:49], s[28:29]
	s_xor_b64 s[48:49], exec, s[48:49]
	s_cbranch_execz .LBB74_12
; %bb.11:                               ;   in Loop: Header=BB74_7 Depth=2
	v_mov_b32_e32 v4, v35
	v_mov_b32_e32 v5, v35
	ds_write_b64 v49, v[4:5]
.LBB74_12:                              ;   in Loop: Header=BB74_7 Depth=2
	s_andn2_saveexec_b64 s[48:49], s[48:49]
	s_cbranch_execz .LBB74_14
; %bb.13:                               ;   in Loop: Header=BB74_7 Depth=2
	ds_write_b64 v49, v[34:35]
.LBB74_14:                              ;   in Loop: Header=BB74_7 Depth=2
	s_or_b64 exec, exec, s[48:49]
.LBB74_15:                              ;   in Loop: Header=BB74_7 Depth=2
	s_or_b64 exec, exec, s[16:17]
	v_cmp_eq_u64_e64 s[16:17], s[20:21], v[24:25]
	s_and_b64 s[48:49], s[22:23], s[16:17]
	v_cmp_gt_i64_e64 s[16:17], v[18:19], v[0:1]
	s_or_b64 s[12:13], s[12:13], s[16:17]
	s_or_b64 s[12:13], s[12:13], s[48:49]
	s_or_b64 s[12:13], s[2:3], s[12:13]
	s_xor_b64 s[12:13], s[12:13], -1
	s_and_saveexec_b64 s[16:17], s[12:13]
	s_xor_b64 s[12:13], exec, s[16:17]
	s_cbranch_execz .LBB74_17
; %bb.16:                               ;   in Loop: Header=BB74_7 Depth=2
	global_load_dwordx2 v[2:3], v[2:3], off offset:128
	s_waitcnt vmcnt(0)
	ds_write_b64 v49, v[2:3] offset:128
.LBB74_17:                              ;   in Loop: Header=BB74_7 Depth=2
	s_andn2_saveexec_b64 s[12:13], s[12:13]
	s_cbranch_execz .LBB74_23
; %bb.18:                               ;   in Loop: Header=BB74_7 Depth=2
	s_xor_b64 s[16:17], s[48:49], -1
	s_and_saveexec_b64 s[48:49], s[16:17]
	s_xor_b64 s[16:17], exec, s[48:49]
	s_cbranch_execz .LBB74_20
; %bb.19:                               ;   in Loop: Header=BB74_7 Depth=2
	v_mov_b32_e32 v2, v35
	v_mov_b32_e32 v3, v35
	ds_write_b64 v49, v[2:3] offset:128
.LBB74_20:                              ;   in Loop: Header=BB74_7 Depth=2
	s_andn2_saveexec_b64 s[16:17], s[16:17]
	s_cbranch_execz .LBB74_22
; %bb.21:                               ;   in Loop: Header=BB74_7 Depth=2
	ds_write_b64 v49, v[34:35] offset:128
.LBB74_22:                              ;   in Loop: Header=BB74_7 Depth=2
	s_or_b64 exec, exec, s[16:17]
.LBB74_23:                              ;   in Loop: Header=BB74_7 Depth=2
	s_or_b64 exec, exec, s[12:13]
	v_add_co_u32_e64 v0, s[12:13], 16, v0
	v_addc_co_u32_e64 v1, s[12:13], 0, v1, s[12:13]
	v_cmp_eq_u64_e64 s[16:17], s[20:21], v[26:27]
	v_cmp_le_i64_e64 s[12:13], s[40:41], v[0:1]
	s_and_b64 s[48:49], s[22:23], s[16:17]
	v_cmp_lt_i64_e64 s[16:17], v[0:1], v[14:15]
	s_or_b64 s[16:17], s[12:13], s[16:17]
	s_or_b64 s[16:17], s[16:17], s[48:49]
	;; [unrolled: 1-line block ×3, first 2 shown]
	s_xor_b64 s[16:17], s[16:17], -1
	s_and_saveexec_b64 s[50:51], s[16:17]
	s_xor_b64 s[50:51], exec, s[50:51]
	s_cbranch_execz .LBB74_25
; %bb.24:                               ;   in Loop: Header=BB74_7 Depth=2
	v_add_co_u32_e64 v0, s[16:17], v40, v28
	v_addc_co_u32_e64 v1, s[16:17], v41, v29, s[16:17]
	global_load_dwordx2 v[0:1], v[0:1], off
	s_waitcnt vmcnt(0)
	ds_write_b64 v49, v[0:1] offset:4096
.LBB74_25:                              ;   in Loop: Header=BB74_7 Depth=2
	s_andn2_saveexec_b64 s[16:17], s[50:51]
	s_cbranch_execz .LBB74_31
; %bb.26:                               ;   in Loop: Header=BB74_7 Depth=2
	s_xor_b64 s[48:49], s[48:49], -1
	s_and_saveexec_b64 s[50:51], s[48:49]
	s_xor_b64 s[48:49], exec, s[50:51]
	s_cbranch_execz .LBB74_28
; %bb.27:                               ;   in Loop: Header=BB74_7 Depth=2
	v_mov_b32_e32 v0, v35
	v_mov_b32_e32 v1, v35
	ds_write_b64 v49, v[0:1] offset:4096
.LBB74_28:                              ;   in Loop: Header=BB74_7 Depth=2
	s_andn2_saveexec_b64 s[48:49], s[48:49]
	s_cbranch_execz .LBB74_30
; %bb.29:                               ;   in Loop: Header=BB74_7 Depth=2
	ds_write_b64 v49, v[34:35] offset:4096
.LBB74_30:                              ;   in Loop: Header=BB74_7 Depth=2
	s_or_b64 exec, exec, s[48:49]
.LBB74_31:                              ;   in Loop: Header=BB74_7 Depth=2
	s_or_b64 exec, exec, s[16:17]
	s_or_b64 s[12:13], s[12:13], vcc
	s_or_b64 s[12:13], s[12:13], s[38:39]
	s_or_b64 s[12:13], s[2:3], s[12:13]
	s_xor_b64 s[12:13], s[12:13], -1
	s_and_saveexec_b64 s[16:17], s[12:13]
	s_xor_b64 s[12:13], exec, s[16:17]
	s_cbranch_execz .LBB74_33
; %bb.32:                               ;   in Loop: Header=BB74_7 Depth=2
	v_add_co_u32_e32 v0, vcc, v40, v28
	v_addc_co_u32_e32 v1, vcc, v41, v29, vcc
	global_load_dwordx2 v[0:1], v[0:1], off offset:128
	s_waitcnt vmcnt(0)
	ds_write_b64 v49, v[0:1] offset:4224
.LBB74_33:                              ;   in Loop: Header=BB74_7 Depth=2
	s_andn2_saveexec_b64 s[12:13], s[12:13]
	s_cbranch_execz .LBB74_39
; %bb.34:                               ;   in Loop: Header=BB74_7 Depth=2
	s_and_saveexec_b64 s[16:17], s[28:29]
	s_xor_b64 s[16:17], exec, s[16:17]
	s_cbranch_execz .LBB74_36
; %bb.35:                               ;   in Loop: Header=BB74_7 Depth=2
	v_mov_b32_e32 v0, v35
	v_mov_b32_e32 v1, v35
	ds_write_b64 v49, v[0:1] offset:4224
.LBB74_36:                              ;   in Loop: Header=BB74_7 Depth=2
	s_andn2_saveexec_b64 s[16:17], s[16:17]
	s_cbranch_execz .LBB74_38
; %bb.37:                               ;   in Loop: Header=BB74_7 Depth=2
	ds_write_b64 v49, v[34:35] offset:4224
.LBB74_38:                              ;   in Loop: Header=BB74_7 Depth=2
	s_or_b64 exec, exec, s[16:17]
.LBB74_39:                              ;   in Loop: Header=BB74_7 Depth=2
	s_or_b64 exec, exec, s[12:13]
	v_mov_b32_e32 v1, s21
	v_add_co_u32_e32 v0, vcc, s20, v14
	v_addc_co_u32_e32 v1, vcc, v15, v1, vcc
	v_cmp_gt_i64_e32 vcc, s[40:41], v[0:1]
	s_and_b64 s[12:13], s[8:9], vcc
	s_xor_b64 s[12:13], s[12:13], -1
	s_and_saveexec_b64 s[16:17], s[12:13]
	s_xor_b64 s[12:13], exec, s[16:17]
	s_cbranch_execz .LBB74_41
; %bb.40:                               ;   in Loop: Header=BB74_7 Depth=2
	v_mov_b32_e32 v2, v35
	v_mov_b32_e32 v3, v35
	ds_write_b64 v53, v[2:3]
.LBB74_41:                              ;   in Loop: Header=BB74_7 Depth=2
	s_or_saveexec_b64 s[16:17], s[12:13]
	v_add_co_u32_e64 v2, s[12:13], v36, v28
	v_addc_co_u32_e64 v3, s[12:13], v37, v29, s[12:13]
	s_xor_b64 exec, exec, s[16:17]
	s_cbranch_execz .LBB74_43
; %bb.42:                               ;   in Loop: Header=BB74_7 Depth=2
	global_load_dwordx2 v[4:5], v[2:3], off offset:-128
	s_waitcnt vmcnt(0)
	ds_write_b64 v53, v[4:5]
.LBB74_43:                              ;   in Loop: Header=BB74_7 Depth=2
	s_or_b64 exec, exec, s[16:17]
	v_cmp_gt_i64_e64 s[12:13], s[46:47], v[0:1]
	s_and_b64 s[16:17], s[8:9], s[12:13]
	s_xor_b64 s[16:17], s[16:17], -1
	s_and_saveexec_b64 s[28:29], s[16:17]
	s_xor_b64 s[16:17], exec, s[28:29]
	s_cbranch_execz .LBB74_45
; %bb.44:                               ;   in Loop: Header=BB74_7 Depth=2
	v_mov_b32_e32 v0, v35
	v_mov_b32_e32 v1, v35
	ds_write_b64 v53, v[0:1] offset:128
                                        ; implicit-def: $vgpr2_vgpr3
.LBB74_45:                              ;   in Loop: Header=BB74_7 Depth=2
	s_andn2_saveexec_b64 s[16:17], s[16:17]
	s_cbranch_execz .LBB74_47
; %bb.46:                               ;   in Loop: Header=BB74_7 Depth=2
	global_load_dwordx2 v[0:1], v[2:3], off
	s_waitcnt vmcnt(0)
	ds_write_b64 v53, v[0:1] offset:128
.LBB74_47:                              ;   in Loop: Header=BB74_7 Depth=2
	s_or_b64 exec, exec, s[16:17]
	s_and_b64 s[16:17], s[10:11], vcc
	s_xor_b64 s[16:17], s[16:17], -1
	s_and_saveexec_b64 s[28:29], s[16:17]
	s_xor_b64 s[16:17], exec, s[28:29]
	s_cbranch_execz .LBB74_49
; %bb.48:                               ;   in Loop: Header=BB74_7 Depth=2
	v_mov_b32_e32 v0, v35
	v_mov_b32_e32 v1, v35
	ds_write_b64 v53, v[0:1] offset:4096
.LBB74_49:                              ;   in Loop: Header=BB74_7 Depth=2
	s_andn2_saveexec_b64 s[16:17], s[16:17]
	s_cbranch_execz .LBB74_51
; %bb.50:                               ;   in Loop: Header=BB74_7 Depth=2
	v_add_co_u32_e32 v0, vcc, v38, v28
	v_addc_co_u32_e32 v1, vcc, v39, v29, vcc
	global_load_dwordx2 v[0:1], v[0:1], off offset:-128
	s_waitcnt vmcnt(0)
	ds_write_b64 v53, v[0:1] offset:4096
.LBB74_51:                              ;   in Loop: Header=BB74_7 Depth=2
	s_or_b64 exec, exec, s[16:17]
	s_and_b64 s[12:13], s[10:11], s[12:13]
	s_xor_b64 s[12:13], s[12:13], -1
	s_and_saveexec_b64 s[16:17], s[12:13]
	s_xor_b64 s[12:13], exec, s[16:17]
	s_cbranch_execz .LBB74_53
; %bb.52:                               ;   in Loop: Header=BB74_7 Depth=2
	v_mov_b32_e32 v0, v35
	v_mov_b32_e32 v1, v35
	ds_write_b64 v53, v[0:1] offset:4224
.LBB74_53:                              ;   in Loop: Header=BB74_7 Depth=2
	s_andn2_saveexec_b64 s[12:13], s[12:13]
	s_cbranch_execz .LBB74_6
; %bb.54:                               ;   in Loop: Header=BB74_7 Depth=2
	v_add_co_u32_e32 v0, vcc, v38, v28
	v_addc_co_u32_e32 v1, vcc, v39, v29, vcc
	global_load_dwordx2 v[0:1], v[0:1], off
	s_waitcnt vmcnt(0)
	ds_write_b64 v53, v[0:1] offset:4224
	s_branch .LBB74_6
.LBB74_55:                              ;   in Loop: Header=BB74_4 Depth=1
	v_mul_lo_u32 v2, v57, s44
	v_mul_lo_u32 v3, v55, s45
	v_mad_u64_u32 v[0:1], s[8:9], v55, s44, 0
	v_add3_u32 v1, v1, v3, v2
	v_lshlrev_b64 v[0:1], 3, v[0:1]
	v_mov_b32_e32 v2, s53
	v_add_co_u32_e64 v0, s[8:9], s52, v0
	v_cmp_gt_i32_e32 vcc, s30, v55
	v_addc_co_u32_e64 v1, s[8:9], v2, v1, s[8:9]
	s_and_b64 s[8:9], s[4:5], vcc
	s_and_saveexec_b64 s[10:11], s[8:9]
	s_cbranch_execz .LBB74_57
; %bb.56:                               ;   in Loop: Header=BB74_4 Depth=1
	v_add_co_u32_e64 v2, s[8:9], v0, v28
	v_addc_co_u32_e64 v3, s[8:9], v1, v29, s[8:9]
	global_load_dwordx2 v[4:5], v[2:3], off
	v_pk_mul_f32 v[6:7], v[58:59], s[34:35] op_sel_hi:[0,1]
	v_pk_fma_f32 v[8:9], v[56:57], s[34:35], v[6:7] op_sel:[0,0,1] op_sel_hi:[1,1,0] neg_lo:[0,0,1] neg_hi:[0,0,1]
	v_pk_fma_f32 v[6:7], v[56:57], s[34:35], v[6:7] op_sel:[0,0,1] op_sel_hi:[0,1,0]
	v_mov_b32_e32 v9, v7
	s_waitcnt vmcnt(0)
	v_pk_add_f32 v[4:5], v[4:5], v[8:9]
	global_store_dwordx2 v[2:3], v[4:5], off
.LBB74_57:                              ;   in Loop: Header=BB74_4 Depth=1
	s_or_b64 exec, exec, s[10:11]
	s_and_b64 s[10:11], s[14:15], vcc
	s_and_saveexec_b64 s[8:9], s[10:11]
	s_cbranch_execz .LBB74_59
; %bb.58:                               ;   in Loop: Header=BB74_4 Depth=1
	v_lshlrev_b64 v[2:3], 3, v[20:21]
	v_add_co_u32_e32 v0, vcc, v0, v2
	v_addc_co_u32_e32 v1, vcc, v1, v3, vcc
	global_load_dwordx2 v[2:3], v[0:1], off
	v_pk_mul_f32 v[4:5], v[54:55], s[34:35] op_sel_hi:[0,1]
	v_pk_fma_f32 v[6:7], v[52:53], s[34:35], v[4:5] op_sel:[0,0,1] op_sel_hi:[1,1,0] neg_lo:[0,0,1] neg_hi:[0,0,1]
	v_pk_fma_f32 v[4:5], v[52:53], s[34:35], v[4:5] op_sel:[0,0,1] op_sel_hi:[0,1,0]
	v_mov_b32_e32 v7, v5
	s_waitcnt vmcnt(0)
	v_pk_add_f32 v[2:3], v[2:3], v[6:7]
	global_store_dwordx2 v[0:1], v[2:3], off
.LBB74_59:                              ;   in Loop: Header=BB74_4 Depth=1
	s_or_b64 exec, exec, s[8:9]
	v_add_u32_e32 v0, 16, v55
	v_ashrrev_i32_e32 v1, 31, v0
	v_cmp_gt_i32_e32 vcc, s30, v0
	v_mul_lo_u32 v2, v1, s44
	v_mul_lo_u32 v3, v0, s45
	v_mad_u64_u32 v[0:1], s[8:9], v0, s44, 0
	v_add3_u32 v1, v1, v3, v2
	v_lshlrev_b64 v[0:1], 3, v[0:1]
	v_mov_b32_e32 v2, s53
	v_add_co_u32_e64 v0, s[8:9], s52, v0
	v_addc_co_u32_e64 v1, s[8:9], v2, v1, s[8:9]
	s_and_b64 s[8:9], s[4:5], vcc
	s_and_saveexec_b64 s[10:11], s[8:9]
	s_cbranch_execz .LBB74_61
; %bb.60:                               ;   in Loop: Header=BB74_4 Depth=1
	v_add_co_u32_e64 v2, s[8:9], v0, v28
	v_addc_co_u32_e64 v3, s[8:9], v1, v29, s[8:9]
	global_load_dwordx2 v[4:5], v[2:3], off
	v_pk_mul_f32 v[6:7], v[50:51], s[34:35] op_sel_hi:[0,1]
	v_pk_fma_f32 v[8:9], v[48:49], s[34:35], v[6:7] op_sel:[0,0,1] op_sel_hi:[1,1,0] neg_lo:[0,0,1] neg_hi:[0,0,1]
	v_pk_fma_f32 v[6:7], v[48:49], s[34:35], v[6:7] op_sel:[0,0,1] op_sel_hi:[0,1,0]
	v_mov_b32_e32 v9, v7
	s_waitcnt vmcnt(0)
	v_pk_add_f32 v[4:5], v[4:5], v[8:9]
	global_store_dwordx2 v[2:3], v[4:5], off
.LBB74_61:                              ;   in Loop: Header=BB74_4 Depth=1
	s_or_b64 exec, exec, s[10:11]
	s_and_b64 s[10:11], s[14:15], vcc
	s_and_saveexec_b64 s[8:9], s[10:11]
	s_cbranch_execz .LBB74_3
; %bb.62:                               ;   in Loop: Header=BB74_4 Depth=1
	v_lshlrev_b64 v[2:3], 3, v[20:21]
	v_add_co_u32_e32 v0, vcc, v0, v2
	v_addc_co_u32_e32 v1, vcc, v1, v3, vcc
	global_load_dwordx2 v[2:3], v[0:1], off
	v_pk_mul_f32 v[4:5], v[44:45], s[34:35] op_sel_hi:[0,1]
	v_pk_fma_f32 v[6:7], v[46:47], s[34:35], v[4:5] op_sel:[0,0,1] op_sel_hi:[1,1,0] neg_lo:[0,0,1] neg_hi:[0,0,1]
	v_pk_fma_f32 v[4:5], v[46:47], s[34:35], v[4:5] op_sel:[0,0,1] op_sel_hi:[0,1,0]
	v_mov_b32_e32 v7, v5
	s_waitcnt vmcnt(0)
	v_pk_add_f32 v[2:3], v[2:3], v[6:7]
	global_store_dwordx2 v[0:1], v[2:3], off
	s_branch .LBB74_3
.LBB74_63:
	s_endpgm
	.section	.rodata,"a",@progbits
	.p2align	6, 0x0
	.amdhsa_kernel _ZL30rocblas_trmm_outofplace_kernelI19rocblas_complex_numIfELi32ELi2ELb1ELb1ELb0ELb0EPKS1_S2_S1_Ev17rocblas_diagonal_iiT6_lPT7_lllS7_lllPT8_llli
		.amdhsa_group_segment_fixed_size 16384
		.amdhsa_private_segment_fixed_size 0
		.amdhsa_kernarg_size 392
		.amdhsa_user_sgpr_count 6
		.amdhsa_user_sgpr_private_segment_buffer 1
		.amdhsa_user_sgpr_dispatch_ptr 0
		.amdhsa_user_sgpr_queue_ptr 0
		.amdhsa_user_sgpr_kernarg_segment_ptr 1
		.amdhsa_user_sgpr_dispatch_id 0
		.amdhsa_user_sgpr_flat_scratch_init 0
		.amdhsa_user_sgpr_kernarg_preload_length 0
		.amdhsa_user_sgpr_kernarg_preload_offset 0
		.amdhsa_user_sgpr_private_segment_size 0
		.amdhsa_uses_dynamic_stack 0
		.amdhsa_system_sgpr_private_segment_wavefront_offset 0
		.amdhsa_system_sgpr_workgroup_id_x 1
		.amdhsa_system_sgpr_workgroup_id_y 1
		.amdhsa_system_sgpr_workgroup_id_z 1
		.amdhsa_system_sgpr_workgroup_info 0
		.amdhsa_system_vgpr_workitem_id 1
		.amdhsa_next_free_vgpr 76
		.amdhsa_next_free_sgpr 57
		.amdhsa_accum_offset 76
		.amdhsa_reserve_vcc 1
		.amdhsa_reserve_flat_scratch 0
		.amdhsa_float_round_mode_32 0
		.amdhsa_float_round_mode_16_64 0
		.amdhsa_float_denorm_mode_32 3
		.amdhsa_float_denorm_mode_16_64 3
		.amdhsa_dx10_clamp 1
		.amdhsa_ieee_mode 1
		.amdhsa_fp16_overflow 0
		.amdhsa_tg_split 0
		.amdhsa_exception_fp_ieee_invalid_op 0
		.amdhsa_exception_fp_denorm_src 0
		.amdhsa_exception_fp_ieee_div_zero 0
		.amdhsa_exception_fp_ieee_overflow 0
		.amdhsa_exception_fp_ieee_underflow 0
		.amdhsa_exception_fp_ieee_inexact 0
		.amdhsa_exception_int_div_zero 0
	.end_amdhsa_kernel
	.section	.text._ZL30rocblas_trmm_outofplace_kernelI19rocblas_complex_numIfELi32ELi2ELb1ELb1ELb0ELb0EPKS1_S2_S1_Ev17rocblas_diagonal_iiT6_lPT7_lllS7_lllPT8_llli,"axG",@progbits,_ZL30rocblas_trmm_outofplace_kernelI19rocblas_complex_numIfELi32ELi2ELb1ELb1ELb0ELb0EPKS1_S2_S1_Ev17rocblas_diagonal_iiT6_lPT7_lllS7_lllPT8_llli,comdat
.Lfunc_end74:
	.size	_ZL30rocblas_trmm_outofplace_kernelI19rocblas_complex_numIfELi32ELi2ELb1ELb1ELb0ELb0EPKS1_S2_S1_Ev17rocblas_diagonal_iiT6_lPT7_lllS7_lllPT8_llli, .Lfunc_end74-_ZL30rocblas_trmm_outofplace_kernelI19rocblas_complex_numIfELi32ELi2ELb1ELb1ELb0ELb0EPKS1_S2_S1_Ev17rocblas_diagonal_iiT6_lPT7_lllS7_lllPT8_llli
                                        ; -- End function
	.section	.AMDGPU.csdata,"",@progbits
; Kernel info:
; codeLenInByte = 6636
; NumSgprs: 61
; NumVgprs: 76
; NumAgprs: 0
; TotalNumVgprs: 76
; ScratchSize: 0
; MemoryBound: 1
; FloatMode: 240
; IeeeMode: 1
; LDSByteSize: 16384 bytes/workgroup (compile time only)
; SGPRBlocks: 7
; VGPRBlocks: 9
; NumSGPRsForWavesPerEU: 61
; NumVGPRsForWavesPerEU: 76
; AccumOffset: 76
; Occupancy: 6
; WaveLimiterHint : 0
; COMPUTE_PGM_RSRC2:SCRATCH_EN: 0
; COMPUTE_PGM_RSRC2:USER_SGPR: 6
; COMPUTE_PGM_RSRC2:TRAP_HANDLER: 0
; COMPUTE_PGM_RSRC2:TGID_X_EN: 1
; COMPUTE_PGM_RSRC2:TGID_Y_EN: 1
; COMPUTE_PGM_RSRC2:TGID_Z_EN: 1
; COMPUTE_PGM_RSRC2:TIDIG_COMP_CNT: 1
; COMPUTE_PGM_RSRC3_GFX90A:ACCUM_OFFSET: 18
; COMPUTE_PGM_RSRC3_GFX90A:TG_SPLIT: 0
	.section	.text._ZL30rocblas_trmm_outofplace_kernelI19rocblas_complex_numIfELi32ELi2ELb1ELb1ELb0ELb0ES1_KS1_S1_Ev17rocblas_diagonal_iiT6_lPT7_lllS6_lllPT8_llli,"axG",@progbits,_ZL30rocblas_trmm_outofplace_kernelI19rocblas_complex_numIfELi32ELi2ELb1ELb1ELb0ELb0ES1_KS1_S1_Ev17rocblas_diagonal_iiT6_lPT7_lllS6_lllPT8_llli,comdat
	.globl	_ZL30rocblas_trmm_outofplace_kernelI19rocblas_complex_numIfELi32ELi2ELb1ELb1ELb0ELb0ES1_KS1_S1_Ev17rocblas_diagonal_iiT6_lPT7_lllS6_lllPT8_llli ; -- Begin function _ZL30rocblas_trmm_outofplace_kernelI19rocblas_complex_numIfELi32ELi2ELb1ELb1ELb0ELb0ES1_KS1_S1_Ev17rocblas_diagonal_iiT6_lPT7_lllS6_lllPT8_llli
	.p2align	8
	.type	_ZL30rocblas_trmm_outofplace_kernelI19rocblas_complex_numIfELi32ELi2ELb1ELb1ELb0ELb0ES1_KS1_S1_Ev17rocblas_diagonal_iiT6_lPT7_lllS6_lllPT8_llli,@function
_ZL30rocblas_trmm_outofplace_kernelI19rocblas_complex_numIfELi32ELi2ELb1ELb1ELb0ELb0ES1_KS1_S1_Ev17rocblas_diagonal_iiT6_lPT7_lllS6_lllPT8_llli: ; @_ZL30rocblas_trmm_outofplace_kernelI19rocblas_complex_numIfELi32ELi2ELb1ELb1ELb0ELb0ES1_KS1_S1_Ev17rocblas_diagonal_iiT6_lPT7_lllS6_lllPT8_llli
; %bb.0:
	s_load_dwordx4 s[28:31], s[4:5], 0x0
	s_load_dword s35, s[4:5], 0x10
	s_waitcnt lgkmcnt(0)
	s_or_b32 s0, s31, s35
	s_bitset0_b32 s0, 31
	s_cmp_eq_u32 s0, 0
	s_cbranch_scc1 .LBB75_63
; %bb.1:
	s_add_i32 s0, s30, -1
	s_ashr_i32 s1, s0, 31
	s_lshr_b32 s1, s1, 27
	s_add_i32 s0, s0, s1
	s_ashr_i32 s33, s0, 5
	s_cmp_gt_i32 s7, s33
	s_cbranch_scc1 .LBB75_63
; %bb.2:
	s_load_dwordx16 s[12:27], s[4:5], 0x20
	s_load_dwordx8 s[36:43], s[4:5], 0x60
	s_mov_b32 s34, s31
	v_bfe_u32 v45, v0, 10, 10
	v_and_b32_e32 v2, 0x3ff, v0
	s_waitcnt lgkmcnt(0)
	s_mul_i32 s0, s8, s19
	s_mul_hi_u32 s1, s8, s18
	s_add_i32 s1, s1, s0
	s_mul_i32 s0, s8, s18
	s_lshl_b64 s[10:11], s[0:1], 3
	s_add_u32 s0, s12, s10
	s_addc_u32 s1, s13, s11
	s_lshl_b64 s[46:47], s[14:15], 3
	s_add_u32 s2, s0, s46
	s_addc_u32 s3, s1, s47
	s_mul_i32 s0, s8, s43
	s_mul_hi_u32 s1, s8, s42
	s_add_i32 s1, s1, s0
	s_mul_i32 s0, s8, s42
	s_lshl_b64 s[0:1], s[0:1], 3
	s_add_u32 s9, s36, s0
	s_addc_u32 s14, s37, s1
	s_lshl_b64 s[0:1], s[38:39], 3
	s_add_u32 s31, s9, s0
	s_addc_u32 s52, s14, s1
	s_lshl_b32 s6, s6, 5
	v_add_u32_e32 v12, s6, v45
	v_ashrrev_i32_e32 v13, 31, v12
	v_add_u32_e32 v14, s6, v2
	v_mul_lo_u32 v3, v13, s16
	v_mul_lo_u32 v4, v12, s17
	v_mad_u64_u32 v[0:1], s[0:1], v12, s16, 0
	s_sub_i32 s6, s29, s6
	v_add3_u32 v1, v1, v4, v3
	s_cmp_gt_i32 s6, 0
	v_lshlrev_b64 v[0:1], 3, v[0:1]
	s_cselect_b64 s[18:19], -1, 0
	s_cmpk_eq_i32 s28, 0x84
	v_mov_b32_e32 v3, s3
	v_add_co_u32_e32 v16, vcc, s2, v0
	s_cselect_b64 s[36:37], -1, 0
	s_ashr_i32 s39, s29, 31
	s_ashr_i32 s53, s30, 31
	s_lshl_b64 s[42:43], s[16:17], 8
	v_addc_co_u32_e32 v17, vcc, v3, v1, vcc
	s_add_u32 s44, s29, -16
	s_mul_i32 s9, s27, s8
	s_mul_hi_u32 s27, s26, s8
	v_ashrrev_i32_e32 v15, 31, v14
	v_add_co_u32_e32 v18, vcc, 16, v14
	s_addc_u32 s45, s39, -1
	s_add_i32 s9, s27, s9
	s_mul_i32 s8, s26, s8
	v_addc_co_u32_e32 v19, vcc, 0, v15, vcc
	s_lshl_b64 s[8:9], s[8:9], 3
	s_lshl_b64 s[22:23], s[22:23], 3
	s_load_dword s54, s[4:5], 0x8c
	v_sub_co_u32_e32 v22, vcc, v14, v12
	s_add_u32 s8, s8, s22
	v_subb_co_u32_e32 v23, vcc, v15, v13, vcc
	s_addc_u32 s9, s9, s23
	v_add_co_u32_e32 v24, vcc, 16, v22
	s_add_u32 s8, s8, s20
	v_addc_co_u32_e32 v25, vcc, 0, v23, vcc
	s_addc_u32 s9, s9, s21
	v_lshlrev_b32_e32 v0, 8, v45
	v_lshlrev_b32_e32 v47, 3, v2
	v_add_co_u32_e32 v26, vcc, -16, v22
	s_add_u32 s20, s8, 0x80
	v_add_u32_e32 v49, v47, v0
	v_add_u32_e32 v51, 0x2000, v0
	v_addc_co_u32_e32 v27, vcc, -1, v23, vcc
	s_addc_u32 s21, s9, 0
	s_lshl_b64 s[22:23], s[24:25], 3
	s_waitcnt lgkmcnt(0)
	s_lshl_b32 s55, s54, 5
	v_lshlrev_b64 v[0:1], 3, v[12:13]
	s_movk_i32 s8, 0x80
	v_add_co_u32_e32 v2, vcc, s8, v0
	s_add_u32 s8, s12, s46
	s_addc_u32 s9, s13, s47
	s_add_u32 s8, s8, s10
	s_addc_u32 s9, s9, s11
	v_addc_co_u32_e32 v3, vcc, 0, v1, vcc
	v_pk_mov_b32 v[0:1], s[8:9], s[8:9] op_sel:[0,1]
	s_mov_b32 s38, s29
	v_add_u32_e32 v20, 16, v14
	v_mad_u64_u32 v[32:33], s[8:9], s16, v2, v[0:1]
	v_mul_lo_u32 v0, s16, v3
	v_mul_lo_u32 v1, s17, v2
	v_cmp_le_i32_e64 s[0:1], s29, v14
	v_cmp_le_i64_e64 s[2:3], s[38:39], v[18:19]
	v_add_u32_e32 v53, v51, v47
	v_cmp_gt_i32_e64 s[4:5], s29, v14
	v_cmp_gt_i32_e64 s[14:15], s29, v20
	v_ashrrev_i32_e32 v21, 31, v20
	v_lshlrev_b64 v[28:29], 3, v[14:15]
	v_lshl_add_u32 v30, s7, 5, v45
	v_add3_u32 v33, v1, v33, v0
	v_mov_b32_e32 v35, 0
	v_mov_b32_e32 v34, 1.0
	s_movk_i32 s56, 0x100
	s_branch .LBB75_4
.LBB75_3:                               ;   in Loop: Header=BB75_4 Depth=1
	s_or_b64 exec, exec, s[8:9]
	s_add_i32 s7, s54, s7
	s_cmp_le_i32 s7, s33
	v_add_u32_e32 v30, s55, v30
	s_cbranch_scc0 .LBB75_63
.LBB75_4:                               ; =>This Loop Header: Depth=1
                                        ;     Child Loop BB75_7 Depth 2
	v_lshl_add_u32 v55, s7, 5, v45
	v_ashrrev_i32_e32 v57, 31, v55
	s_andn2_b64 vcc, exec, s[18:19]
	v_mov_b32_e32 v56, v35
	v_mov_b32_e32 v58, v35
	;; [unrolled: 1-line block ×8, first 2 shown]
	s_cbranch_vccnz .LBB75_55
; %bb.5:                                ;   in Loop: Header=BB75_4 Depth=1
	v_ashrrev_i32_e32 v31, 31, v30
	v_pk_mov_b32 v[0:1], s[20:21], s[20:21] op_sel:[0,1]
	v_mad_u64_u32 v[36:37], s[8:9], s22, v30, v[0:1]
	v_mul_lo_u32 v2, s23, v30
	v_mul_lo_u32 v3, s22, v31
	v_add3_u32 v37, v2, v37, v3
	v_lshlrev_b64 v[2:3], 3, v[30:31]
	v_add_co_u32_e32 v2, vcc, 0x80, v2
	v_addc_co_u32_e32 v3, vcc, 0, v3, vcc
	v_mad_u64_u32 v[38:39], s[8:9], s24, v2, v[0:1]
	v_mov_b32_e32 v1, s53
	v_sub_co_u32_e32 v0, vcc, s30, v55
	v_mul_lo_u32 v3, s24, v3
	v_mul_lo_u32 v4, s25, v2
	v_subb_co_u32_e32 v1, vcc, v1, v57, vcc
	v_add3_u32 v39, v4, v39, v3
	s_mov_b64 s[26:27], 0
	v_cmp_lt_i64_e64 s[8:9], 0, v[0:1]
	v_cmp_lt_i64_e64 s[10:11], 16, v[0:1]
	v_mov_b32_e32 v44, 0
	v_pk_mov_b32 v[40:41], v[32:33], v[32:33] op_sel:[0,1]
	v_pk_mov_b32 v[42:43], v[16:17], v[16:17] op_sel:[0,1]
	v_mov_b32_e32 v46, 0
	v_mov_b32_e32 v50, 0
	;; [unrolled: 1-line block ×7, first 2 shown]
	s_branch .LBB75_7
.LBB75_6:                               ;   in Loop: Header=BB75_7 Depth=2
	s_or_b64 exec, exec, s[12:13]
	s_waitcnt lgkmcnt(0)
	s_barrier
	ds_read2_b64 v[60:63], v47 offset1:16
	ds_read_b128 v[64:67], v51
	ds_read_b128 v[8:11], v51 offset:16
	ds_read_b128 v[4:7], v51 offset:32
	ds_read_b128 v[0:3], v51 offset:48
	ds_read_b128 v[68:71], v51 offset:4096
	ds_read_b128 v[72:75], v51 offset:4112
	s_waitcnt lgkmcnt(5)
	v_mul_f32_e32 v31, v65, v61
	v_mul_f32_e32 v59, v64, v61
	v_fma_f32 v31, v64, v60, -v31
	v_fmac_f32_e32 v59, v65, v60
	v_add_f32_e32 v31, v56, v31
	v_add_f32_e32 v56, v58, v59
	v_mul_f32_e32 v58, v65, v63
	v_fma_f32 v58, v64, v62, -v58
	v_mul_f32_e32 v59, v64, v63
	v_fmac_f32_e32 v59, v65, v62
	v_add_f32_e32 v52, v52, v58
	s_waitcnt lgkmcnt(1)
	v_mul_f32_e32 v58, v69, v61
	v_add_f32_e32 v54, v54, v59
	v_fma_f32 v58, v68, v60, -v58
	v_mul_f32_e32 v59, v68, v61
	v_fmac_f32_e32 v59, v69, v60
	v_add_f32_e32 v48, v48, v58
	v_mul_f32_e32 v58, v69, v63
	v_add_f32_e32 v50, v50, v59
	v_fma_f32 v64, v68, v62, -v58
	ds_read2_b64 v[58:61], v47 offset0:32 offset1:48
	v_mul_f32_e32 v63, v68, v63
	v_fmac_f32_e32 v63, v69, v62
	v_add_f32_e32 v44, v44, v63
	v_add_f32_e32 v46, v46, v64
	s_waitcnt lgkmcnt(0)
	v_mul_f32_e32 v62, v67, v59
	v_fma_f32 v62, v66, v58, -v62
	v_mul_f32_e32 v63, v66, v59
	v_add_f32_e32 v31, v31, v62
	v_mul_f32_e32 v62, v67, v61
	v_fmac_f32_e32 v63, v67, v58
	v_fma_f32 v62, v66, v60, -v62
	v_add_f32_e32 v56, v56, v63
	v_mul_f32_e32 v63, v66, v61
	v_add_f32_e32 v52, v52, v62
	v_mul_f32_e32 v62, v71, v59
	v_fmac_f32_e32 v63, v67, v60
	v_fma_f32 v62, v70, v58, -v62
	v_add_f32_e32 v54, v54, v63
	v_add_f32_e32 v48, v48, v62
	ds_read2_b64 v[62:65], v47 offset0:64 offset1:80
	v_mul_f32_e32 v59, v70, v59
	v_fmac_f32_e32 v59, v71, v58
	v_mul_f32_e32 v58, v71, v61
	v_fma_f32 v58, v70, v60, -v58
	v_add_f32_e32 v50, v50, v59
	v_mul_f32_e32 v59, v70, v61
	v_add_f32_e32 v46, v46, v58
	s_waitcnt lgkmcnt(0)
	v_mul_f32_e32 v58, v9, v63
	v_fmac_f32_e32 v59, v71, v60
	v_fma_f32 v58, v8, v62, -v58
	v_add_f32_e32 v44, v44, v59
	v_mul_f32_e32 v59, v8, v63
	v_add_f32_e32 v31, v31, v58
	v_mul_f32_e32 v58, v9, v65
	v_fmac_f32_e32 v59, v9, v62
	v_fma_f32 v58, v8, v64, -v58
	v_mul_f32_e32 v8, v8, v65
	v_add_f32_e32 v56, v56, v59
	v_fmac_f32_e32 v8, v9, v64
	v_add_f32_e32 v9, v52, v58
	ds_read2_b64 v[58:61], v47 offset0:96 offset1:112
	v_add_f32_e32 v8, v54, v8
	v_mul_f32_e32 v52, v73, v63
	v_mul_f32_e32 v54, v72, v63
	v_fma_f32 v52, v72, v62, -v52
	v_fmac_f32_e32 v54, v73, v62
	v_add_f32_e32 v48, v48, v52
	v_add_f32_e32 v50, v50, v54
	v_mul_f32_e32 v52, v73, v65
	v_mul_f32_e32 v54, v72, v65
	v_fma_f32 v52, v72, v64, -v52
	v_fmac_f32_e32 v54, v73, v64
	v_add_f32_e32 v46, v46, v52
	v_add_f32_e32 v44, v44, v54
	s_waitcnt lgkmcnt(0)
	v_mul_f32_e32 v52, v11, v59
	v_mul_f32_e32 v54, v10, v59
	v_fma_f32 v52, v10, v58, -v52
	v_fmac_f32_e32 v54, v11, v58
	v_add_f32_e32 v31, v31, v52
	v_add_f32_e32 v52, v56, v54
	v_mul_f32_e32 v54, v11, v61
	v_fma_f32 v54, v10, v60, -v54
	v_mul_f32_e32 v10, v10, v61
	v_fmac_f32_e32 v10, v11, v60
	v_add_f32_e32 v56, v8, v10
	v_mul_f32_e32 v8, v75, v59
	v_add_f32_e32 v54, v9, v54
	v_fma_f32 v8, v74, v58, -v8
	v_mul_f32_e32 v9, v74, v59
	v_fmac_f32_e32 v9, v75, v58
	v_add_f32_e32 v48, v48, v8
	v_mul_f32_e32 v8, v75, v61
	v_add_f32_e32 v50, v50, v9
	v_fma_f32 v58, v74, v60, -v8
	ds_read2_b64 v[8:11], v47 offset0:128 offset1:144
	v_mul_f32_e32 v59, v74, v61
	v_fmac_f32_e32 v59, v75, v60
	v_add_f32_e32 v46, v46, v58
	v_add_f32_e32 v44, v44, v59
	s_waitcnt lgkmcnt(0)
	v_mul_f32_e32 v58, v5, v9
	v_fma_f32 v58, v4, v8, -v58
	v_mul_f32_e32 v59, v4, v9
	v_fmac_f32_e32 v59, v5, v8
	v_add_f32_e32 v31, v31, v58
	v_mul_f32_e32 v58, v5, v11
	v_add_f32_e32 v52, v52, v59
	v_fma_f32 v62, v4, v10, -v58
	ds_read_b128 v[58:61], v51 offset:4128
	v_mul_f32_e32 v4, v4, v11
	ds_read2_b64 v[66:69], v47 offset0:160 offset1:176
	v_fmac_f32_e32 v4, v5, v10
	v_add_f32_e32 v5, v54, v62
	ds_read_b128 v[62:65], v51 offset:4144
	s_waitcnt lgkmcnt(2)
	v_mul_f32_e32 v54, v59, v9
	v_fma_f32 v54, v58, v8, -v54
	v_mul_f32_e32 v9, v58, v9
	v_fmac_f32_e32 v9, v59, v8
	v_add_f32_e32 v8, v48, v54
	v_mul_f32_e32 v48, v59, v11
	v_mul_f32_e32 v11, v58, v11
	v_fma_f32 v48, v58, v10, -v48
	v_fmac_f32_e32 v11, v59, v10
	v_add_f32_e32 v10, v46, v48
	v_add_f32_e32 v11, v44, v11
	s_waitcnt lgkmcnt(1)
	v_mul_f32_e32 v44, v7, v67
	v_mul_f32_e32 v46, v6, v67
	v_fma_f32 v44, v6, v66, -v44
	v_fmac_f32_e32 v46, v7, v66
	v_add_f32_e32 v31, v31, v44
	v_add_f32_e32 v44, v52, v46
	v_mul_f32_e32 v46, v7, v69
	v_fma_f32 v46, v6, v68, -v46
	v_mul_f32_e32 v6, v6, v69
	v_add_f32_e32 v4, v56, v4
	v_fmac_f32_e32 v6, v7, v68
	v_add_f32_e32 v48, v4, v6
	v_mul_f32_e32 v4, v61, v67
	v_add_f32_e32 v46, v5, v46
	v_fma_f32 v4, v60, v66, -v4
	v_mul_f32_e32 v5, v60, v67
	v_add_f32_e32 v9, v50, v9
	v_fmac_f32_e32 v5, v61, v66
	v_add_f32_e32 v8, v8, v4
	v_mul_f32_e32 v4, v61, v69
	v_add_f32_e32 v9, v9, v5
	v_fma_f32 v50, v60, v68, -v4
	ds_read2_b64 v[4:7], v47 offset0:192 offset1:208
	v_add_f32_e32 v50, v10, v50
	v_mul_f32_e32 v52, v60, v69
	v_fmac_f32_e32 v52, v61, v68
	v_add_f32_e32 v52, v11, v52
	s_waitcnt lgkmcnt(0)
	v_mul_f32_e32 v10, v1, v5
	v_fma_f32 v10, v0, v4, -v10
	v_add_f32_e32 v31, v31, v10
	v_mul_f32_e32 v10, v1, v7
	v_mul_f32_e32 v11, v0, v5
	v_fma_f32 v10, v0, v6, -v10
	v_mul_f32_e32 v0, v0, v7
	v_fmac_f32_e32 v11, v1, v4
	v_fmac_f32_e32 v0, v1, v6
	v_add_f32_e32 v1, v46, v10
	v_mul_f32_e32 v10, v63, v5
	v_fma_f32 v10, v62, v4, -v10
	v_mul_f32_e32 v5, v62, v5
	v_fmac_f32_e32 v5, v63, v4
	v_add_f32_e32 v4, v8, v10
	v_mul_f32_e32 v8, v63, v7
	v_add_f32_e32 v44, v44, v11
	v_add_f32_e32 v5, v9, v5
	v_fma_f32 v46, v62, v6, -v8
	ds_read2_b64 v[8:11], v47 offset0:224 offset1:240
	v_mul_f32_e32 v7, v62, v7
	v_fmac_f32_e32 v7, v63, v6
	v_add_f32_e32 v0, v48, v0
	v_add_f32_e32 v48, v52, v7
	s_waitcnt lgkmcnt(0)
	v_mul_f32_e32 v6, v3, v9
	v_fma_f32 v6, v2, v8, -v6
	v_add_f32_e32 v31, v31, v6
	v_mul_f32_e32 v6, v3, v11
	v_mul_f32_e32 v7, v2, v9
	v_fma_f32 v6, v2, v10, -v6
	v_mul_f32_e32 v2, v2, v11
	v_fmac_f32_e32 v2, v3, v10
	v_add_f32_e32 v46, v50, v46
	v_add_f32_e32 v50, v0, v2
	v_mul_f32_e32 v0, v65, v9
	v_fma_f32 v0, v64, v8, -v0
	v_mul_f32_e32 v2, v64, v9
	v_add_f32_e32 v52, v4, v0
	v_mul_f32_e32 v0, v65, v11
	v_fmac_f32_e32 v7, v3, v8
	v_fmac_f32_e32 v2, v65, v8
	v_fma_f32 v56, v64, v10, -v0
	v_add_u32_e32 v0, 0x800, v47
	v_add_f32_e32 v44, v44, v7
	v_add_f32_e32 v1, v1, v6
	;; [unrolled: 1-line block ×3, first 2 shown]
	ds_read2_b64 v[2:5], v0 offset1:16
	ds_read_b128 v[6:9], v51 offset:64
	v_mul_f32_e32 v11, v64, v11
	v_fmac_f32_e32 v11, v65, v10
	ds_read_b128 v[58:61], v51 offset:80
	ds_read_b128 v[62:65], v51 offset:4160
	v_add_f32_e32 v10, v46, v56
	s_waitcnt lgkmcnt(2)
	v_mul_f32_e32 v46, v7, v3
	v_fma_f32 v46, v6, v2, -v46
	v_add_f32_e32 v31, v31, v46
	v_mul_f32_e32 v46, v7, v5
	ds_read2_b64 v[70:73], v0 offset0:32 offset1:48
	v_add_f32_e32 v11, v48, v11
	v_mul_f32_e32 v48, v6, v3
	v_fma_f32 v46, v6, v4, -v46
	v_mul_f32_e32 v6, v6, v5
	v_fmac_f32_e32 v48, v7, v2
	v_fmac_f32_e32 v6, v7, v4
	s_waitcnt lgkmcnt(1)
	v_mul_f32_e32 v7, v63, v3
	v_fma_f32 v7, v62, v2, -v7
	v_mul_f32_e32 v3, v62, v3
	v_fmac_f32_e32 v3, v63, v2
	v_add_f32_e32 v2, v52, v7
	v_mul_f32_e32 v7, v63, v5
	v_mul_f32_e32 v5, v62, v5
	v_fma_f32 v7, v62, v4, -v7
	v_fmac_f32_e32 v5, v63, v4
	s_waitcnt lgkmcnt(0)
	v_mul_f32_e32 v4, v9, v71
	v_add_f32_e32 v7, v10, v7
	v_add_f32_e32 v10, v11, v5
	v_fma_f32 v4, v8, v70, -v4
	v_mul_f32_e32 v5, v8, v71
	v_add_f32_e32 v44, v44, v48
	v_fmac_f32_e32 v5, v9, v70
	v_add_f32_e32 v11, v31, v4
	v_mul_f32_e32 v4, v9, v73
	v_add_f32_e32 v1, v1, v46
	v_add_f32_e32 v31, v44, v5
	v_fma_f32 v4, v8, v72, -v4
	v_mul_f32_e32 v5, v8, v73
	v_add_f32_e32 v6, v50, v6
	v_fmac_f32_e32 v5, v9, v72
	v_add_f32_e32 v1, v1, v4
	v_mul_f32_e32 v4, v65, v71
	v_add_f32_e32 v6, v6, v5
	v_fma_f32 v4, v64, v70, -v4
	v_mul_f32_e32 v5, v64, v71
	v_add_f32_e32 v3, v54, v3
	v_fmac_f32_e32 v5, v65, v70
	v_add_f32_e32 v8, v2, v4
	v_mul_f32_e32 v2, v65, v73
	v_add_f32_e32 v9, v3, v5
	v_fma_f32 v44, v64, v72, -v2
	ds_read2_b64 v[2:5], v0 offset0:64 offset1:80
	v_mul_f32_e32 v46, v64, v73
	ds_read_b128 v[66:69], v51 offset:4176
	v_fmac_f32_e32 v46, v65, v72
	v_add_f32_e32 v10, v10, v46
	s_waitcnt lgkmcnt(1)
	v_mul_f32_e32 v46, v58, v3
	v_fmac_f32_e32 v46, v59, v2
	v_add_f32_e32 v31, v31, v46
	v_mul_f32_e32 v46, v58, v5
	v_add_f32_e32 v44, v7, v44
	v_mul_f32_e32 v7, v59, v3
	v_fmac_f32_e32 v46, v59, v4
	v_fma_f32 v7, v58, v2, -v7
	v_add_f32_e32 v46, v6, v46
	s_waitcnt lgkmcnt(0)
	v_mul_f32_e32 v6, v67, v3
	v_add_f32_e32 v11, v11, v7
	v_mul_f32_e32 v7, v59, v5
	v_fma_f32 v6, v66, v2, -v6
	v_mul_f32_e32 v3, v66, v3
	v_fma_f32 v7, v58, v4, -v7
	v_fmac_f32_e32 v3, v67, v2
	v_add_f32_e32 v2, v8, v6
	v_mul_f32_e32 v6, v67, v5
	v_add_f32_e32 v1, v1, v7
	v_add_f32_e32 v3, v9, v3
	v_fma_f32 v48, v66, v4, -v6
	ds_read2_b64 v[6:9], v0 offset0:96 offset1:112
	v_mul_f32_e32 v5, v66, v5
	v_fmac_f32_e32 v5, v67, v4
	v_add_f32_e32 v10, v10, v5
	v_add_f32_e32 v44, v44, v48
	s_waitcnt lgkmcnt(0)
	v_mul_f32_e32 v4, v61, v7
	v_fma_f32 v4, v60, v6, -v4
	v_mul_f32_e32 v5, v60, v7
	v_fmac_f32_e32 v5, v61, v6
	v_add_f32_e32 v11, v11, v4
	v_mul_f32_e32 v4, v61, v9
	v_add_f32_e32 v31, v31, v5
	v_fma_f32 v4, v60, v8, -v4
	v_mul_f32_e32 v5, v60, v9
	v_fmac_f32_e32 v5, v61, v8
	v_add_f32_e32 v1, v1, v4
	v_mul_f32_e32 v4, v69, v7
	v_add_f32_e32 v46, v46, v5
	;; [unrolled: 6-line block ×3, first 2 shown]
	v_fma_f32 v6, v68, v8, -v2
	ds_read2_b64 v[2:5], v0 offset0:128 offset1:144
	ds_read_b128 v[58:61], v51 offset:96
	v_mul_f32_e32 v7, v68, v9
	v_fmac_f32_e32 v7, v69, v8
	v_add_f32_e32 v44, v44, v6
	v_add_f32_e32 v10, v10, v7
	ds_read_b128 v[6:9], v51 offset:112
	ds_read_b128 v[62:65], v51 offset:4192
	s_waitcnt lgkmcnt(2)
	v_mul_f32_e32 v52, v59, v3
	v_fma_f32 v52, v58, v2, -v52
	v_add_f32_e32 v11, v11, v52
	v_mul_f32_e32 v52, v59, v5
	ds_read2_b64 v[70:73], v0 offset0:160 offset1:176
	v_fma_f32 v52, v58, v4, -v52
	v_mul_f32_e32 v54, v58, v3
	v_add_f32_e32 v1, v1, v52
	s_waitcnt lgkmcnt(1)
	v_mul_f32_e32 v52, v63, v3
	v_fmac_f32_e32 v54, v59, v2
	v_fma_f32 v52, v62, v2, -v52
	v_mul_f32_e32 v3, v62, v3
	v_add_f32_e32 v31, v31, v54
	v_mul_f32_e32 v54, v58, v5
	v_fmac_f32_e32 v3, v63, v2
	v_add_f32_e32 v2, v48, v52
	v_mul_f32_e32 v48, v63, v5
	v_mul_f32_e32 v5, v62, v5
	v_fmac_f32_e32 v54, v59, v4
	v_fma_f32 v48, v62, v4, -v48
	v_fmac_f32_e32 v5, v63, v4
	s_waitcnt lgkmcnt(0)
	v_mul_f32_e32 v4, v61, v71
	v_add_f32_e32 v10, v10, v5
	v_fma_f32 v4, v60, v70, -v4
	v_mul_f32_e32 v5, v60, v71
	v_fmac_f32_e32 v5, v61, v70
	v_add_f32_e32 v11, v11, v4
	v_mul_f32_e32 v4, v61, v73
	v_add_f32_e32 v31, v31, v5
	v_fma_f32 v4, v60, v72, -v4
	v_mul_f32_e32 v5, v60, v73
	v_add_f32_e32 v46, v46, v54
	v_fmac_f32_e32 v5, v61, v72
	v_add_f32_e32 v1, v1, v4
	v_mul_f32_e32 v4, v65, v71
	v_add_f32_e32 v46, v46, v5
	v_fma_f32 v4, v64, v70, -v4
	v_mul_f32_e32 v5, v64, v71
	v_add_f32_e32 v3, v50, v3
	v_add_f32_e32 v44, v44, v48
	v_fmac_f32_e32 v5, v65, v70
	v_add_f32_e32 v48, v2, v4
	v_mul_f32_e32 v2, v65, v73
	v_add_f32_e32 v50, v3, v5
	v_fma_f32 v52, v64, v72, -v2
	ds_read2_b64 v[2:5], v0 offset0:192 offset1:208
	ds_read_b128 v[66:69], v51 offset:4208
	v_add_f32_e32 v44, v44, v52
	v_mul_f32_e32 v54, v64, v73
	v_fmac_f32_e32 v54, v65, v72
	s_waitcnt lgkmcnt(1)
	v_mul_f32_e32 v52, v7, v3
	v_fma_f32 v52, v6, v2, -v52
	v_add_f32_e32 v11, v11, v52
	v_mul_f32_e32 v52, v7, v5
	v_add_f32_e32 v10, v10, v54
	v_mul_f32_e32 v54, v6, v3
	v_fma_f32 v52, v6, v4, -v52
	v_mul_f32_e32 v6, v6, v5
	v_fmac_f32_e32 v54, v7, v2
	v_fmac_f32_e32 v6, v7, v4
	v_add_f32_e32 v7, v1, v52
	s_waitcnt lgkmcnt(0)
	v_mul_f32_e32 v1, v67, v3
	v_fma_f32 v1, v66, v2, -v1
	v_mul_f32_e32 v3, v66, v3
	v_add_f32_e32 v6, v46, v6
	v_fmac_f32_e32 v3, v67, v2
	v_add_f32_e32 v46, v48, v1
	v_mul_f32_e32 v1, v67, v5
	v_add_f32_e32 v48, v50, v3
	v_fma_f32 v50, v66, v4, -v1
	ds_read2_b64 v[0:3], v0 offset0:224 offset1:240
	v_mul_f32_e32 v5, v66, v5
	v_fmac_f32_e32 v5, v67, v4
	v_add_f32_e32 v44, v44, v50
	v_add_f32_e32 v50, v10, v5
	s_waitcnt lgkmcnt(0)
	v_mul_f32_e32 v4, v9, v1
	v_fma_f32 v4, v8, v0, -v4
	v_add_f32_e32 v52, v11, v4
	v_mul_f32_e32 v4, v9, v3
	v_mul_f32_e32 v5, v8, v1
	v_fma_f32 v4, v8, v2, -v4
	v_add_f32_e32 v31, v31, v54
	v_fmac_f32_e32 v5, v9, v0
	v_add_f32_e32 v54, v7, v4
	v_mul_f32_e32 v4, v69, v1
	v_mul_f32_e32 v1, v68, v1
	v_add_f32_e32 v31, v31, v5
	v_mul_f32_e32 v5, v8, v3
	v_fma_f32 v4, v68, v0, -v4
	v_fmac_f32_e32 v1, v69, v0
	v_mul_f32_e32 v0, v69, v3
	v_fmac_f32_e32 v5, v9, v2
	v_add_f32_e32 v1, v48, v1
	v_fma_f32 v48, v68, v2, -v0
	v_add_u32_e32 v0, 0x1000, v47
	v_add_f32_e32 v56, v6, v5
	v_add_f32_e32 v46, v46, v4
	ds_read2_b64 v[4:7], v0 offset1:16
	ds_read_b128 v[8:11], v51 offset:128
	v_mul_f32_e32 v3, v68, v3
	ds_read_b128 v[58:61], v51 offset:144
	ds_read_b128 v[62:65], v51 offset:4224
	v_fmac_f32_e32 v3, v69, v2
	s_waitcnt lgkmcnt(2)
	v_mul_f32_e32 v2, v9, v5
	v_add_f32_e32 v44, v44, v48
	v_add_f32_e32 v48, v50, v3
	v_fma_f32 v2, v8, v4, -v2
	v_mul_f32_e32 v3, v8, v5
	v_fmac_f32_e32 v3, v9, v4
	v_add_f32_e32 v50, v52, v2
	v_mul_f32_e32 v2, v9, v7
	v_add_f32_e32 v31, v31, v3
	v_fma_f32 v2, v8, v6, -v2
	v_mul_f32_e32 v3, v8, v7
	v_fmac_f32_e32 v3, v9, v6
	v_add_f32_e32 v8, v54, v2
	s_waitcnt lgkmcnt(0)
	v_mul_f32_e32 v2, v63, v5
	v_add_f32_e32 v9, v56, v3
	v_fma_f32 v2, v62, v4, -v2
	v_mul_f32_e32 v3, v62, v5
	v_fmac_f32_e32 v3, v63, v4
	v_add_f32_e32 v46, v46, v2
	v_mul_f32_e32 v2, v63, v7
	v_add_f32_e32 v1, v1, v3
	v_fma_f32 v52, v62, v6, -v2
	ds_read2_b64 v[2:5], v0 offset0:32 offset1:48
	v_mul_f32_e32 v7, v62, v7
	v_fmac_f32_e32 v7, v63, v6
	v_add_f32_e32 v48, v48, v7
	ds_read_b128 v[66:69], v51 offset:4240
	s_waitcnt lgkmcnt(1)
	v_mul_f32_e32 v6, v11, v3
	v_fma_f32 v6, v10, v2, -v6
	v_mul_f32_e32 v7, v10, v3
	v_add_f32_e32 v50, v50, v6
	v_mul_f32_e32 v6, v11, v5
	v_fmac_f32_e32 v7, v11, v2
	v_fma_f32 v6, v10, v4, -v6
	v_add_f32_e32 v31, v31, v7
	v_mul_f32_e32 v7, v10, v5
	v_add_f32_e32 v10, v8, v6
	v_mul_f32_e32 v6, v65, v3
	v_fmac_f32_e32 v7, v11, v4
	v_fma_f32 v6, v64, v2, -v6
	v_mul_f32_e32 v3, v64, v3
	v_add_f32_e32 v11, v9, v7
	v_fmac_f32_e32 v3, v65, v2
	v_add_f32_e32 v2, v46, v6
	ds_read2_b64 v[6:9], v0 offset0:64 offset1:80
	v_add_f32_e32 v1, v1, v3
	v_mul_f32_e32 v3, v65, v5
	v_add_f32_e32 v44, v44, v52
	v_fma_f32 v3, v64, v4, -v3
	v_mul_f32_e32 v5, v64, v5
	v_add_f32_e32 v44, v44, v3
	s_waitcnt lgkmcnt(0)
	v_mul_f32_e32 v3, v59, v7
	v_fmac_f32_e32 v5, v65, v4
	v_fma_f32 v3, v58, v6, -v3
	v_mul_f32_e32 v4, v58, v7
	v_add_f32_e32 v46, v48, v5
	v_fmac_f32_e32 v4, v59, v6
	v_add_f32_e32 v48, v50, v3
	v_mul_f32_e32 v3, v59, v9
	v_add_f32_e32 v31, v31, v4
	v_fma_f32 v3, v58, v8, -v3
	v_mul_f32_e32 v4, v58, v9
	v_fmac_f32_e32 v4, v59, v8
	v_add_f32_e32 v10, v10, v3
	v_mul_f32_e32 v3, v67, v7
	v_add_f32_e32 v11, v11, v4
	v_fma_f32 v3, v66, v6, -v3
	v_mul_f32_e32 v4, v66, v7
	v_fmac_f32_e32 v4, v67, v6
	v_add_f32_e32 v6, v2, v3
	v_mul_f32_e32 v2, v67, v9
	v_add_f32_e32 v1, v1, v4
	v_fma_f32 v7, v66, v8, -v2
	ds_read2_b64 v[2:5], v0 offset0:96 offset1:112
	v_add_f32_e32 v44, v44, v7
	v_mul_f32_e32 v9, v66, v9
	v_fmac_f32_e32 v9, v67, v8
	v_add_f32_e32 v46, v46, v9
	s_waitcnt lgkmcnt(0)
	v_mul_f32_e32 v7, v61, v3
	v_fma_f32 v7, v60, v2, -v7
	v_mul_f32_e32 v8, v60, v3
	v_add_f32_e32 v48, v48, v7
	v_mul_f32_e32 v7, v61, v5
	v_fmac_f32_e32 v8, v61, v2
	v_fma_f32 v7, v60, v4, -v7
	v_add_f32_e32 v31, v31, v8
	v_mul_f32_e32 v8, v60, v5
	v_add_f32_e32 v10, v10, v7
	v_mul_f32_e32 v7, v69, v3
	v_fmac_f32_e32 v8, v61, v4
	v_fma_f32 v7, v68, v2, -v7
	v_add_f32_e32 v11, v11, v8
	v_mul_f32_e32 v3, v68, v3
	v_add_f32_e32 v50, v6, v7
	ds_read2_b64 v[6:9], v0 offset0:128 offset1:144
	ds_read_b128 v[58:61], v51 offset:160
	v_fmac_f32_e32 v3, v69, v2
	v_add_f32_e32 v1, v1, v3
	v_mul_f32_e32 v2, v69, v5
	v_mul_f32_e32 v3, v68, v5
	v_fma_f32 v2, v68, v4, -v2
	v_fmac_f32_e32 v3, v69, v4
	v_add_f32_e32 v44, v44, v2
	v_add_f32_e32 v46, v46, v3
	ds_read_b128 v[2:5], v51 offset:176
	ds_read_b128 v[62:65], v51 offset:4256
	s_waitcnt lgkmcnt(2)
	v_mul_f32_e32 v52, v59, v7
	v_fma_f32 v52, v58, v6, -v52
	v_add_f32_e32 v48, v48, v52
	v_mul_f32_e32 v52, v59, v9
	v_fma_f32 v52, v58, v8, -v52
	ds_read2_b64 v[70:73], v0 offset0:160 offset1:176
	v_mul_f32_e32 v54, v58, v7
	v_add_f32_e32 v10, v10, v52
	s_waitcnt lgkmcnt(1)
	v_mul_f32_e32 v52, v63, v7
	v_mul_f32_e32 v7, v62, v7
	v_fmac_f32_e32 v7, v63, v6
	v_add_f32_e32 v1, v1, v7
	v_mul_f32_e32 v7, v63, v9
	v_fmac_f32_e32 v54, v59, v6
	v_fma_f32 v7, v62, v8, -v7
	v_add_f32_e32 v31, v31, v54
	v_mul_f32_e32 v54, v58, v9
	v_mul_f32_e32 v9, v62, v9
	v_add_f32_e32 v44, v44, v7
	s_waitcnt lgkmcnt(0)
	v_mul_f32_e32 v7, v61, v71
	v_fmac_f32_e32 v54, v59, v8
	v_fmac_f32_e32 v9, v63, v8
	v_fma_f32 v7, v60, v70, -v7
	v_mul_f32_e32 v8, v60, v71
	v_fmac_f32_e32 v8, v61, v70
	v_add_f32_e32 v48, v48, v7
	v_mul_f32_e32 v7, v61, v73
	v_add_f32_e32 v31, v31, v8
	v_fma_f32 v7, v60, v72, -v7
	v_mul_f32_e32 v8, v60, v73
	v_add_f32_e32 v11, v11, v54
	v_fma_f32 v52, v62, v6, -v52
	v_fmac_f32_e32 v8, v61, v72
	v_add_f32_e32 v10, v10, v7
	v_mul_f32_e32 v7, v65, v71
	v_add_f32_e32 v6, v50, v52
	v_add_f32_e32 v11, v11, v8
	v_fma_f32 v7, v64, v70, -v7
	v_mul_f32_e32 v8, v64, v71
	v_fmac_f32_e32 v8, v65, v70
	v_add_f32_e32 v50, v6, v7
	v_mul_f32_e32 v6, v65, v73
	v_add_f32_e32 v46, v46, v9
	v_add_f32_e32 v1, v1, v8
	v_fma_f32 v52, v64, v72, -v6
	ds_read2_b64 v[6:9], v0 offset0:192 offset1:208
	ds_read_b128 v[66:69], v51 offset:4272
	v_add_f32_e32 v44, v44, v52
	v_mul_f32_e32 v54, v64, v73
	v_fmac_f32_e32 v54, v65, v72
	s_waitcnt lgkmcnt(1)
	v_mul_f32_e32 v52, v3, v7
	v_fma_f32 v52, v2, v6, -v52
	v_add_f32_e32 v48, v48, v52
	v_mul_f32_e32 v52, v3, v9
	v_add_f32_e32 v46, v46, v54
	v_mul_f32_e32 v54, v2, v7
	v_fma_f32 v52, v2, v8, -v52
	v_mul_f32_e32 v2, v2, v9
	v_fmac_f32_e32 v54, v3, v6
	v_fmac_f32_e32 v2, v3, v8
	s_waitcnt lgkmcnt(0)
	v_mul_f32_e32 v3, v66, v7
	v_add_f32_e32 v11, v11, v2
	v_mul_f32_e32 v2, v67, v7
	v_fmac_f32_e32 v3, v67, v6
	v_fma_f32 v2, v66, v6, -v2
	v_add_f32_e32 v7, v1, v3
	v_mul_f32_e32 v1, v67, v9
	v_add_f32_e32 v6, v50, v2
	v_fma_f32 v50, v66, v8, -v1
	ds_read2_b64 v[0:3], v0 offset0:224 offset1:240
	v_mul_f32_e32 v9, v66, v9
	v_fmac_f32_e32 v9, v67, v8
	v_add_f32_e32 v46, v46, v9
	v_add_f32_e32 v10, v10, v52
	s_waitcnt lgkmcnt(0)
	v_mul_f32_e32 v8, v5, v1
	v_fma_f32 v8, v4, v0, -v8
	v_add_f32_e32 v48, v48, v8
	v_mul_f32_e32 v8, v5, v3
	v_mul_f32_e32 v9, v4, v1
	v_fma_f32 v8, v4, v2, -v8
	v_mul_f32_e32 v4, v4, v3
	v_fmac_f32_e32 v4, v5, v2
	v_add_f32_e32 v52, v11, v4
	v_mul_f32_e32 v4, v69, v1
	v_mul_f32_e32 v1, v68, v1
	v_fmac_f32_e32 v9, v5, v0
	v_fma_f32 v4, v68, v0, -v4
	v_fmac_f32_e32 v1, v69, v0
	v_mul_f32_e32 v0, v69, v3
	v_add_f32_e32 v31, v31, v54
	v_fma_f32 v56, v68, v2, -v0
	v_add_u32_e32 v0, 0x1800, v47
	v_add_f32_e32 v44, v44, v50
	v_add_f32_e32 v31, v31, v9
	;; [unrolled: 1-line block ×5, first 2 shown]
	ds_read2_b64 v[4:7], v0 offset1:16
	ds_read_b128 v[8:11], v51 offset:192
	v_mul_f32_e32 v3, v68, v3
	ds_read_b128 v[58:61], v51 offset:208
	ds_read_b128 v[62:65], v51 offset:4288
	v_fmac_f32_e32 v3, v69, v2
	s_waitcnt lgkmcnt(2)
	v_mul_f32_e32 v2, v9, v5
	v_add_f32_e32 v46, v46, v3
	v_fma_f32 v2, v8, v4, -v2
	v_mul_f32_e32 v3, v8, v5
	v_fmac_f32_e32 v3, v9, v4
	v_add_f32_e32 v48, v48, v2
	v_mul_f32_e32 v2, v9, v7
	v_add_f32_e32 v31, v31, v3
	v_fma_f32 v2, v8, v6, -v2
	v_mul_f32_e32 v3, v8, v7
	v_fmac_f32_e32 v3, v9, v6
	v_add_f32_e32 v8, v50, v2
	s_waitcnt lgkmcnt(0)
	v_mul_f32_e32 v2, v63, v5
	v_add_f32_e32 v9, v52, v3
	v_fma_f32 v2, v62, v4, -v2
	v_mul_f32_e32 v3, v62, v5
	v_fmac_f32_e32 v3, v63, v4
	v_add_f32_e32 v50, v54, v2
	v_mul_f32_e32 v2, v63, v7
	v_add_f32_e32 v1, v1, v3
	v_fma_f32 v52, v62, v6, -v2
	ds_read2_b64 v[2:5], v0 offset0:32 offset1:48
	v_mul_f32_e32 v7, v62, v7
	v_fmac_f32_e32 v7, v63, v6
	v_add_f32_e32 v46, v46, v7
	v_add_f32_e32 v44, v44, v56
	s_waitcnt lgkmcnt(0)
	v_mul_f32_e32 v6, v11, v3
	v_fma_f32 v6, v10, v2, -v6
	v_mul_f32_e32 v7, v10, v3
	v_add_f32_e32 v48, v48, v6
	v_mul_f32_e32 v6, v11, v5
	v_fmac_f32_e32 v7, v11, v2
	v_fma_f32 v6, v10, v4, -v6
	v_add_f32_e32 v31, v31, v7
	v_mul_f32_e32 v7, v10, v5
	v_add_f32_e32 v10, v8, v6
	v_mul_f32_e32 v6, v65, v3
	v_fmac_f32_e32 v7, v11, v4
	v_fma_f32 v6, v64, v2, -v6
	v_mul_f32_e32 v3, v64, v3
	v_add_f32_e32 v11, v9, v7
	v_fmac_f32_e32 v3, v65, v2
	v_add_f32_e32 v2, v50, v6
	ds_read2_b64 v[6:9], v0 offset0:64 offset1:80
	v_add_f32_e32 v1, v1, v3
	v_mul_f32_e32 v3, v65, v5
	ds_read_b128 v[66:69], v51 offset:4304
	v_add_f32_e32 v44, v44, v52
	v_fma_f32 v3, v64, v4, -v3
	v_mul_f32_e32 v5, v64, v5
	v_add_f32_e32 v44, v44, v3
	s_waitcnt lgkmcnt(1)
	v_mul_f32_e32 v3, v59, v7
	v_fmac_f32_e32 v5, v65, v4
	v_fma_f32 v3, v58, v6, -v3
	v_mul_f32_e32 v4, v58, v7
	v_fmac_f32_e32 v4, v59, v6
	v_add_f32_e32 v48, v48, v3
	v_mul_f32_e32 v3, v59, v9
	v_add_f32_e32 v31, v31, v4
	v_fma_f32 v3, v58, v8, -v3
	v_mul_f32_e32 v4, v58, v9
	v_fmac_f32_e32 v4, v59, v8
	v_add_f32_e32 v10, v10, v3
	s_waitcnt lgkmcnt(0)
	v_mul_f32_e32 v3, v67, v7
	v_add_f32_e32 v11, v11, v4
	v_fma_f32 v3, v66, v6, -v3
	v_mul_f32_e32 v4, v66, v7
	v_fmac_f32_e32 v4, v67, v6
	v_add_f32_e32 v6, v2, v3
	v_mul_f32_e32 v2, v67, v9
	v_add_f32_e32 v46, v46, v5
	v_add_f32_e32 v1, v1, v4
	v_fma_f32 v7, v66, v8, -v2
	ds_read2_b64 v[2:5], v0 offset0:96 offset1:112
	v_add_f32_e32 v44, v44, v7
	v_mul_f32_e32 v9, v66, v9
	v_fmac_f32_e32 v9, v67, v8
	v_add_f32_e32 v46, v46, v9
	s_waitcnt lgkmcnt(0)
	v_mul_f32_e32 v7, v61, v3
	v_fma_f32 v7, v60, v2, -v7
	v_mul_f32_e32 v8, v60, v3
	v_add_f32_e32 v48, v48, v7
	v_mul_f32_e32 v7, v61, v5
	v_fmac_f32_e32 v8, v61, v2
	v_fma_f32 v7, v60, v4, -v7
	v_add_f32_e32 v31, v31, v8
	v_mul_f32_e32 v8, v60, v5
	v_add_f32_e32 v10, v10, v7
	v_mul_f32_e32 v7, v69, v3
	v_fmac_f32_e32 v8, v61, v4
	v_fma_f32 v7, v68, v2, -v7
	v_add_f32_e32 v11, v11, v8
	v_mul_f32_e32 v3, v68, v3
	v_add_f32_e32 v50, v6, v7
	ds_read2_b64 v[6:9], v0 offset0:128 offset1:144
	ds_read_b128 v[58:61], v51 offset:224
	v_fmac_f32_e32 v3, v69, v2
	v_add_f32_e32 v1, v1, v3
	v_mul_f32_e32 v2, v69, v5
	v_mul_f32_e32 v3, v68, v5
	v_fma_f32 v2, v68, v4, -v2
	v_fmac_f32_e32 v3, v69, v4
	v_add_f32_e32 v44, v44, v2
	v_add_f32_e32 v46, v46, v3
	ds_read_b128 v[2:5], v51 offset:240
	ds_read_b128 v[62:65], v51 offset:4320
	s_waitcnt lgkmcnt(2)
	v_mul_f32_e32 v52, v59, v7
	v_fma_f32 v52, v58, v6, -v52
	v_add_f32_e32 v48, v48, v52
	v_mul_f32_e32 v52, v59, v9
	v_fma_f32 v52, v58, v8, -v52
	ds_read2_b64 v[70:73], v0 offset0:160 offset1:176
	v_mul_f32_e32 v54, v58, v7
	v_add_f32_e32 v10, v10, v52
	s_waitcnt lgkmcnt(1)
	v_mul_f32_e32 v52, v63, v7
	v_mul_f32_e32 v7, v62, v7
	v_fmac_f32_e32 v7, v63, v6
	v_add_f32_e32 v1, v1, v7
	v_mul_f32_e32 v7, v63, v9
	v_fmac_f32_e32 v54, v59, v6
	v_fma_f32 v7, v62, v8, -v7
	v_add_f32_e32 v31, v31, v54
	v_mul_f32_e32 v54, v58, v9
	v_mul_f32_e32 v9, v62, v9
	v_add_f32_e32 v44, v44, v7
	s_waitcnt lgkmcnt(0)
	v_mul_f32_e32 v7, v61, v71
	v_fmac_f32_e32 v54, v59, v8
	v_fmac_f32_e32 v9, v63, v8
	v_fma_f32 v7, v60, v70, -v7
	v_mul_f32_e32 v8, v60, v71
	v_fmac_f32_e32 v8, v61, v70
	v_add_f32_e32 v48, v48, v7
	v_mul_f32_e32 v7, v61, v73
	v_add_f32_e32 v31, v31, v8
	v_fma_f32 v7, v60, v72, -v7
	v_mul_f32_e32 v8, v60, v73
	v_add_f32_e32 v11, v11, v54
	v_fma_f32 v52, v62, v6, -v52
	v_fmac_f32_e32 v8, v61, v72
	v_add_f32_e32 v10, v10, v7
	v_mul_f32_e32 v7, v65, v71
	v_add_f32_e32 v6, v50, v52
	v_add_f32_e32 v11, v11, v8
	v_fma_f32 v7, v64, v70, -v7
	v_mul_f32_e32 v8, v64, v71
	v_fmac_f32_e32 v8, v65, v70
	v_add_f32_e32 v50, v6, v7
	v_mul_f32_e32 v6, v65, v73
	v_add_f32_e32 v46, v46, v9
	v_add_f32_e32 v1, v1, v8
	v_fma_f32 v52, v64, v72, -v6
	ds_read2_b64 v[6:9], v0 offset0:192 offset1:208
	ds_read_b128 v[66:69], v51 offset:4336
	v_add_f32_e32 v44, v44, v52
	v_mul_f32_e32 v54, v64, v73
	v_fmac_f32_e32 v54, v65, v72
	s_waitcnt lgkmcnt(1)
	v_mul_f32_e32 v52, v3, v7
	v_fma_f32 v52, v2, v6, -v52
	v_add_f32_e32 v48, v48, v52
	v_mul_f32_e32 v52, v3, v9
	v_add_f32_e32 v46, v46, v54
	v_mul_f32_e32 v54, v2, v7
	v_fma_f32 v52, v2, v8, -v52
	v_mul_f32_e32 v2, v2, v9
	v_fmac_f32_e32 v54, v3, v6
	v_fmac_f32_e32 v2, v3, v8
	s_waitcnt lgkmcnt(0)
	v_mul_f32_e32 v3, v66, v7
	v_add_f32_e32 v11, v11, v2
	v_mul_f32_e32 v2, v67, v7
	v_fmac_f32_e32 v3, v67, v6
	v_fma_f32 v2, v66, v6, -v2
	v_add_f32_e32 v7, v1, v3
	v_mul_f32_e32 v1, v67, v9
	v_add_f32_e32 v6, v50, v2
	v_fma_f32 v50, v66, v8, -v1
	ds_read2_b64 v[0:3], v0 offset0:224 offset1:240
	v_mul_f32_e32 v9, v66, v9
	v_fmac_f32_e32 v9, v67, v8
	v_add_f32_e32 v9, v46, v9
	v_add_f32_e32 v31, v31, v54
	s_waitcnt lgkmcnt(0)
	v_mul_f32_e32 v46, v4, v1
	v_fmac_f32_e32 v46, v5, v0
	v_add_f32_e32 v8, v44, v50
	v_mul_f32_e32 v44, v5, v1
	v_add_f32_e32 v58, v31, v46
	v_mul_f32_e32 v31, v5, v3
	v_fma_f32 v44, v4, v0, -v44
	v_fma_f32 v31, v4, v2, -v31
	v_mul_f32_e32 v4, v4, v3
	v_fmac_f32_e32 v4, v5, v2
	v_add_f32_e32 v54, v11, v4
	v_mul_f32_e32 v4, v69, v1
	v_mul_f32_e32 v1, v68, v1
	v_fma_f32 v4, v68, v0, -v4
	v_fmac_f32_e32 v1, v69, v0
	v_mul_f32_e32 v0, v69, v3
	v_add_co_u32_e32 v36, vcc, s56, v36
	v_fma_f32 v0, v68, v2, -v0
	v_addc_co_u32_e32 v37, vcc, 0, v37, vcc
	v_add_f32_e32 v46, v8, v0
	v_mov_b32_e32 v0, s43
	v_add_co_u32_e32 v42, vcc, s42, v42
	v_addc_co_u32_e32 v43, vcc, v43, v0, vcc
	v_add_co_u32_e32 v40, vcc, s42, v40
	v_add_f32_e32 v50, v7, v1
	v_mul_f32_e32 v1, v68, v3
	s_add_u32 s26, s26, 32
	v_addc_co_u32_e32 v41, vcc, v41, v0, vcc
	v_add_f32_e32 v10, v10, v52
	v_fmac_f32_e32 v1, v69, v2
	s_addc_u32 s27, s27, 0
	v_add_co_u32_e32 v38, vcc, 0x100, v38
	v_add_f32_e32 v56, v48, v44
	v_add_f32_e32 v52, v10, v31
	;; [unrolled: 1-line block ×4, first 2 shown]
	s_cmp_ge_i32 s26, s6
	v_addc_co_u32_e32 v39, vcc, 0, v39, vcc
	s_barrier
	s_cbranch_scc1 .LBB75_55
.LBB75_7:                               ;   Parent Loop BB75_4 Depth=1
                                        ; =>  This Inner Loop Header: Depth=2
	v_mov_b32_e32 v1, s27
	v_add_co_u32_e32 v0, vcc, s26, v12
	v_addc_co_u32_e32 v1, vcc, v13, v1, vcc
	v_add_co_u32_e32 v2, vcc, v42, v28
	v_addc_co_u32_e32 v3, vcc, v43, v29, vcc
	v_cmp_eq_u64_e32 vcc, s[26:27], v[22:23]
	v_cmp_le_i64_e64 s[12:13], s[38:39], v[0:1]
	s_and_b64 s[46:47], s[36:37], vcc
	v_cmp_lt_i64_e32 vcc, v[0:1], v[14:15]
	s_or_b64 s[16:17], s[12:13], vcc
	s_or_b64 s[16:17], s[16:17], s[46:47]
	s_or_b64 s[16:17], s[0:1], s[16:17]
	s_xor_b64 s[16:17], s[16:17], -1
	s_and_saveexec_b64 s[28:29], s[16:17]
	s_xor_b64 s[16:17], exec, s[28:29]
	s_cbranch_execz .LBB75_9
; %bb.8:                                ;   in Loop: Header=BB75_7 Depth=2
	global_load_dwordx2 v[4:5], v[2:3], off
	s_waitcnt vmcnt(0)
	ds_write_b64 v49, v[4:5]
.LBB75_9:                               ;   in Loop: Header=BB75_7 Depth=2
	s_or_saveexec_b64 s[16:17], s[16:17]
	s_xor_b64 s[28:29], s[46:47], -1
	s_xor_b64 exec, exec, s[16:17]
	s_cbranch_execz .LBB75_15
; %bb.10:                               ;   in Loop: Header=BB75_7 Depth=2
	s_and_saveexec_b64 s[48:49], s[28:29]
	s_xor_b64 s[48:49], exec, s[48:49]
	s_cbranch_execz .LBB75_12
; %bb.11:                               ;   in Loop: Header=BB75_7 Depth=2
	v_mov_b32_e32 v4, v35
	v_mov_b32_e32 v5, v35
	ds_write_b64 v49, v[4:5]
.LBB75_12:                              ;   in Loop: Header=BB75_7 Depth=2
	s_andn2_saveexec_b64 s[48:49], s[48:49]
	s_cbranch_execz .LBB75_14
; %bb.13:                               ;   in Loop: Header=BB75_7 Depth=2
	ds_write_b64 v49, v[34:35]
.LBB75_14:                              ;   in Loop: Header=BB75_7 Depth=2
	s_or_b64 exec, exec, s[48:49]
.LBB75_15:                              ;   in Loop: Header=BB75_7 Depth=2
	s_or_b64 exec, exec, s[16:17]
	v_cmp_eq_u64_e64 s[16:17], s[26:27], v[24:25]
	s_and_b64 s[48:49], s[36:37], s[16:17]
	v_cmp_gt_i64_e64 s[16:17], v[18:19], v[0:1]
	s_or_b64 s[12:13], s[12:13], s[16:17]
	s_or_b64 s[12:13], s[12:13], s[48:49]
	;; [unrolled: 1-line block ×3, first 2 shown]
	s_xor_b64 s[12:13], s[12:13], -1
	s_and_saveexec_b64 s[16:17], s[12:13]
	s_xor_b64 s[12:13], exec, s[16:17]
	s_cbranch_execz .LBB75_17
; %bb.16:                               ;   in Loop: Header=BB75_7 Depth=2
	global_load_dwordx2 v[2:3], v[2:3], off offset:128
	s_waitcnt vmcnt(0)
	ds_write_b64 v49, v[2:3] offset:128
.LBB75_17:                              ;   in Loop: Header=BB75_7 Depth=2
	s_andn2_saveexec_b64 s[12:13], s[12:13]
	s_cbranch_execz .LBB75_23
; %bb.18:                               ;   in Loop: Header=BB75_7 Depth=2
	s_xor_b64 s[16:17], s[48:49], -1
	s_and_saveexec_b64 s[48:49], s[16:17]
	s_xor_b64 s[16:17], exec, s[48:49]
	s_cbranch_execz .LBB75_20
; %bb.19:                               ;   in Loop: Header=BB75_7 Depth=2
	v_mov_b32_e32 v2, v35
	v_mov_b32_e32 v3, v35
	ds_write_b64 v49, v[2:3] offset:128
.LBB75_20:                              ;   in Loop: Header=BB75_7 Depth=2
	s_andn2_saveexec_b64 s[16:17], s[16:17]
	s_cbranch_execz .LBB75_22
; %bb.21:                               ;   in Loop: Header=BB75_7 Depth=2
	ds_write_b64 v49, v[34:35] offset:128
.LBB75_22:                              ;   in Loop: Header=BB75_7 Depth=2
	s_or_b64 exec, exec, s[16:17]
.LBB75_23:                              ;   in Loop: Header=BB75_7 Depth=2
	s_or_b64 exec, exec, s[12:13]
	v_add_co_u32_e64 v0, s[12:13], 16, v0
	v_addc_co_u32_e64 v1, s[12:13], 0, v1, s[12:13]
	v_cmp_eq_u64_e64 s[16:17], s[26:27], v[26:27]
	v_cmp_le_i64_e64 s[12:13], s[38:39], v[0:1]
	s_and_b64 s[48:49], s[36:37], s[16:17]
	v_cmp_lt_i64_e64 s[16:17], v[0:1], v[14:15]
	s_or_b64 s[16:17], s[12:13], s[16:17]
	s_or_b64 s[16:17], s[16:17], s[48:49]
	s_or_b64 s[16:17], s[0:1], s[16:17]
	s_xor_b64 s[16:17], s[16:17], -1
	s_and_saveexec_b64 s[50:51], s[16:17]
	s_xor_b64 s[50:51], exec, s[50:51]
	s_cbranch_execz .LBB75_25
; %bb.24:                               ;   in Loop: Header=BB75_7 Depth=2
	v_add_co_u32_e64 v0, s[16:17], v40, v28
	v_addc_co_u32_e64 v1, s[16:17], v41, v29, s[16:17]
	global_load_dwordx2 v[0:1], v[0:1], off
	s_waitcnt vmcnt(0)
	ds_write_b64 v49, v[0:1] offset:4096
.LBB75_25:                              ;   in Loop: Header=BB75_7 Depth=2
	s_andn2_saveexec_b64 s[16:17], s[50:51]
	s_cbranch_execz .LBB75_31
; %bb.26:                               ;   in Loop: Header=BB75_7 Depth=2
	s_xor_b64 s[48:49], s[48:49], -1
	s_and_saveexec_b64 s[50:51], s[48:49]
	s_xor_b64 s[48:49], exec, s[50:51]
	s_cbranch_execz .LBB75_28
; %bb.27:                               ;   in Loop: Header=BB75_7 Depth=2
	v_mov_b32_e32 v0, v35
	v_mov_b32_e32 v1, v35
	ds_write_b64 v49, v[0:1] offset:4096
.LBB75_28:                              ;   in Loop: Header=BB75_7 Depth=2
	s_andn2_saveexec_b64 s[48:49], s[48:49]
	s_cbranch_execz .LBB75_30
; %bb.29:                               ;   in Loop: Header=BB75_7 Depth=2
	ds_write_b64 v49, v[34:35] offset:4096
.LBB75_30:                              ;   in Loop: Header=BB75_7 Depth=2
	s_or_b64 exec, exec, s[48:49]
.LBB75_31:                              ;   in Loop: Header=BB75_7 Depth=2
	s_or_b64 exec, exec, s[16:17]
	s_or_b64 s[12:13], s[12:13], vcc
	s_or_b64 s[12:13], s[12:13], s[46:47]
	s_or_b64 s[12:13], s[2:3], s[12:13]
	s_xor_b64 s[12:13], s[12:13], -1
	s_and_saveexec_b64 s[16:17], s[12:13]
	s_xor_b64 s[12:13], exec, s[16:17]
	s_cbranch_execz .LBB75_33
; %bb.32:                               ;   in Loop: Header=BB75_7 Depth=2
	v_add_co_u32_e32 v0, vcc, v40, v28
	v_addc_co_u32_e32 v1, vcc, v41, v29, vcc
	global_load_dwordx2 v[0:1], v[0:1], off offset:128
	s_waitcnt vmcnt(0)
	ds_write_b64 v49, v[0:1] offset:4224
.LBB75_33:                              ;   in Loop: Header=BB75_7 Depth=2
	s_andn2_saveexec_b64 s[12:13], s[12:13]
	s_cbranch_execz .LBB75_39
; %bb.34:                               ;   in Loop: Header=BB75_7 Depth=2
	s_and_saveexec_b64 s[16:17], s[28:29]
	s_xor_b64 s[16:17], exec, s[16:17]
	s_cbranch_execz .LBB75_36
; %bb.35:                               ;   in Loop: Header=BB75_7 Depth=2
	v_mov_b32_e32 v0, v35
	v_mov_b32_e32 v1, v35
	ds_write_b64 v49, v[0:1] offset:4224
.LBB75_36:                              ;   in Loop: Header=BB75_7 Depth=2
	s_andn2_saveexec_b64 s[16:17], s[16:17]
	s_cbranch_execz .LBB75_38
; %bb.37:                               ;   in Loop: Header=BB75_7 Depth=2
	ds_write_b64 v49, v[34:35] offset:4224
.LBB75_38:                              ;   in Loop: Header=BB75_7 Depth=2
	s_or_b64 exec, exec, s[16:17]
.LBB75_39:                              ;   in Loop: Header=BB75_7 Depth=2
	s_or_b64 exec, exec, s[12:13]
	v_mov_b32_e32 v1, s27
	v_add_co_u32_e32 v0, vcc, s26, v14
	v_addc_co_u32_e32 v1, vcc, v15, v1, vcc
	v_cmp_gt_i64_e32 vcc, s[38:39], v[0:1]
	s_and_b64 s[12:13], s[8:9], vcc
	s_xor_b64 s[12:13], s[12:13], -1
	s_and_saveexec_b64 s[16:17], s[12:13]
	s_xor_b64 s[12:13], exec, s[16:17]
	s_cbranch_execz .LBB75_41
; %bb.40:                               ;   in Loop: Header=BB75_7 Depth=2
	v_mov_b32_e32 v2, v35
	v_mov_b32_e32 v3, v35
	ds_write_b64 v53, v[2:3]
.LBB75_41:                              ;   in Loop: Header=BB75_7 Depth=2
	s_or_saveexec_b64 s[16:17], s[12:13]
	v_add_co_u32_e64 v2, s[12:13], v36, v28
	v_addc_co_u32_e64 v3, s[12:13], v37, v29, s[12:13]
	s_xor_b64 exec, exec, s[16:17]
	s_cbranch_execz .LBB75_43
; %bb.42:                               ;   in Loop: Header=BB75_7 Depth=2
	global_load_dwordx2 v[4:5], v[2:3], off offset:-128
	s_waitcnt vmcnt(0)
	ds_write_b64 v53, v[4:5]
.LBB75_43:                              ;   in Loop: Header=BB75_7 Depth=2
	s_or_b64 exec, exec, s[16:17]
	v_cmp_gt_i64_e64 s[12:13], s[44:45], v[0:1]
	s_and_b64 s[16:17], s[8:9], s[12:13]
	s_xor_b64 s[16:17], s[16:17], -1
	s_and_saveexec_b64 s[28:29], s[16:17]
	s_xor_b64 s[16:17], exec, s[28:29]
	s_cbranch_execz .LBB75_45
; %bb.44:                               ;   in Loop: Header=BB75_7 Depth=2
	v_mov_b32_e32 v0, v35
	v_mov_b32_e32 v1, v35
	ds_write_b64 v53, v[0:1] offset:128
                                        ; implicit-def: $vgpr2_vgpr3
.LBB75_45:                              ;   in Loop: Header=BB75_7 Depth=2
	s_andn2_saveexec_b64 s[16:17], s[16:17]
	s_cbranch_execz .LBB75_47
; %bb.46:                               ;   in Loop: Header=BB75_7 Depth=2
	global_load_dwordx2 v[0:1], v[2:3], off
	s_waitcnt vmcnt(0)
	ds_write_b64 v53, v[0:1] offset:128
.LBB75_47:                              ;   in Loop: Header=BB75_7 Depth=2
	s_or_b64 exec, exec, s[16:17]
	s_and_b64 s[16:17], s[10:11], vcc
	s_xor_b64 s[16:17], s[16:17], -1
	s_and_saveexec_b64 s[28:29], s[16:17]
	s_xor_b64 s[16:17], exec, s[28:29]
	s_cbranch_execz .LBB75_49
; %bb.48:                               ;   in Loop: Header=BB75_7 Depth=2
	v_mov_b32_e32 v0, v35
	v_mov_b32_e32 v1, v35
	ds_write_b64 v53, v[0:1] offset:4096
.LBB75_49:                              ;   in Loop: Header=BB75_7 Depth=2
	s_andn2_saveexec_b64 s[16:17], s[16:17]
	s_cbranch_execz .LBB75_51
; %bb.50:                               ;   in Loop: Header=BB75_7 Depth=2
	v_add_co_u32_e32 v0, vcc, v38, v28
	v_addc_co_u32_e32 v1, vcc, v39, v29, vcc
	global_load_dwordx2 v[0:1], v[0:1], off offset:-128
	s_waitcnt vmcnt(0)
	ds_write_b64 v53, v[0:1] offset:4096
.LBB75_51:                              ;   in Loop: Header=BB75_7 Depth=2
	s_or_b64 exec, exec, s[16:17]
	s_and_b64 s[12:13], s[10:11], s[12:13]
	s_xor_b64 s[12:13], s[12:13], -1
	s_and_saveexec_b64 s[16:17], s[12:13]
	s_xor_b64 s[12:13], exec, s[16:17]
	s_cbranch_execz .LBB75_53
; %bb.52:                               ;   in Loop: Header=BB75_7 Depth=2
	v_mov_b32_e32 v0, v35
	v_mov_b32_e32 v1, v35
	ds_write_b64 v53, v[0:1] offset:4224
.LBB75_53:                              ;   in Loop: Header=BB75_7 Depth=2
	s_andn2_saveexec_b64 s[12:13], s[12:13]
	s_cbranch_execz .LBB75_6
; %bb.54:                               ;   in Loop: Header=BB75_7 Depth=2
	v_add_co_u32_e32 v0, vcc, v38, v28
	v_addc_co_u32_e32 v1, vcc, v39, v29, vcc
	global_load_dwordx2 v[0:1], v[0:1], off
	s_waitcnt vmcnt(0)
	ds_write_b64 v53, v[0:1] offset:4224
	s_branch .LBB75_6
.LBB75_55:                              ;   in Loop: Header=BB75_4 Depth=1
	v_mul_lo_u32 v2, v57, s40
	v_mul_lo_u32 v3, v55, s41
	v_mad_u64_u32 v[0:1], s[8:9], v55, s40, 0
	v_add3_u32 v1, v1, v3, v2
	v_lshlrev_b64 v[0:1], 3, v[0:1]
	v_mov_b32_e32 v2, s52
	v_add_co_u32_e64 v0, s[8:9], s31, v0
	v_cmp_gt_i32_e32 vcc, s30, v55
	v_addc_co_u32_e64 v1, s[8:9], v2, v1, s[8:9]
	s_and_b64 s[8:9], s[4:5], vcc
	s_and_saveexec_b64 s[10:11], s[8:9]
	s_cbranch_execz .LBB75_57
; %bb.56:                               ;   in Loop: Header=BB75_4 Depth=1
	v_add_co_u32_e64 v2, s[8:9], v0, v28
	v_addc_co_u32_e64 v3, s[8:9], v1, v29, s[8:9]
	global_load_dwordx2 v[4:5], v[2:3], off
	v_pk_mul_f32 v[6:7], v[58:59], s[34:35] op_sel_hi:[0,1]
	v_pk_fma_f32 v[8:9], v[56:57], s[34:35], v[6:7] op_sel:[0,0,1] op_sel_hi:[1,1,0] neg_lo:[0,0,1] neg_hi:[0,0,1]
	v_pk_fma_f32 v[6:7], v[56:57], s[34:35], v[6:7] op_sel:[0,0,1] op_sel_hi:[0,1,0]
	v_mov_b32_e32 v9, v7
	s_waitcnt vmcnt(0)
	v_pk_add_f32 v[4:5], v[4:5], v[8:9]
	global_store_dwordx2 v[2:3], v[4:5], off
.LBB75_57:                              ;   in Loop: Header=BB75_4 Depth=1
	s_or_b64 exec, exec, s[10:11]
	s_and_b64 s[10:11], s[14:15], vcc
	s_and_saveexec_b64 s[8:9], s[10:11]
	s_cbranch_execz .LBB75_59
; %bb.58:                               ;   in Loop: Header=BB75_4 Depth=1
	v_lshlrev_b64 v[2:3], 3, v[20:21]
	v_add_co_u32_e32 v0, vcc, v0, v2
	v_addc_co_u32_e32 v1, vcc, v1, v3, vcc
	global_load_dwordx2 v[2:3], v[0:1], off
	v_pk_mul_f32 v[4:5], v[54:55], s[34:35] op_sel_hi:[0,1]
	v_pk_fma_f32 v[6:7], v[52:53], s[34:35], v[4:5] op_sel:[0,0,1] op_sel_hi:[1,1,0] neg_lo:[0,0,1] neg_hi:[0,0,1]
	v_pk_fma_f32 v[4:5], v[52:53], s[34:35], v[4:5] op_sel:[0,0,1] op_sel_hi:[0,1,0]
	v_mov_b32_e32 v7, v5
	s_waitcnt vmcnt(0)
	v_pk_add_f32 v[2:3], v[2:3], v[6:7]
	global_store_dwordx2 v[0:1], v[2:3], off
.LBB75_59:                              ;   in Loop: Header=BB75_4 Depth=1
	s_or_b64 exec, exec, s[8:9]
	v_add_u32_e32 v0, 16, v55
	v_ashrrev_i32_e32 v1, 31, v0
	v_cmp_gt_i32_e32 vcc, s30, v0
	v_mul_lo_u32 v2, v1, s40
	v_mul_lo_u32 v3, v0, s41
	v_mad_u64_u32 v[0:1], s[8:9], v0, s40, 0
	v_add3_u32 v1, v1, v3, v2
	v_lshlrev_b64 v[0:1], 3, v[0:1]
	v_mov_b32_e32 v2, s52
	v_add_co_u32_e64 v0, s[8:9], s31, v0
	v_addc_co_u32_e64 v1, s[8:9], v2, v1, s[8:9]
	s_and_b64 s[8:9], s[4:5], vcc
	s_and_saveexec_b64 s[10:11], s[8:9]
	s_cbranch_execz .LBB75_61
; %bb.60:                               ;   in Loop: Header=BB75_4 Depth=1
	v_add_co_u32_e64 v2, s[8:9], v0, v28
	v_addc_co_u32_e64 v3, s[8:9], v1, v29, s[8:9]
	global_load_dwordx2 v[4:5], v[2:3], off
	v_pk_mul_f32 v[6:7], v[50:51], s[34:35] op_sel_hi:[0,1]
	v_pk_fma_f32 v[8:9], v[48:49], s[34:35], v[6:7] op_sel:[0,0,1] op_sel_hi:[1,1,0] neg_lo:[0,0,1] neg_hi:[0,0,1]
	v_pk_fma_f32 v[6:7], v[48:49], s[34:35], v[6:7] op_sel:[0,0,1] op_sel_hi:[0,1,0]
	v_mov_b32_e32 v9, v7
	s_waitcnt vmcnt(0)
	v_pk_add_f32 v[4:5], v[4:5], v[8:9]
	global_store_dwordx2 v[2:3], v[4:5], off
.LBB75_61:                              ;   in Loop: Header=BB75_4 Depth=1
	s_or_b64 exec, exec, s[10:11]
	s_and_b64 s[10:11], s[14:15], vcc
	s_and_saveexec_b64 s[8:9], s[10:11]
	s_cbranch_execz .LBB75_3
; %bb.62:                               ;   in Loop: Header=BB75_4 Depth=1
	v_lshlrev_b64 v[2:3], 3, v[20:21]
	v_add_co_u32_e32 v0, vcc, v0, v2
	v_addc_co_u32_e32 v1, vcc, v1, v3, vcc
	global_load_dwordx2 v[2:3], v[0:1], off
	v_pk_mul_f32 v[4:5], v[44:45], s[34:35] op_sel_hi:[0,1]
	v_pk_fma_f32 v[6:7], v[46:47], s[34:35], v[4:5] op_sel:[0,0,1] op_sel_hi:[1,1,0] neg_lo:[0,0,1] neg_hi:[0,0,1]
	v_pk_fma_f32 v[4:5], v[46:47], s[34:35], v[4:5] op_sel:[0,0,1] op_sel_hi:[0,1,0]
	v_mov_b32_e32 v7, v5
	s_waitcnt vmcnt(0)
	v_pk_add_f32 v[2:3], v[2:3], v[6:7]
	global_store_dwordx2 v[0:1], v[2:3], off
	s_branch .LBB75_3
.LBB75_63:
	s_endpgm
	.section	.rodata,"a",@progbits
	.p2align	6, 0x0
	.amdhsa_kernel _ZL30rocblas_trmm_outofplace_kernelI19rocblas_complex_numIfELi32ELi2ELb1ELb1ELb0ELb0ES1_KS1_S1_Ev17rocblas_diagonal_iiT6_lPT7_lllS6_lllPT8_llli
		.amdhsa_group_segment_fixed_size 16384
		.amdhsa_private_segment_fixed_size 0
		.amdhsa_kernarg_size 392
		.amdhsa_user_sgpr_count 6
		.amdhsa_user_sgpr_private_segment_buffer 1
		.amdhsa_user_sgpr_dispatch_ptr 0
		.amdhsa_user_sgpr_queue_ptr 0
		.amdhsa_user_sgpr_kernarg_segment_ptr 1
		.amdhsa_user_sgpr_dispatch_id 0
		.amdhsa_user_sgpr_flat_scratch_init 0
		.amdhsa_user_sgpr_kernarg_preload_length 0
		.amdhsa_user_sgpr_kernarg_preload_offset 0
		.amdhsa_user_sgpr_private_segment_size 0
		.amdhsa_uses_dynamic_stack 0
		.amdhsa_system_sgpr_private_segment_wavefront_offset 0
		.amdhsa_system_sgpr_workgroup_id_x 1
		.amdhsa_system_sgpr_workgroup_id_y 1
		.amdhsa_system_sgpr_workgroup_id_z 1
		.amdhsa_system_sgpr_workgroup_info 0
		.amdhsa_system_vgpr_workitem_id 1
		.amdhsa_next_free_vgpr 76
		.amdhsa_next_free_sgpr 57
		.amdhsa_accum_offset 76
		.amdhsa_reserve_vcc 1
		.amdhsa_reserve_flat_scratch 0
		.amdhsa_float_round_mode_32 0
		.amdhsa_float_round_mode_16_64 0
		.amdhsa_float_denorm_mode_32 3
		.amdhsa_float_denorm_mode_16_64 3
		.amdhsa_dx10_clamp 1
		.amdhsa_ieee_mode 1
		.amdhsa_fp16_overflow 0
		.amdhsa_tg_split 0
		.amdhsa_exception_fp_ieee_invalid_op 0
		.amdhsa_exception_fp_denorm_src 0
		.amdhsa_exception_fp_ieee_div_zero 0
		.amdhsa_exception_fp_ieee_overflow 0
		.amdhsa_exception_fp_ieee_underflow 0
		.amdhsa_exception_fp_ieee_inexact 0
		.amdhsa_exception_int_div_zero 0
	.end_amdhsa_kernel
	.section	.text._ZL30rocblas_trmm_outofplace_kernelI19rocblas_complex_numIfELi32ELi2ELb1ELb1ELb0ELb0ES1_KS1_S1_Ev17rocblas_diagonal_iiT6_lPT7_lllS6_lllPT8_llli,"axG",@progbits,_ZL30rocblas_trmm_outofplace_kernelI19rocblas_complex_numIfELi32ELi2ELb1ELb1ELb0ELb0ES1_KS1_S1_Ev17rocblas_diagonal_iiT6_lPT7_lllS6_lllPT8_llli,comdat
.Lfunc_end75:
	.size	_ZL30rocblas_trmm_outofplace_kernelI19rocblas_complex_numIfELi32ELi2ELb1ELb1ELb0ELb0ES1_KS1_S1_Ev17rocblas_diagonal_iiT6_lPT7_lllS6_lllPT8_llli, .Lfunc_end75-_ZL30rocblas_trmm_outofplace_kernelI19rocblas_complex_numIfELi32ELi2ELb1ELb1ELb0ELb0ES1_KS1_S1_Ev17rocblas_diagonal_iiT6_lPT7_lllS6_lllPT8_llli
                                        ; -- End function
	.section	.AMDGPU.csdata,"",@progbits
; Kernel info:
; codeLenInByte = 6600
; NumSgprs: 61
; NumVgprs: 76
; NumAgprs: 0
; TotalNumVgprs: 76
; ScratchSize: 0
; MemoryBound: 1
; FloatMode: 240
; IeeeMode: 1
; LDSByteSize: 16384 bytes/workgroup (compile time only)
; SGPRBlocks: 7
; VGPRBlocks: 9
; NumSGPRsForWavesPerEU: 61
; NumVGPRsForWavesPerEU: 76
; AccumOffset: 76
; Occupancy: 6
; WaveLimiterHint : 0
; COMPUTE_PGM_RSRC2:SCRATCH_EN: 0
; COMPUTE_PGM_RSRC2:USER_SGPR: 6
; COMPUTE_PGM_RSRC2:TRAP_HANDLER: 0
; COMPUTE_PGM_RSRC2:TGID_X_EN: 1
; COMPUTE_PGM_RSRC2:TGID_Y_EN: 1
; COMPUTE_PGM_RSRC2:TGID_Z_EN: 1
; COMPUTE_PGM_RSRC2:TIDIG_COMP_CNT: 1
; COMPUTE_PGM_RSRC3_GFX90A:ACCUM_OFFSET: 18
; COMPUTE_PGM_RSRC3_GFX90A:TG_SPLIT: 0
	.section	.text._ZL30rocblas_trmm_outofplace_kernelI19rocblas_complex_numIfELi32ELi2ELb1ELb0ELb1ELb0EPKS1_S2_S1_Ev17rocblas_diagonal_iiT6_lPT7_lllS7_lllPT8_llli,"axG",@progbits,_ZL30rocblas_trmm_outofplace_kernelI19rocblas_complex_numIfELi32ELi2ELb1ELb0ELb1ELb0EPKS1_S2_S1_Ev17rocblas_diagonal_iiT6_lPT7_lllS7_lllPT8_llli,comdat
	.globl	_ZL30rocblas_trmm_outofplace_kernelI19rocblas_complex_numIfELi32ELi2ELb1ELb0ELb1ELb0EPKS1_S2_S1_Ev17rocblas_diagonal_iiT6_lPT7_lllS7_lllPT8_llli ; -- Begin function _ZL30rocblas_trmm_outofplace_kernelI19rocblas_complex_numIfELi32ELi2ELb1ELb0ELb1ELb0EPKS1_S2_S1_Ev17rocblas_diagonal_iiT6_lPT7_lllS7_lllPT8_llli
	.p2align	8
	.type	_ZL30rocblas_trmm_outofplace_kernelI19rocblas_complex_numIfELi32ELi2ELb1ELb0ELb1ELb0EPKS1_S2_S1_Ev17rocblas_diagonal_iiT6_lPT7_lllS7_lllPT8_llli,@function
_ZL30rocblas_trmm_outofplace_kernelI19rocblas_complex_numIfELi32ELi2ELb1ELb0ELb1ELb0EPKS1_S2_S1_Ev17rocblas_diagonal_iiT6_lPT7_lllS7_lllPT8_llli: ; @_ZL30rocblas_trmm_outofplace_kernelI19rocblas_complex_numIfELi32ELi2ELb1ELb0ELb1ELb0EPKS1_S2_S1_Ev17rocblas_diagonal_iiT6_lPT7_lllS7_lllPT8_llli
; %bb.0:
	s_load_dwordx16 s[12:27], s[4:5], 0x10
	s_waitcnt lgkmcnt(0)
	s_mul_i32 s0, s8, s15
	s_mul_hi_u32 s1, s8, s14
	s_add_i32 s1, s1, s0
	s_mul_i32 s0, s8, s14
	s_lshl_b64 s[0:1], s[0:1], 3
	s_add_u32 s0, s12, s0
	s_addc_u32 s1, s13, s1
	s_load_dwordx2 s[34:35], s[0:1], 0x0
	s_waitcnt lgkmcnt(0)
	s_or_b32 s0, s34, s35
	s_bitset0_b32 s0, 31
	s_cmp_eq_u32 s0, 0
	s_cbranch_scc1 .LBB76_63
; %bb.1:
	s_load_dwordx4 s[28:31], s[4:5], 0x0
	s_waitcnt lgkmcnt(0)
	s_add_i32 s0, s30, -1
	s_ashr_i32 s1, s0, 31
	s_lshr_b32 s1, s1, 27
	s_add_i32 s0, s0, s1
	s_ashr_i32 s31, s0, 5
	s_cmp_gt_i32 s7, s31
	s_cbranch_scc1 .LBB76_63
; %bb.2:
	s_mul_i32 s0, s8, s23
	s_mul_hi_u32 s1, s8, s22
	s_add_i32 s1, s1, s0
	s_mul_i32 s0, s8, s22
	s_load_dwordx4 s[44:47], s[4:5], 0x70
	s_load_dword s33, s[4:5], 0x8c
	s_lshl_b64 s[10:11], s[0:1], 3
	s_add_u32 s0, s16, s10
	s_load_dwordx8 s[36:43], s[4:5], 0x50
	s_addc_u32 s1, s17, s11
	s_lshl_b64 s[12:13], s[18:19], 3
	s_add_u32 s2, s0, s12
	s_addc_u32 s3, s1, s13
	s_waitcnt lgkmcnt(0)
	s_mul_i32 s0, s8, s47
	s_mul_hi_u32 s1, s8, s46
	s_add_i32 s1, s1, s0
	s_mul_i32 s0, s8, s46
	s_lshl_b64 s[0:1], s[0:1], 3
	s_add_u32 s4, s40, s0
	s_addc_u32 s5, s41, s1
	s_lshl_b64 s[0:1], s[42:43], 3
	s_add_u32 s48, s4, s0
	s_addc_u32 s49, s5, s1
	s_lshl_b32 s4, s6, 5
	v_and_b32_e32 v2, 0x3ff, v0
	v_add_u32_e32 v14, s4, v2
	v_ashrrev_i32_e32 v15, 31, v14
	v_bfe_u32 v39, v0, 10, 10
	v_mul_lo_u32 v3, v15, s20
	v_mul_lo_u32 v4, v14, s21
	v_mad_u64_u32 v[0:1], s[0:1], v14, s20, 0
	v_add3_u32 v1, v1, v4, v3
	v_add_u32_e32 v12, s4, v39
	v_lshlrev_b64 v[0:1], 3, v[0:1]
	v_ashrrev_i32_e32 v13, 31, v12
	v_mov_b32_e32 v3, s3
	v_add_co_u32_e32 v4, vcc, s2, v0
	v_addc_co_u32_e32 v3, vcc, v3, v1, vcc
	v_lshlrev_b64 v[0:1], 3, v[12:13]
	v_add_co_u32_e32 v41, vcc, v4, v0
	s_sub_i32 s6, s29, s4
	v_addc_co_u32_e32 v43, vcc, v3, v1, vcc
	s_cmp_gt_i32 s6, 0
	s_cselect_b64 s[18:19], -1, 0
	s_cmpk_eq_i32 s28, 0x84
	v_add_co_u32_e32 v16, vcc, 16, v14
	s_cselect_b64 s[22:23], -1, 0
	s_ashr_i32 s41, s29, 31
	s_ashr_i32 s50, s30, 31
	v_addc_co_u32_e32 v17, vcc, 0, v15, vcc
	s_add_u32 s42, s29, -16
	v_sub_co_u32_e32 v20, vcc, v14, v12
	s_mul_i32 s9, s39, s8
	s_mul_hi_u32 s28, s38, s8
	s_addc_u32 s43, s41, -1
	v_subb_co_u32_e32 v21, vcc, v15, v13, vcc
	s_add_i32 s9, s28, s9
	s_mul_i32 s8, s38, s8
	v_add_co_u32_e32 v22, vcc, 16, v20
	s_lshl_b64 s[8:9], s[8:9], 3
	s_lshl_b64 s[26:27], s[26:27], 3
	v_addc_co_u32_e32 v23, vcc, 0, v21, vcc
	s_add_u32 s8, s8, s26
	v_add_co_u32_e32 v24, vcc, -16, v20
	s_addc_u32 s9, s9, s27
	v_addc_co_u32_e32 v25, vcc, -1, v21, vcc
	v_lshlrev_b64 v[26:27], 3, v[14:15]
	s_add_u32 s8, s24, s8
	s_movk_i32 s24, 0x80
	v_add_co_u32_e32 v4, vcc, s24, v26
	v_lshlrev_b32_e32 v45, 3, v2
	s_addc_u32 s9, s25, s9
	v_addc_co_u32_e32 v2, vcc, 0, v27, vcc
	s_lshl_b64 s[24:25], s[36:37], 3
	s_lshl_b32 s51, s33, 5
	v_lshlrev_b32_e32 v3, 8, v39
	v_add_co_u32_e32 v28, vcc, s8, v4
	s_add_u32 s8, s12, s10
	v_add_u32_e32 v47, v45, v3
	v_add_u32_e32 v49, 0x2000, v3
	v_mov_b32_e32 v3, s9
	s_addc_u32 s9, s13, s11
	v_addc_co_u32_e32 v29, vcc, v2, v3, vcc
	v_mul_lo_u32 v5, s20, v2
	v_pk_mov_b32 v[2:3], s[8:9], s[8:9] op_sel:[0,1]
	v_mul_lo_u32 v6, s21, v4
	v_mad_u64_u32 v[2:3], s[8:9], s20, v4, v[2:3]
	v_add3_u32 v3, v6, v3, v5
	v_add_co_u32_e32 v0, vcc, v2, v0
	v_addc_co_u32_e32 v1, vcc, v3, v1, vcc
	s_mov_b32 s40, s29
	v_add_u32_e32 v18, 16, v14
	v_mov_b32_e32 v2, s17
	v_add_co_u32_e32 v53, vcc, s16, v0
	v_cmp_le_i32_e64 s[0:1], s29, v14
	v_cmp_le_i64_e64 s[2:3], s[40:41], v[16:17]
	v_add_u32_e32 v51, v49, v45
	v_cmp_gt_i32_e64 s[4:5], s29, v14
	v_cmp_gt_i32_e64 s[14:15], s29, v18
	v_ashrrev_i32_e32 v19, 31, v18
	v_lshl_add_u32 v30, s7, 5, v39
	v_addc_co_u32_e32 v54, vcc, v2, v1, vcc
	v_mov_b32_e32 v33, 0
	v_mov_b32_e32 v32, 1.0
	s_branch .LBB76_4
.LBB76_3:                               ;   in Loop: Header=BB76_4 Depth=1
	s_or_b64 exec, exec, s[8:9]
	s_add_i32 s7, s33, s7
	s_cmp_le_i32 s7, s31
	v_add_u32_e32 v30, s51, v30
	s_cbranch_scc0 .LBB76_63
.LBB76_4:                               ; =>This Loop Header: Depth=1
                                        ;     Child Loop BB76_7 Depth 2
	v_lshl_add_u32 v55, s7, 5, v39
	v_ashrrev_i32_e32 v56, 31, v55
	s_andn2_b64 vcc, exec, s[18:19]
	v_mov_b32_e32 v50, v33
	v_mov_b32_e32 v52, v33
	;; [unrolled: 1-line block ×8, first 2 shown]
	s_cbranch_vccnz .LBB76_55
; %bb.5:                                ;   in Loop: Header=BB76_4 Depth=1
	v_ashrrev_i32_e32 v31, 31, v30
	v_mad_u64_u32 v[34:35], s[8:9], s24, v30, v[28:29]
	v_mul_lo_u32 v0, s25, v30
	v_mul_lo_u32 v1, s24, v31
	v_add3_u32 v35, v0, v35, v1
	v_lshlrev_b64 v[0:1], 3, v[30:31]
	v_add_co_u32_e32 v0, vcc, 0x80, v0
	v_addc_co_u32_e32 v1, vcc, 0, v1, vcc
	v_mul_lo_u32 v1, s36, v1
	v_mul_lo_u32 v2, s37, v0
	v_mad_u64_u32 v[36:37], s[8:9], s36, v0, v[28:29]
	v_add3_u32 v37, v2, v37, v1
	v_mov_b32_e32 v1, s50
	v_sub_co_u32_e32 v0, vcc, s30, v55
	v_subb_co_u32_e32 v1, vcc, v1, v56, vcc
	s_mov_b64 s[20:21], 0
	v_cmp_lt_i64_e32 vcc, 0, v[0:1]
	v_cmp_lt_i64_e64 s[8:9], 16, v[0:1]
	v_mov_b32_e32 v38, 0
	s_mov_b64 s[26:27], 0
	v_mov_b32_e32 v40, 0
	v_mov_b32_e32 v44, 0
	;; [unrolled: 1-line block ×7, first 2 shown]
	s_branch .LBB76_7
.LBB76_6:                               ;   in Loop: Header=BB76_7 Depth=2
	s_or_b64 exec, exec, s[12:13]
	s_waitcnt lgkmcnt(0)
	s_barrier
	ds_read2_b64 v[58:61], v45 offset1:16
	ds_read_b128 v[62:65], v49
	ds_read_b128 v[8:11], v49 offset:16
	ds_read_b128 v[4:7], v49 offset:32
	;; [unrolled: 1-line block ×5, first 2 shown]
	s_waitcnt lgkmcnt(5)
	v_mul_f32_e32 v31, v63, v59
	v_mul_f32_e32 v57, v62, v59
	v_fma_f32 v31, v62, v58, -v31
	v_fmac_f32_e32 v57, v63, v58
	v_add_f32_e32 v31, v50, v31
	v_add_f32_e32 v50, v52, v57
	v_mul_f32_e32 v52, v63, v61
	v_fma_f32 v52, v62, v60, -v52
	ds_read2_b64 v[74:77], v45 offset0:32 offset1:48
	v_add_f32_e32 v46, v46, v52
	s_waitcnt lgkmcnt(2)
	v_mul_f32_e32 v52, v67, v59
	v_mul_f32_e32 v57, v62, v61
	v_fma_f32 v52, v66, v58, -v52
	v_fmac_f32_e32 v57, v63, v60
	v_add_f32_e32 v42, v42, v52
	v_mul_f32_e32 v52, v67, v61
	v_add_f32_e32 v48, v48, v57
	v_mul_f32_e32 v57, v66, v59
	v_fma_f32 v52, v66, v60, -v52
	v_fmac_f32_e32 v57, v67, v58
	v_add_f32_e32 v40, v40, v52
	s_waitcnt lgkmcnt(0)
	v_mul_f32_e32 v52, v65, v75
	v_add_f32_e32 v44, v44, v57
	v_mul_f32_e32 v57, v66, v61
	v_fma_f32 v52, v64, v74, -v52
	v_fmac_f32_e32 v57, v67, v60
	v_add_f32_e32 v31, v31, v52
	v_mul_f32_e32 v52, v65, v77
	v_add_f32_e32 v38, v38, v57
	v_mul_f32_e32 v57, v64, v75
	v_fma_f32 v52, v64, v76, -v52
	ds_read2_b64 v[58:61], v45 offset0:64 offset1:80
	v_fmac_f32_e32 v57, v65, v74
	v_add_f32_e32 v46, v46, v52
	v_mul_f32_e32 v52, v69, v75
	v_add_f32_e32 v50, v50, v57
	v_mul_f32_e32 v57, v64, v77
	v_fma_f32 v52, v68, v74, -v52
	v_fmac_f32_e32 v57, v65, v76
	v_add_f32_e32 v42, v42, v52
	v_mul_f32_e32 v52, v69, v77
	v_add_f32_e32 v48, v48, v57
	v_mul_f32_e32 v57, v68, v75
	v_fma_f32 v52, v68, v76, -v52
	v_fmac_f32_e32 v57, v69, v74
	v_add_f32_e32 v40, v40, v52
	s_waitcnt lgkmcnt(0)
	v_mul_f32_e32 v52, v9, v59
	v_add_f32_e32 v44, v44, v57
	v_mul_f32_e32 v57, v68, v77
	v_fma_f32 v52, v8, v58, -v52
	v_fmac_f32_e32 v57, v69, v76
	v_add_f32_e32 v31, v31, v52
	v_mul_f32_e32 v52, v9, v61
	v_add_f32_e32 v38, v38, v57
	v_mul_f32_e32 v57, v8, v59
	v_fma_f32 v52, v8, v60, -v52
	v_mul_f32_e32 v8, v8, v61
	v_fmac_f32_e32 v8, v9, v60
	ds_read2_b64 v[62:65], v45 offset0:96 offset1:112
	v_fmac_f32_e32 v57, v9, v58
	v_add_f32_e32 v9, v46, v52
	v_add_f32_e32 v8, v48, v8
	v_mul_f32_e32 v46, v71, v59
	v_mul_f32_e32 v48, v70, v59
	v_fma_f32 v46, v70, v58, -v46
	v_fmac_f32_e32 v48, v71, v58
	v_add_f32_e32 v42, v42, v46
	v_add_f32_e32 v44, v44, v48
	v_mul_f32_e32 v46, v71, v61
	v_mul_f32_e32 v48, v70, v61
	v_fma_f32 v46, v70, v60, -v46
	v_fmac_f32_e32 v48, v71, v60
	v_add_f32_e32 v40, v40, v46
	v_add_f32_e32 v38, v38, v48
	s_waitcnt lgkmcnt(0)
	v_mul_f32_e32 v46, v11, v63
	v_mul_f32_e32 v48, v10, v63
	v_add_f32_e32 v50, v50, v57
	v_fma_f32 v46, v10, v62, -v46
	v_fmac_f32_e32 v48, v11, v62
	v_add_f32_e32 v31, v31, v46
	v_add_f32_e32 v46, v50, v48
	v_mul_f32_e32 v48, v11, v65
	v_fma_f32 v48, v10, v64, -v48
	v_mul_f32_e32 v10, v10, v65
	v_fmac_f32_e32 v10, v11, v64
	v_add_f32_e32 v50, v8, v10
	v_mul_f32_e32 v8, v73, v63
	v_add_f32_e32 v48, v9, v48
	v_fma_f32 v8, v72, v62, -v8
	v_mul_f32_e32 v9, v72, v63
	v_fmac_f32_e32 v9, v73, v62
	v_add_f32_e32 v42, v42, v8
	v_mul_f32_e32 v8, v73, v65
	v_add_f32_e32 v44, v44, v9
	v_fma_f32 v52, v72, v64, -v8
	ds_read2_b64 v[8:11], v45 offset0:128 offset1:144
	ds_read_b128 v[58:61], v49 offset:4128
	v_add_f32_e32 v40, v40, v52
	v_mul_f32_e32 v57, v72, v65
	v_fmac_f32_e32 v57, v73, v64
	ds_read_b128 v[62:65], v49 offset:4144
	s_waitcnt lgkmcnt(2)
	v_mul_f32_e32 v52, v5, v9
	v_fma_f32 v52, v4, v8, -v52
	v_add_f32_e32 v31, v31, v52
	v_mul_f32_e32 v52, v5, v11
	v_add_f32_e32 v38, v38, v57
	v_mul_f32_e32 v57, v4, v9
	v_fma_f32 v52, v4, v10, -v52
	v_mul_f32_e32 v4, v4, v11
	ds_read2_b64 v[66:69], v45 offset0:160 offset1:176
	v_fmac_f32_e32 v57, v5, v8
	v_fmac_f32_e32 v4, v5, v10
	v_add_f32_e32 v5, v48, v52
	s_waitcnt lgkmcnt(2)
	v_mul_f32_e32 v48, v59, v9
	v_fma_f32 v48, v58, v8, -v48
	v_mul_f32_e32 v9, v58, v9
	v_fmac_f32_e32 v9, v59, v8
	v_add_f32_e32 v8, v42, v48
	v_mul_f32_e32 v42, v59, v11
	v_mul_f32_e32 v11, v58, v11
	v_fma_f32 v42, v58, v10, -v42
	v_fmac_f32_e32 v11, v59, v10
	v_add_f32_e32 v10, v40, v42
	v_add_f32_e32 v11, v38, v11
	s_waitcnt lgkmcnt(0)
	v_mul_f32_e32 v38, v7, v67
	v_mul_f32_e32 v40, v6, v67
	v_add_f32_e32 v46, v46, v57
	v_fma_f32 v38, v6, v66, -v38
	v_fmac_f32_e32 v40, v7, v66
	v_add_f32_e32 v31, v31, v38
	v_add_f32_e32 v38, v46, v40
	v_mul_f32_e32 v40, v7, v69
	v_fma_f32 v40, v6, v68, -v40
	v_mul_f32_e32 v6, v6, v69
	v_add_f32_e32 v4, v50, v4
	v_fmac_f32_e32 v6, v7, v68
	v_add_f32_e32 v42, v4, v6
	v_mul_f32_e32 v4, v61, v67
	v_add_f32_e32 v40, v5, v40
	v_fma_f32 v4, v60, v66, -v4
	v_mul_f32_e32 v5, v60, v67
	v_add_f32_e32 v9, v44, v9
	v_fmac_f32_e32 v5, v61, v66
	v_add_f32_e32 v8, v8, v4
	v_mul_f32_e32 v4, v61, v69
	v_add_f32_e32 v9, v9, v5
	v_fma_f32 v44, v60, v68, -v4
	ds_read2_b64 v[4:7], v45 offset0:192 offset1:208
	v_add_f32_e32 v44, v10, v44
	v_mul_f32_e32 v46, v60, v69
	v_fmac_f32_e32 v46, v61, v68
	v_add_f32_e32 v46, v11, v46
	s_waitcnt lgkmcnt(0)
	v_mul_f32_e32 v10, v1, v5
	v_fma_f32 v10, v0, v4, -v10
	v_add_f32_e32 v31, v31, v10
	v_mul_f32_e32 v10, v1, v7
	v_mul_f32_e32 v11, v0, v5
	v_fma_f32 v10, v0, v6, -v10
	v_mul_f32_e32 v0, v0, v7
	v_fmac_f32_e32 v11, v1, v4
	v_fmac_f32_e32 v0, v1, v6
	v_add_f32_e32 v1, v40, v10
	v_mul_f32_e32 v10, v63, v5
	v_fma_f32 v10, v62, v4, -v10
	v_mul_f32_e32 v5, v62, v5
	v_fmac_f32_e32 v5, v63, v4
	v_add_f32_e32 v4, v8, v10
	v_mul_f32_e32 v8, v63, v7
	v_add_f32_e32 v38, v38, v11
	v_add_f32_e32 v5, v9, v5
	v_fma_f32 v40, v62, v6, -v8
	ds_read2_b64 v[8:11], v45 offset0:224 offset1:240
	v_mul_f32_e32 v7, v62, v7
	v_fmac_f32_e32 v7, v63, v6
	v_add_f32_e32 v0, v42, v0
	v_add_f32_e32 v42, v46, v7
	s_waitcnt lgkmcnt(0)
	v_mul_f32_e32 v6, v3, v9
	v_fma_f32 v6, v2, v8, -v6
	v_add_f32_e32 v31, v31, v6
	v_mul_f32_e32 v6, v3, v11
	v_mul_f32_e32 v7, v2, v9
	v_fma_f32 v6, v2, v10, -v6
	v_mul_f32_e32 v2, v2, v11
	v_fmac_f32_e32 v2, v3, v10
	v_add_f32_e32 v40, v44, v40
	v_add_f32_e32 v44, v0, v2
	v_mul_f32_e32 v0, v65, v9
	v_fma_f32 v0, v64, v8, -v0
	v_mul_f32_e32 v2, v64, v9
	v_add_f32_e32 v46, v4, v0
	v_mul_f32_e32 v0, v65, v11
	v_fmac_f32_e32 v7, v3, v8
	v_fmac_f32_e32 v2, v65, v8
	v_fma_f32 v50, v64, v10, -v0
	v_add_u32_e32 v0, 0x800, v45
	v_add_f32_e32 v38, v38, v7
	v_add_f32_e32 v1, v1, v6
	;; [unrolled: 1-line block ×3, first 2 shown]
	ds_read2_b64 v[2:5], v0 offset1:16
	ds_read_b128 v[6:9], v49 offset:64
	v_mul_f32_e32 v11, v64, v11
	v_fmac_f32_e32 v11, v65, v10
	ds_read_b128 v[58:61], v49 offset:80
	ds_read_b128 v[62:65], v49 offset:4160
	v_add_f32_e32 v10, v40, v50
	s_waitcnt lgkmcnt(2)
	v_mul_f32_e32 v40, v7, v3
	v_fma_f32 v40, v6, v2, -v40
	v_add_f32_e32 v31, v31, v40
	v_mul_f32_e32 v40, v7, v5
	ds_read2_b64 v[70:73], v0 offset0:32 offset1:48
	v_add_f32_e32 v11, v42, v11
	v_mul_f32_e32 v42, v6, v3
	v_fma_f32 v40, v6, v4, -v40
	v_mul_f32_e32 v6, v6, v5
	v_fmac_f32_e32 v42, v7, v2
	v_fmac_f32_e32 v6, v7, v4
	s_waitcnt lgkmcnt(1)
	v_mul_f32_e32 v7, v63, v3
	v_fma_f32 v7, v62, v2, -v7
	v_mul_f32_e32 v3, v62, v3
	v_fmac_f32_e32 v3, v63, v2
	v_add_f32_e32 v2, v46, v7
	v_mul_f32_e32 v7, v63, v5
	v_mul_f32_e32 v5, v62, v5
	v_fma_f32 v7, v62, v4, -v7
	v_fmac_f32_e32 v5, v63, v4
	s_waitcnt lgkmcnt(0)
	v_mul_f32_e32 v4, v9, v71
	v_add_f32_e32 v7, v10, v7
	v_add_f32_e32 v10, v11, v5
	v_fma_f32 v4, v8, v70, -v4
	v_mul_f32_e32 v5, v8, v71
	v_add_f32_e32 v38, v38, v42
	v_fmac_f32_e32 v5, v9, v70
	v_add_f32_e32 v11, v31, v4
	v_mul_f32_e32 v4, v9, v73
	v_add_f32_e32 v1, v1, v40
	v_add_f32_e32 v31, v38, v5
	v_fma_f32 v4, v8, v72, -v4
	v_mul_f32_e32 v5, v8, v73
	v_add_f32_e32 v6, v44, v6
	v_fmac_f32_e32 v5, v9, v72
	v_add_f32_e32 v1, v1, v4
	v_mul_f32_e32 v4, v65, v71
	v_add_f32_e32 v6, v6, v5
	v_fma_f32 v4, v64, v70, -v4
	v_mul_f32_e32 v5, v64, v71
	v_add_f32_e32 v3, v48, v3
	v_fmac_f32_e32 v5, v65, v70
	v_add_f32_e32 v8, v2, v4
	v_mul_f32_e32 v2, v65, v73
	v_add_f32_e32 v9, v3, v5
	v_fma_f32 v38, v64, v72, -v2
	ds_read2_b64 v[2:5], v0 offset0:64 offset1:80
	v_mul_f32_e32 v40, v64, v73
	ds_read_b128 v[66:69], v49 offset:4176
	v_fmac_f32_e32 v40, v65, v72
	v_add_f32_e32 v10, v10, v40
	s_waitcnt lgkmcnt(1)
	v_mul_f32_e32 v40, v58, v3
	v_fmac_f32_e32 v40, v59, v2
	v_add_f32_e32 v31, v31, v40
	v_mul_f32_e32 v40, v58, v5
	v_add_f32_e32 v38, v7, v38
	v_mul_f32_e32 v7, v59, v3
	v_fmac_f32_e32 v40, v59, v4
	v_fma_f32 v7, v58, v2, -v7
	v_add_f32_e32 v40, v6, v40
	s_waitcnt lgkmcnt(0)
	v_mul_f32_e32 v6, v67, v3
	v_add_f32_e32 v11, v11, v7
	v_mul_f32_e32 v7, v59, v5
	v_fma_f32 v6, v66, v2, -v6
	v_mul_f32_e32 v3, v66, v3
	v_fma_f32 v7, v58, v4, -v7
	v_fmac_f32_e32 v3, v67, v2
	v_add_f32_e32 v2, v8, v6
	v_mul_f32_e32 v6, v67, v5
	v_add_f32_e32 v1, v1, v7
	v_add_f32_e32 v3, v9, v3
	v_fma_f32 v42, v66, v4, -v6
	ds_read2_b64 v[6:9], v0 offset0:96 offset1:112
	v_mul_f32_e32 v5, v66, v5
	v_fmac_f32_e32 v5, v67, v4
	v_add_f32_e32 v10, v10, v5
	v_add_f32_e32 v38, v38, v42
	s_waitcnt lgkmcnt(0)
	v_mul_f32_e32 v4, v61, v7
	v_fma_f32 v4, v60, v6, -v4
	v_mul_f32_e32 v5, v60, v7
	v_fmac_f32_e32 v5, v61, v6
	v_add_f32_e32 v11, v11, v4
	v_mul_f32_e32 v4, v61, v9
	v_add_f32_e32 v31, v31, v5
	v_fma_f32 v4, v60, v8, -v4
	v_mul_f32_e32 v5, v60, v9
	v_fmac_f32_e32 v5, v61, v8
	v_add_f32_e32 v1, v1, v4
	v_mul_f32_e32 v4, v69, v7
	v_add_f32_e32 v40, v40, v5
	;; [unrolled: 6-line block ×3, first 2 shown]
	v_fma_f32 v6, v68, v8, -v2
	ds_read2_b64 v[2:5], v0 offset0:128 offset1:144
	ds_read_b128 v[58:61], v49 offset:96
	v_mul_f32_e32 v7, v68, v9
	v_fmac_f32_e32 v7, v69, v8
	v_add_f32_e32 v38, v38, v6
	v_add_f32_e32 v10, v10, v7
	ds_read_b128 v[6:9], v49 offset:112
	ds_read_b128 v[62:65], v49 offset:4192
	s_waitcnt lgkmcnt(2)
	v_mul_f32_e32 v46, v59, v3
	v_fma_f32 v46, v58, v2, -v46
	v_add_f32_e32 v11, v11, v46
	v_mul_f32_e32 v46, v59, v5
	ds_read2_b64 v[70:73], v0 offset0:160 offset1:176
	v_fma_f32 v46, v58, v4, -v46
	v_mul_f32_e32 v48, v58, v3
	v_add_f32_e32 v1, v1, v46
	s_waitcnt lgkmcnt(1)
	v_mul_f32_e32 v46, v63, v3
	v_fmac_f32_e32 v48, v59, v2
	v_fma_f32 v46, v62, v2, -v46
	v_mul_f32_e32 v3, v62, v3
	v_add_f32_e32 v31, v31, v48
	v_mul_f32_e32 v48, v58, v5
	v_fmac_f32_e32 v3, v63, v2
	v_add_f32_e32 v2, v42, v46
	v_mul_f32_e32 v42, v63, v5
	v_mul_f32_e32 v5, v62, v5
	v_fmac_f32_e32 v48, v59, v4
	v_fma_f32 v42, v62, v4, -v42
	v_fmac_f32_e32 v5, v63, v4
	s_waitcnt lgkmcnt(0)
	v_mul_f32_e32 v4, v61, v71
	v_add_f32_e32 v10, v10, v5
	v_fma_f32 v4, v60, v70, -v4
	v_mul_f32_e32 v5, v60, v71
	v_fmac_f32_e32 v5, v61, v70
	v_add_f32_e32 v11, v11, v4
	v_mul_f32_e32 v4, v61, v73
	v_add_f32_e32 v31, v31, v5
	v_fma_f32 v4, v60, v72, -v4
	v_mul_f32_e32 v5, v60, v73
	v_add_f32_e32 v40, v40, v48
	v_fmac_f32_e32 v5, v61, v72
	v_add_f32_e32 v1, v1, v4
	v_mul_f32_e32 v4, v65, v71
	v_add_f32_e32 v40, v40, v5
	v_fma_f32 v4, v64, v70, -v4
	v_mul_f32_e32 v5, v64, v71
	v_add_f32_e32 v3, v44, v3
	v_add_f32_e32 v38, v38, v42
	v_fmac_f32_e32 v5, v65, v70
	v_add_f32_e32 v42, v2, v4
	v_mul_f32_e32 v2, v65, v73
	v_add_f32_e32 v44, v3, v5
	v_fma_f32 v46, v64, v72, -v2
	ds_read2_b64 v[2:5], v0 offset0:192 offset1:208
	ds_read_b128 v[66:69], v49 offset:4208
	v_add_f32_e32 v38, v38, v46
	v_mul_f32_e32 v48, v64, v73
	v_fmac_f32_e32 v48, v65, v72
	s_waitcnt lgkmcnt(1)
	v_mul_f32_e32 v46, v7, v3
	v_fma_f32 v46, v6, v2, -v46
	v_add_f32_e32 v11, v11, v46
	v_mul_f32_e32 v46, v7, v5
	v_add_f32_e32 v10, v10, v48
	v_mul_f32_e32 v48, v6, v3
	v_fma_f32 v46, v6, v4, -v46
	v_mul_f32_e32 v6, v6, v5
	v_fmac_f32_e32 v48, v7, v2
	v_fmac_f32_e32 v6, v7, v4
	v_add_f32_e32 v7, v1, v46
	s_waitcnt lgkmcnt(0)
	v_mul_f32_e32 v1, v67, v3
	v_fma_f32 v1, v66, v2, -v1
	v_mul_f32_e32 v3, v66, v3
	v_add_f32_e32 v6, v40, v6
	v_fmac_f32_e32 v3, v67, v2
	v_add_f32_e32 v40, v42, v1
	v_mul_f32_e32 v1, v67, v5
	v_add_f32_e32 v42, v44, v3
	v_fma_f32 v44, v66, v4, -v1
	ds_read2_b64 v[0:3], v0 offset0:224 offset1:240
	v_mul_f32_e32 v5, v66, v5
	v_fmac_f32_e32 v5, v67, v4
	v_add_f32_e32 v38, v38, v44
	v_add_f32_e32 v44, v10, v5
	s_waitcnt lgkmcnt(0)
	v_mul_f32_e32 v4, v9, v1
	v_fma_f32 v4, v8, v0, -v4
	v_add_f32_e32 v46, v11, v4
	v_mul_f32_e32 v4, v9, v3
	v_mul_f32_e32 v5, v8, v1
	v_fma_f32 v4, v8, v2, -v4
	v_add_f32_e32 v31, v31, v48
	v_fmac_f32_e32 v5, v9, v0
	v_add_f32_e32 v48, v7, v4
	v_mul_f32_e32 v4, v69, v1
	v_mul_f32_e32 v1, v68, v1
	v_add_f32_e32 v31, v31, v5
	v_mul_f32_e32 v5, v8, v3
	v_fma_f32 v4, v68, v0, -v4
	v_fmac_f32_e32 v1, v69, v0
	v_mul_f32_e32 v0, v69, v3
	v_fmac_f32_e32 v5, v9, v2
	v_add_f32_e32 v1, v42, v1
	v_fma_f32 v42, v68, v2, -v0
	v_add_u32_e32 v0, 0x1000, v45
	v_add_f32_e32 v50, v6, v5
	v_add_f32_e32 v40, v40, v4
	ds_read2_b64 v[4:7], v0 offset1:16
	ds_read_b128 v[8:11], v49 offset:128
	v_mul_f32_e32 v3, v68, v3
	ds_read_b128 v[58:61], v49 offset:144
	ds_read_b128 v[62:65], v49 offset:4224
	v_fmac_f32_e32 v3, v69, v2
	s_waitcnt lgkmcnt(2)
	v_mul_f32_e32 v2, v9, v5
	v_add_f32_e32 v38, v38, v42
	v_add_f32_e32 v42, v44, v3
	v_fma_f32 v2, v8, v4, -v2
	v_mul_f32_e32 v3, v8, v5
	v_fmac_f32_e32 v3, v9, v4
	v_add_f32_e32 v44, v46, v2
	v_mul_f32_e32 v2, v9, v7
	v_add_f32_e32 v31, v31, v3
	v_fma_f32 v2, v8, v6, -v2
	v_mul_f32_e32 v3, v8, v7
	v_fmac_f32_e32 v3, v9, v6
	v_add_f32_e32 v8, v48, v2
	s_waitcnt lgkmcnt(0)
	v_mul_f32_e32 v2, v63, v5
	v_add_f32_e32 v9, v50, v3
	v_fma_f32 v2, v62, v4, -v2
	v_mul_f32_e32 v3, v62, v5
	v_fmac_f32_e32 v3, v63, v4
	v_add_f32_e32 v40, v40, v2
	v_mul_f32_e32 v2, v63, v7
	v_add_f32_e32 v1, v1, v3
	v_fma_f32 v46, v62, v6, -v2
	ds_read2_b64 v[2:5], v0 offset0:32 offset1:48
	v_mul_f32_e32 v7, v62, v7
	v_fmac_f32_e32 v7, v63, v6
	v_add_f32_e32 v42, v42, v7
	ds_read_b128 v[66:69], v49 offset:4240
	s_waitcnt lgkmcnt(1)
	v_mul_f32_e32 v6, v11, v3
	v_fma_f32 v6, v10, v2, -v6
	v_mul_f32_e32 v7, v10, v3
	v_add_f32_e32 v44, v44, v6
	v_mul_f32_e32 v6, v11, v5
	v_fmac_f32_e32 v7, v11, v2
	v_fma_f32 v6, v10, v4, -v6
	v_add_f32_e32 v31, v31, v7
	v_mul_f32_e32 v7, v10, v5
	v_add_f32_e32 v10, v8, v6
	v_mul_f32_e32 v6, v65, v3
	v_fmac_f32_e32 v7, v11, v4
	v_fma_f32 v6, v64, v2, -v6
	v_mul_f32_e32 v3, v64, v3
	v_add_f32_e32 v11, v9, v7
	v_fmac_f32_e32 v3, v65, v2
	v_add_f32_e32 v2, v40, v6
	ds_read2_b64 v[6:9], v0 offset0:64 offset1:80
	v_add_f32_e32 v1, v1, v3
	v_mul_f32_e32 v3, v65, v5
	v_add_f32_e32 v38, v38, v46
	v_fma_f32 v3, v64, v4, -v3
	v_mul_f32_e32 v5, v64, v5
	v_add_f32_e32 v38, v38, v3
	s_waitcnt lgkmcnt(0)
	v_mul_f32_e32 v3, v59, v7
	v_fmac_f32_e32 v5, v65, v4
	v_fma_f32 v3, v58, v6, -v3
	v_mul_f32_e32 v4, v58, v7
	v_add_f32_e32 v40, v42, v5
	v_fmac_f32_e32 v4, v59, v6
	v_add_f32_e32 v42, v44, v3
	v_mul_f32_e32 v3, v59, v9
	v_add_f32_e32 v31, v31, v4
	v_fma_f32 v3, v58, v8, -v3
	v_mul_f32_e32 v4, v58, v9
	v_fmac_f32_e32 v4, v59, v8
	v_add_f32_e32 v10, v10, v3
	v_mul_f32_e32 v3, v67, v7
	v_add_f32_e32 v11, v11, v4
	v_fma_f32 v3, v66, v6, -v3
	v_mul_f32_e32 v4, v66, v7
	v_fmac_f32_e32 v4, v67, v6
	v_add_f32_e32 v6, v2, v3
	v_mul_f32_e32 v2, v67, v9
	v_add_f32_e32 v1, v1, v4
	v_fma_f32 v7, v66, v8, -v2
	ds_read2_b64 v[2:5], v0 offset0:96 offset1:112
	v_add_f32_e32 v38, v38, v7
	v_mul_f32_e32 v9, v66, v9
	v_fmac_f32_e32 v9, v67, v8
	v_add_f32_e32 v40, v40, v9
	s_waitcnt lgkmcnt(0)
	v_mul_f32_e32 v7, v61, v3
	v_fma_f32 v7, v60, v2, -v7
	v_mul_f32_e32 v8, v60, v3
	v_add_f32_e32 v42, v42, v7
	v_mul_f32_e32 v7, v61, v5
	v_fmac_f32_e32 v8, v61, v2
	v_fma_f32 v7, v60, v4, -v7
	v_add_f32_e32 v31, v31, v8
	v_mul_f32_e32 v8, v60, v5
	v_add_f32_e32 v10, v10, v7
	v_mul_f32_e32 v7, v69, v3
	v_fmac_f32_e32 v8, v61, v4
	v_fma_f32 v7, v68, v2, -v7
	v_add_f32_e32 v11, v11, v8
	v_mul_f32_e32 v3, v68, v3
	v_add_f32_e32 v44, v6, v7
	ds_read2_b64 v[6:9], v0 offset0:128 offset1:144
	ds_read_b128 v[58:61], v49 offset:160
	v_fmac_f32_e32 v3, v69, v2
	v_add_f32_e32 v1, v1, v3
	v_mul_f32_e32 v2, v69, v5
	v_mul_f32_e32 v3, v68, v5
	v_fma_f32 v2, v68, v4, -v2
	v_fmac_f32_e32 v3, v69, v4
	v_add_f32_e32 v38, v38, v2
	v_add_f32_e32 v40, v40, v3
	ds_read_b128 v[2:5], v49 offset:176
	ds_read_b128 v[62:65], v49 offset:4256
	s_waitcnt lgkmcnt(2)
	v_mul_f32_e32 v46, v59, v7
	v_fma_f32 v46, v58, v6, -v46
	v_add_f32_e32 v42, v42, v46
	v_mul_f32_e32 v46, v59, v9
	v_fma_f32 v46, v58, v8, -v46
	ds_read2_b64 v[70:73], v0 offset0:160 offset1:176
	v_mul_f32_e32 v48, v58, v7
	v_add_f32_e32 v10, v10, v46
	s_waitcnt lgkmcnt(1)
	v_mul_f32_e32 v46, v63, v7
	v_mul_f32_e32 v7, v62, v7
	v_fmac_f32_e32 v7, v63, v6
	v_add_f32_e32 v1, v1, v7
	v_mul_f32_e32 v7, v63, v9
	v_fmac_f32_e32 v48, v59, v6
	v_fma_f32 v7, v62, v8, -v7
	v_add_f32_e32 v31, v31, v48
	v_mul_f32_e32 v48, v58, v9
	v_mul_f32_e32 v9, v62, v9
	v_add_f32_e32 v38, v38, v7
	s_waitcnt lgkmcnt(0)
	v_mul_f32_e32 v7, v61, v71
	v_fmac_f32_e32 v48, v59, v8
	v_fmac_f32_e32 v9, v63, v8
	v_fma_f32 v7, v60, v70, -v7
	v_mul_f32_e32 v8, v60, v71
	v_fmac_f32_e32 v8, v61, v70
	v_add_f32_e32 v42, v42, v7
	v_mul_f32_e32 v7, v61, v73
	v_add_f32_e32 v31, v31, v8
	v_fma_f32 v7, v60, v72, -v7
	v_mul_f32_e32 v8, v60, v73
	v_add_f32_e32 v11, v11, v48
	v_fma_f32 v46, v62, v6, -v46
	v_fmac_f32_e32 v8, v61, v72
	v_add_f32_e32 v10, v10, v7
	v_mul_f32_e32 v7, v65, v71
	v_add_f32_e32 v6, v44, v46
	v_add_f32_e32 v11, v11, v8
	v_fma_f32 v7, v64, v70, -v7
	v_mul_f32_e32 v8, v64, v71
	v_fmac_f32_e32 v8, v65, v70
	v_add_f32_e32 v44, v6, v7
	v_mul_f32_e32 v6, v65, v73
	v_add_f32_e32 v40, v40, v9
	v_add_f32_e32 v1, v1, v8
	v_fma_f32 v46, v64, v72, -v6
	ds_read2_b64 v[6:9], v0 offset0:192 offset1:208
	ds_read_b128 v[66:69], v49 offset:4272
	v_add_f32_e32 v38, v38, v46
	v_mul_f32_e32 v48, v64, v73
	v_fmac_f32_e32 v48, v65, v72
	s_waitcnt lgkmcnt(1)
	v_mul_f32_e32 v46, v3, v7
	v_fma_f32 v46, v2, v6, -v46
	v_add_f32_e32 v42, v42, v46
	v_mul_f32_e32 v46, v3, v9
	v_add_f32_e32 v40, v40, v48
	v_mul_f32_e32 v48, v2, v7
	v_fma_f32 v46, v2, v8, -v46
	v_mul_f32_e32 v2, v2, v9
	v_fmac_f32_e32 v48, v3, v6
	v_fmac_f32_e32 v2, v3, v8
	s_waitcnt lgkmcnt(0)
	v_mul_f32_e32 v3, v66, v7
	v_add_f32_e32 v11, v11, v2
	v_mul_f32_e32 v2, v67, v7
	v_fmac_f32_e32 v3, v67, v6
	v_fma_f32 v2, v66, v6, -v2
	v_add_f32_e32 v7, v1, v3
	v_mul_f32_e32 v1, v67, v9
	v_add_f32_e32 v6, v44, v2
	v_fma_f32 v44, v66, v8, -v1
	ds_read2_b64 v[0:3], v0 offset0:224 offset1:240
	v_mul_f32_e32 v9, v66, v9
	v_fmac_f32_e32 v9, v67, v8
	v_add_f32_e32 v40, v40, v9
	v_add_f32_e32 v10, v10, v46
	s_waitcnt lgkmcnt(0)
	v_mul_f32_e32 v8, v5, v1
	v_fma_f32 v8, v4, v0, -v8
	v_add_f32_e32 v42, v42, v8
	v_mul_f32_e32 v8, v5, v3
	v_mul_f32_e32 v9, v4, v1
	v_fma_f32 v8, v4, v2, -v8
	v_mul_f32_e32 v4, v4, v3
	v_fmac_f32_e32 v4, v5, v2
	v_add_f32_e32 v46, v11, v4
	v_mul_f32_e32 v4, v69, v1
	v_mul_f32_e32 v1, v68, v1
	v_fmac_f32_e32 v9, v5, v0
	v_fma_f32 v4, v68, v0, -v4
	v_fmac_f32_e32 v1, v69, v0
	v_mul_f32_e32 v0, v69, v3
	v_add_f32_e32 v31, v31, v48
	v_fma_f32 v50, v68, v2, -v0
	v_add_u32_e32 v0, 0x1800, v45
	v_add_f32_e32 v38, v38, v44
	v_add_f32_e32 v31, v31, v9
	;; [unrolled: 1-line block ×5, first 2 shown]
	ds_read2_b64 v[4:7], v0 offset1:16
	ds_read_b128 v[8:11], v49 offset:192
	v_mul_f32_e32 v3, v68, v3
	ds_read_b128 v[58:61], v49 offset:208
	ds_read_b128 v[62:65], v49 offset:4288
	v_fmac_f32_e32 v3, v69, v2
	s_waitcnt lgkmcnt(2)
	v_mul_f32_e32 v2, v9, v5
	v_add_f32_e32 v40, v40, v3
	v_fma_f32 v2, v8, v4, -v2
	v_mul_f32_e32 v3, v8, v5
	v_fmac_f32_e32 v3, v9, v4
	v_add_f32_e32 v42, v42, v2
	v_mul_f32_e32 v2, v9, v7
	v_add_f32_e32 v31, v31, v3
	v_fma_f32 v2, v8, v6, -v2
	v_mul_f32_e32 v3, v8, v7
	v_fmac_f32_e32 v3, v9, v6
	v_add_f32_e32 v8, v44, v2
	s_waitcnt lgkmcnt(0)
	v_mul_f32_e32 v2, v63, v5
	v_add_f32_e32 v9, v46, v3
	v_fma_f32 v2, v62, v4, -v2
	v_mul_f32_e32 v3, v62, v5
	v_fmac_f32_e32 v3, v63, v4
	v_add_f32_e32 v44, v48, v2
	v_mul_f32_e32 v2, v63, v7
	v_add_f32_e32 v1, v1, v3
	v_fma_f32 v46, v62, v6, -v2
	ds_read2_b64 v[2:5], v0 offset0:32 offset1:48
	v_mul_f32_e32 v7, v62, v7
	v_fmac_f32_e32 v7, v63, v6
	v_add_f32_e32 v40, v40, v7
	v_add_f32_e32 v38, v38, v50
	s_waitcnt lgkmcnt(0)
	v_mul_f32_e32 v6, v11, v3
	v_fma_f32 v6, v10, v2, -v6
	v_mul_f32_e32 v7, v10, v3
	v_add_f32_e32 v42, v42, v6
	v_mul_f32_e32 v6, v11, v5
	v_fmac_f32_e32 v7, v11, v2
	v_fma_f32 v6, v10, v4, -v6
	v_add_f32_e32 v31, v31, v7
	v_mul_f32_e32 v7, v10, v5
	v_add_f32_e32 v10, v8, v6
	v_mul_f32_e32 v6, v65, v3
	v_fmac_f32_e32 v7, v11, v4
	v_fma_f32 v6, v64, v2, -v6
	v_mul_f32_e32 v3, v64, v3
	v_add_f32_e32 v11, v9, v7
	v_fmac_f32_e32 v3, v65, v2
	v_add_f32_e32 v2, v44, v6
	ds_read2_b64 v[6:9], v0 offset0:64 offset1:80
	v_add_f32_e32 v1, v1, v3
	v_mul_f32_e32 v3, v65, v5
	ds_read_b128 v[66:69], v49 offset:4304
	v_add_f32_e32 v38, v38, v46
	v_fma_f32 v3, v64, v4, -v3
	v_mul_f32_e32 v5, v64, v5
	v_add_f32_e32 v38, v38, v3
	s_waitcnt lgkmcnt(1)
	v_mul_f32_e32 v3, v59, v7
	v_fmac_f32_e32 v5, v65, v4
	v_fma_f32 v3, v58, v6, -v3
	v_mul_f32_e32 v4, v58, v7
	v_fmac_f32_e32 v4, v59, v6
	v_add_f32_e32 v42, v42, v3
	v_mul_f32_e32 v3, v59, v9
	v_add_f32_e32 v31, v31, v4
	v_fma_f32 v3, v58, v8, -v3
	v_mul_f32_e32 v4, v58, v9
	v_fmac_f32_e32 v4, v59, v8
	v_add_f32_e32 v10, v10, v3
	s_waitcnt lgkmcnt(0)
	v_mul_f32_e32 v3, v67, v7
	v_add_f32_e32 v11, v11, v4
	v_fma_f32 v3, v66, v6, -v3
	v_mul_f32_e32 v4, v66, v7
	v_fmac_f32_e32 v4, v67, v6
	v_add_f32_e32 v6, v2, v3
	v_mul_f32_e32 v2, v67, v9
	v_add_f32_e32 v40, v40, v5
	v_add_f32_e32 v1, v1, v4
	v_fma_f32 v7, v66, v8, -v2
	ds_read2_b64 v[2:5], v0 offset0:96 offset1:112
	v_add_f32_e32 v38, v38, v7
	v_mul_f32_e32 v9, v66, v9
	v_fmac_f32_e32 v9, v67, v8
	v_add_f32_e32 v40, v40, v9
	s_waitcnt lgkmcnt(0)
	v_mul_f32_e32 v7, v61, v3
	v_fma_f32 v7, v60, v2, -v7
	v_mul_f32_e32 v8, v60, v3
	v_add_f32_e32 v42, v42, v7
	v_mul_f32_e32 v7, v61, v5
	v_fmac_f32_e32 v8, v61, v2
	v_fma_f32 v7, v60, v4, -v7
	v_add_f32_e32 v31, v31, v8
	v_mul_f32_e32 v8, v60, v5
	v_add_f32_e32 v10, v10, v7
	v_mul_f32_e32 v7, v69, v3
	v_fmac_f32_e32 v8, v61, v4
	v_fma_f32 v7, v68, v2, -v7
	v_add_f32_e32 v11, v11, v8
	v_mul_f32_e32 v3, v68, v3
	v_add_f32_e32 v44, v6, v7
	ds_read2_b64 v[6:9], v0 offset0:128 offset1:144
	ds_read_b128 v[58:61], v49 offset:224
	v_fmac_f32_e32 v3, v69, v2
	v_add_f32_e32 v1, v1, v3
	v_mul_f32_e32 v2, v69, v5
	v_mul_f32_e32 v3, v68, v5
	v_fma_f32 v2, v68, v4, -v2
	v_fmac_f32_e32 v3, v69, v4
	v_add_f32_e32 v38, v38, v2
	v_add_f32_e32 v40, v40, v3
	ds_read_b128 v[2:5], v49 offset:240
	ds_read_b128 v[62:65], v49 offset:4320
	s_waitcnt lgkmcnt(2)
	v_mul_f32_e32 v46, v59, v7
	v_fma_f32 v46, v58, v6, -v46
	v_add_f32_e32 v42, v42, v46
	v_mul_f32_e32 v46, v59, v9
	v_fma_f32 v46, v58, v8, -v46
	ds_read2_b64 v[70:73], v0 offset0:160 offset1:176
	v_mul_f32_e32 v48, v58, v7
	v_add_f32_e32 v10, v10, v46
	s_waitcnt lgkmcnt(1)
	v_mul_f32_e32 v46, v63, v7
	v_mul_f32_e32 v7, v62, v7
	v_fmac_f32_e32 v7, v63, v6
	v_add_f32_e32 v1, v1, v7
	v_mul_f32_e32 v7, v63, v9
	v_fmac_f32_e32 v48, v59, v6
	v_fma_f32 v7, v62, v8, -v7
	v_add_f32_e32 v31, v31, v48
	v_mul_f32_e32 v48, v58, v9
	v_mul_f32_e32 v9, v62, v9
	v_add_f32_e32 v38, v38, v7
	s_waitcnt lgkmcnt(0)
	v_mul_f32_e32 v7, v61, v71
	v_fmac_f32_e32 v48, v59, v8
	v_fmac_f32_e32 v9, v63, v8
	v_fma_f32 v7, v60, v70, -v7
	v_mul_f32_e32 v8, v60, v71
	v_fmac_f32_e32 v8, v61, v70
	v_add_f32_e32 v42, v42, v7
	v_mul_f32_e32 v7, v61, v73
	v_add_f32_e32 v31, v31, v8
	v_fma_f32 v7, v60, v72, -v7
	v_mul_f32_e32 v8, v60, v73
	v_add_f32_e32 v11, v11, v48
	v_fma_f32 v46, v62, v6, -v46
	v_fmac_f32_e32 v8, v61, v72
	v_add_f32_e32 v10, v10, v7
	v_mul_f32_e32 v7, v65, v71
	v_add_f32_e32 v6, v44, v46
	v_add_f32_e32 v11, v11, v8
	v_fma_f32 v7, v64, v70, -v7
	v_mul_f32_e32 v8, v64, v71
	v_fmac_f32_e32 v8, v65, v70
	v_add_f32_e32 v44, v6, v7
	v_mul_f32_e32 v6, v65, v73
	v_add_f32_e32 v40, v40, v9
	v_add_f32_e32 v1, v1, v8
	v_fma_f32 v46, v64, v72, -v6
	ds_read2_b64 v[6:9], v0 offset0:192 offset1:208
	ds_read_b128 v[66:69], v49 offset:4336
	v_add_f32_e32 v38, v38, v46
	v_mul_f32_e32 v48, v64, v73
	v_fmac_f32_e32 v48, v65, v72
	s_waitcnt lgkmcnt(1)
	v_mul_f32_e32 v46, v3, v7
	v_fma_f32 v46, v2, v6, -v46
	v_add_f32_e32 v42, v42, v46
	v_mul_f32_e32 v46, v3, v9
	v_add_f32_e32 v40, v40, v48
	v_mul_f32_e32 v48, v2, v7
	v_fma_f32 v46, v2, v8, -v46
	v_mul_f32_e32 v2, v2, v9
	v_fmac_f32_e32 v48, v3, v6
	v_fmac_f32_e32 v2, v3, v8
	s_waitcnt lgkmcnt(0)
	v_mul_f32_e32 v3, v66, v7
	v_add_f32_e32 v11, v11, v2
	v_mul_f32_e32 v2, v67, v7
	v_fmac_f32_e32 v3, v67, v6
	v_fma_f32 v2, v66, v6, -v2
	v_add_f32_e32 v7, v1, v3
	v_mul_f32_e32 v1, v67, v9
	v_add_f32_e32 v6, v44, v2
	v_fma_f32 v44, v66, v8, -v1
	ds_read2_b64 v[0:3], v0 offset0:224 offset1:240
	v_mul_f32_e32 v9, v66, v9
	v_fmac_f32_e32 v9, v67, v8
	v_add_f32_e32 v9, v40, v9
	v_add_f32_e32 v31, v31, v48
	s_waitcnt lgkmcnt(0)
	v_mul_f32_e32 v40, v4, v1
	v_fmac_f32_e32 v40, v5, v0
	v_add_f32_e32 v8, v38, v44
	v_mul_f32_e32 v38, v5, v1
	v_add_f32_e32 v52, v31, v40
	v_mul_f32_e32 v31, v5, v3
	v_fma_f32 v38, v4, v0, -v38
	v_fma_f32 v31, v4, v2, -v31
	v_mul_f32_e32 v4, v4, v3
	v_fmac_f32_e32 v4, v5, v2
	v_add_f32_e32 v48, v11, v4
	v_mul_f32_e32 v4, v69, v1
	v_mul_f32_e32 v1, v68, v1
	s_add_u32 s26, s26, 32
	v_fmac_f32_e32 v1, v69, v0
	s_addc_u32 s27, s27, 0
	v_fma_f32 v4, v68, v0, -v4
	v_add_f32_e32 v44, v7, v1
	v_mul_f32_e32 v0, v69, v3
	v_mul_f32_e32 v1, v68, v3
	s_add_u32 s20, s20, 0x100
	v_add_f32_e32 v10, v10, v46
	v_fma_f32 v0, v68, v2, -v0
	v_fmac_f32_e32 v1, v69, v2
	s_addc_u32 s21, s21, 0
	v_add_f32_e32 v50, v42, v38
	v_add_f32_e32 v46, v10, v31
	;; [unrolled: 1-line block ×5, first 2 shown]
	s_cmp_ge_i32 s26, s6
	s_barrier
	s_cbranch_scc1 .LBB76_55
.LBB76_7:                               ;   Parent Loop BB76_4 Depth=1
                                        ; =>  This Inner Loop Header: Depth=2
	v_mov_b32_e32 v0, s27
	v_add_co_u32_e64 v2, s[10:11], s26, v12
	v_addc_co_u32_e64 v3, s[10:11], v13, v0, s[10:11]
	v_mov_b32_e32 v1, s21
	v_add_co_u32_e64 v0, s[10:11], s20, v41
	v_addc_co_u32_e64 v1, s[10:11], v43, v1, s[10:11]
	v_cmp_eq_u64_e64 s[10:11], s[26:27], v[20:21]
	v_cmp_le_i64_e64 s[12:13], s[40:41], v[2:3]
	s_and_b64 s[38:39], s[22:23], s[10:11]
	v_cmp_lt_i64_e64 s[10:11], v[2:3], v[14:15]
	s_or_b64 s[16:17], s[12:13], s[10:11]
	s_or_b64 s[16:17], s[16:17], s[38:39]
	;; [unrolled: 1-line block ×3, first 2 shown]
	s_xor_b64 s[16:17], s[16:17], -1
	s_and_saveexec_b64 s[28:29], s[16:17]
	s_xor_b64 s[16:17], exec, s[28:29]
	s_cbranch_execz .LBB76_9
; %bb.8:                                ;   in Loop: Header=BB76_7 Depth=2
	global_load_dwordx2 v[4:5], v[0:1], off
	s_waitcnt vmcnt(0)
	ds_write_b64 v47, v[4:5]
.LBB76_9:                               ;   in Loop: Header=BB76_7 Depth=2
	s_or_saveexec_b64 s[16:17], s[16:17]
	s_xor_b64 s[28:29], s[38:39], -1
	s_xor_b64 exec, exec, s[16:17]
	s_cbranch_execz .LBB76_15
; %bb.10:                               ;   in Loop: Header=BB76_7 Depth=2
	s_and_saveexec_b64 s[46:47], s[28:29]
	s_xor_b64 s[46:47], exec, s[46:47]
	s_cbranch_execz .LBB76_12
; %bb.11:                               ;   in Loop: Header=BB76_7 Depth=2
	v_mov_b32_e32 v4, v33
	v_mov_b32_e32 v5, v33
	ds_write_b64 v47, v[4:5]
.LBB76_12:                              ;   in Loop: Header=BB76_7 Depth=2
	s_andn2_saveexec_b64 s[46:47], s[46:47]
	s_cbranch_execz .LBB76_14
; %bb.13:                               ;   in Loop: Header=BB76_7 Depth=2
	ds_write_b64 v47, v[32:33]
.LBB76_14:                              ;   in Loop: Header=BB76_7 Depth=2
	s_or_b64 exec, exec, s[46:47]
.LBB76_15:                              ;   in Loop: Header=BB76_7 Depth=2
	s_or_b64 exec, exec, s[16:17]
	v_cmp_eq_u64_e64 s[16:17], s[26:27], v[22:23]
	s_and_b64 s[46:47], s[22:23], s[16:17]
	v_cmp_gt_i64_e64 s[16:17], v[16:17], v[2:3]
	s_or_b64 s[12:13], s[12:13], s[16:17]
	s_or_b64 s[12:13], s[12:13], s[46:47]
	;; [unrolled: 1-line block ×3, first 2 shown]
	s_xor_b64 s[12:13], s[12:13], -1
	s_and_saveexec_b64 s[16:17], s[12:13]
	s_xor_b64 s[16:17], exec, s[16:17]
	s_cbranch_execz .LBB76_17
; %bb.16:                               ;   in Loop: Header=BB76_7 Depth=2
	v_mov_b32_e32 v5, s21
	v_add_co_u32_e64 v4, s[12:13], s20, v53
	v_addc_co_u32_e64 v5, s[12:13], v54, v5, s[12:13]
	global_load_dwordx2 v[4:5], v[4:5], off
	s_waitcnt vmcnt(0)
	ds_write_b64 v47, v[4:5] offset:128
.LBB76_17:                              ;   in Loop: Header=BB76_7 Depth=2
	s_andn2_saveexec_b64 s[12:13], s[16:17]
	s_cbranch_execz .LBB76_23
; %bb.18:                               ;   in Loop: Header=BB76_7 Depth=2
	s_xor_b64 s[16:17], s[46:47], -1
	s_and_saveexec_b64 s[46:47], s[16:17]
	s_xor_b64 s[16:17], exec, s[46:47]
	s_cbranch_execz .LBB76_20
; %bb.19:                               ;   in Loop: Header=BB76_7 Depth=2
	v_mov_b32_e32 v4, v33
	v_mov_b32_e32 v5, v33
	ds_write_b64 v47, v[4:5] offset:128
.LBB76_20:                              ;   in Loop: Header=BB76_7 Depth=2
	s_andn2_saveexec_b64 s[16:17], s[16:17]
	s_cbranch_execz .LBB76_22
; %bb.21:                               ;   in Loop: Header=BB76_7 Depth=2
	ds_write_b64 v47, v[32:33] offset:128
.LBB76_22:                              ;   in Loop: Header=BB76_7 Depth=2
	s_or_b64 exec, exec, s[16:17]
.LBB76_23:                              ;   in Loop: Header=BB76_7 Depth=2
	s_or_b64 exec, exec, s[12:13]
	v_add_co_u32_e64 v2, s[12:13], 16, v2
	v_addc_co_u32_e64 v3, s[12:13], 0, v3, s[12:13]
	v_cmp_eq_u64_e64 s[16:17], s[26:27], v[24:25]
	v_cmp_le_i64_e64 s[12:13], s[40:41], v[2:3]
	s_and_b64 s[46:47], s[22:23], s[16:17]
	v_cmp_lt_i64_e64 s[16:17], v[2:3], v[14:15]
	s_or_b64 s[16:17], s[12:13], s[16:17]
	s_or_b64 s[16:17], s[16:17], s[46:47]
	;; [unrolled: 1-line block ×3, first 2 shown]
	s_xor_b64 s[16:17], s[16:17], -1
	s_and_saveexec_b64 s[52:53], s[16:17]
	s_xor_b64 s[16:17], exec, s[52:53]
	s_cbranch_execz .LBB76_25
; %bb.24:                               ;   in Loop: Header=BB76_7 Depth=2
	global_load_dwordx2 v[0:1], v[0:1], off offset:128
	s_waitcnt vmcnt(0)
	ds_write_b64 v47, v[0:1] offset:4096
.LBB76_25:                              ;   in Loop: Header=BB76_7 Depth=2
	s_andn2_saveexec_b64 s[16:17], s[16:17]
	s_cbranch_execz .LBB76_31
; %bb.26:                               ;   in Loop: Header=BB76_7 Depth=2
	s_xor_b64 s[46:47], s[46:47], -1
	s_and_saveexec_b64 s[52:53], s[46:47]
	s_xor_b64 s[46:47], exec, s[52:53]
	s_cbranch_execz .LBB76_28
; %bb.27:                               ;   in Loop: Header=BB76_7 Depth=2
	v_mov_b32_e32 v0, v33
	v_mov_b32_e32 v1, v33
	ds_write_b64 v47, v[0:1] offset:4096
.LBB76_28:                              ;   in Loop: Header=BB76_7 Depth=2
	s_andn2_saveexec_b64 s[46:47], s[46:47]
	s_cbranch_execz .LBB76_30
; %bb.29:                               ;   in Loop: Header=BB76_7 Depth=2
	ds_write_b64 v47, v[32:33] offset:4096
.LBB76_30:                              ;   in Loop: Header=BB76_7 Depth=2
	s_or_b64 exec, exec, s[46:47]
.LBB76_31:                              ;   in Loop: Header=BB76_7 Depth=2
	s_or_b64 exec, exec, s[16:17]
	s_or_b64 s[10:11], s[12:13], s[10:11]
	s_or_b64 s[10:11], s[10:11], s[38:39]
	;; [unrolled: 1-line block ×3, first 2 shown]
	s_xor_b64 s[10:11], s[10:11], -1
	s_and_saveexec_b64 s[12:13], s[10:11]
	s_xor_b64 s[12:13], exec, s[12:13]
	s_cbranch_execz .LBB76_33
; %bb.32:                               ;   in Loop: Header=BB76_7 Depth=2
	v_mov_b32_e32 v1, s21
	v_add_co_u32_e64 v0, s[10:11], s20, v53
	v_addc_co_u32_e64 v1, s[10:11], v54, v1, s[10:11]
	global_load_dwordx2 v[0:1], v[0:1], off offset:128
	s_waitcnt vmcnt(0)
	ds_write_b64 v47, v[0:1] offset:4224
.LBB76_33:                              ;   in Loop: Header=BB76_7 Depth=2
	s_andn2_saveexec_b64 s[10:11], s[12:13]
	s_cbranch_execz .LBB76_39
; %bb.34:                               ;   in Loop: Header=BB76_7 Depth=2
	s_and_saveexec_b64 s[12:13], s[28:29]
	s_xor_b64 s[12:13], exec, s[12:13]
	s_cbranch_execz .LBB76_36
; %bb.35:                               ;   in Loop: Header=BB76_7 Depth=2
	v_mov_b32_e32 v0, v33
	v_mov_b32_e32 v1, v33
	ds_write_b64 v47, v[0:1] offset:4224
.LBB76_36:                              ;   in Loop: Header=BB76_7 Depth=2
	s_andn2_saveexec_b64 s[12:13], s[12:13]
	s_cbranch_execz .LBB76_38
; %bb.37:                               ;   in Loop: Header=BB76_7 Depth=2
	ds_write_b64 v47, v[32:33] offset:4224
.LBB76_38:                              ;   in Loop: Header=BB76_7 Depth=2
	s_or_b64 exec, exec, s[12:13]
.LBB76_39:                              ;   in Loop: Header=BB76_7 Depth=2
	s_or_b64 exec, exec, s[10:11]
	v_mov_b32_e32 v1, s27
	v_add_co_u32_e64 v0, s[10:11], s26, v14
	v_addc_co_u32_e64 v1, s[10:11], v15, v1, s[10:11]
	v_cmp_gt_i64_e64 s[10:11], s[40:41], v[0:1]
	s_and_b64 s[12:13], vcc, s[10:11]
	s_xor_b64 s[12:13], s[12:13], -1
	s_and_saveexec_b64 s[16:17], s[12:13]
	s_xor_b64 s[12:13], exec, s[16:17]
	s_cbranch_execz .LBB76_41
; %bb.40:                               ;   in Loop: Header=BB76_7 Depth=2
	v_mov_b32_e32 v2, v33
	v_mov_b32_e32 v3, v33
	ds_write_b64 v51, v[2:3]
.LBB76_41:                              ;   in Loop: Header=BB76_7 Depth=2
	s_or_saveexec_b64 s[16:17], s[12:13]
	v_mov_b32_e32 v3, s21
	v_add_co_u32_e64 v2, s[12:13], s20, v34
	v_addc_co_u32_e64 v3, s[12:13], v35, v3, s[12:13]
	s_xor_b64 exec, exec, s[16:17]
	s_cbranch_execz .LBB76_43
; %bb.42:                               ;   in Loop: Header=BB76_7 Depth=2
	global_load_dwordx2 v[4:5], v[2:3], off offset:-128
	s_waitcnt vmcnt(0)
	ds_write_b64 v51, v[4:5]
.LBB76_43:                              ;   in Loop: Header=BB76_7 Depth=2
	s_or_b64 exec, exec, s[16:17]
	v_cmp_gt_i64_e64 s[12:13], s[42:43], v[0:1]
	s_and_b64 s[16:17], vcc, s[12:13]
	s_xor_b64 s[16:17], s[16:17], -1
	s_and_saveexec_b64 s[28:29], s[16:17]
	s_xor_b64 s[16:17], exec, s[28:29]
	s_cbranch_execz .LBB76_45
; %bb.44:                               ;   in Loop: Header=BB76_7 Depth=2
	v_mov_b32_e32 v0, v33
	v_mov_b32_e32 v1, v33
	ds_write_b64 v51, v[0:1] offset:128
                                        ; implicit-def: $vgpr2_vgpr3
.LBB76_45:                              ;   in Loop: Header=BB76_7 Depth=2
	s_andn2_saveexec_b64 s[16:17], s[16:17]
	s_cbranch_execz .LBB76_47
; %bb.46:                               ;   in Loop: Header=BB76_7 Depth=2
	global_load_dwordx2 v[0:1], v[2:3], off
	s_waitcnt vmcnt(0)
	ds_write_b64 v51, v[0:1] offset:128
.LBB76_47:                              ;   in Loop: Header=BB76_7 Depth=2
	s_or_b64 exec, exec, s[16:17]
	s_and_b64 s[10:11], s[8:9], s[10:11]
	s_xor_b64 s[10:11], s[10:11], -1
	s_and_saveexec_b64 s[16:17], s[10:11]
	s_xor_b64 s[10:11], exec, s[16:17]
	s_cbranch_execz .LBB76_49
; %bb.48:                               ;   in Loop: Header=BB76_7 Depth=2
	v_mov_b32_e32 v0, v33
	v_mov_b32_e32 v1, v33
	ds_write_b64 v51, v[0:1] offset:4096
.LBB76_49:                              ;   in Loop: Header=BB76_7 Depth=2
	s_andn2_saveexec_b64 s[16:17], s[10:11]
	s_cbranch_execz .LBB76_51
; %bb.50:                               ;   in Loop: Header=BB76_7 Depth=2
	v_mov_b32_e32 v1, s21
	v_add_co_u32_e64 v0, s[10:11], s20, v36
	v_addc_co_u32_e64 v1, s[10:11], v37, v1, s[10:11]
	global_load_dwordx2 v[0:1], v[0:1], off offset:-128
	s_waitcnt vmcnt(0)
	ds_write_b64 v51, v[0:1] offset:4096
.LBB76_51:                              ;   in Loop: Header=BB76_7 Depth=2
	s_or_b64 exec, exec, s[16:17]
	s_and_b64 s[10:11], s[8:9], s[12:13]
	s_xor_b64 s[10:11], s[10:11], -1
	s_and_saveexec_b64 s[12:13], s[10:11]
	s_xor_b64 s[10:11], exec, s[12:13]
	s_cbranch_execz .LBB76_53
; %bb.52:                               ;   in Loop: Header=BB76_7 Depth=2
	v_mov_b32_e32 v0, v33
	v_mov_b32_e32 v1, v33
	ds_write_b64 v51, v[0:1] offset:4224
.LBB76_53:                              ;   in Loop: Header=BB76_7 Depth=2
	s_andn2_saveexec_b64 s[12:13], s[10:11]
	s_cbranch_execz .LBB76_6
; %bb.54:                               ;   in Loop: Header=BB76_7 Depth=2
	v_mov_b32_e32 v1, s21
	v_add_co_u32_e64 v0, s[10:11], s20, v36
	v_addc_co_u32_e64 v1, s[10:11], v37, v1, s[10:11]
	global_load_dwordx2 v[0:1], v[0:1], off
	s_waitcnt vmcnt(0)
	ds_write_b64 v51, v[0:1] offset:4224
	s_branch .LBB76_6
.LBB76_55:                              ;   in Loop: Header=BB76_4 Depth=1
	v_mul_lo_u32 v2, v56, s44
	v_mul_lo_u32 v3, v55, s45
	v_mad_u64_u32 v[0:1], s[8:9], v55, s44, 0
	v_add3_u32 v1, v1, v3, v2
	v_lshlrev_b64 v[0:1], 3, v[0:1]
	v_mov_b32_e32 v2, s49
	v_add_co_u32_e64 v0, s[8:9], s48, v0
	v_cmp_gt_i32_e32 vcc, s30, v55
	v_addc_co_u32_e64 v1, s[8:9], v2, v1, s[8:9]
	s_and_b64 s[8:9], s[4:5], vcc
	s_and_saveexec_b64 s[10:11], s[8:9]
	s_cbranch_execz .LBB76_57
; %bb.56:                               ;   in Loop: Header=BB76_4 Depth=1
	v_add_co_u32_e64 v2, s[8:9], v0, v26
	v_addc_co_u32_e64 v3, s[8:9], v1, v27, s[8:9]
	global_load_dwordx2 v[4:5], v[2:3], off
	v_pk_mul_f32 v[6:7], v[52:53], s[34:35] op_sel_hi:[0,1]
	v_pk_fma_f32 v[8:9], v[50:51], s[34:35], v[6:7] op_sel:[0,0,1] op_sel_hi:[1,1,0] neg_lo:[0,0,1] neg_hi:[0,0,1]
	v_pk_fma_f32 v[6:7], v[50:51], s[34:35], v[6:7] op_sel:[0,0,1] op_sel_hi:[0,1,0]
	v_mov_b32_e32 v9, v7
	s_waitcnt vmcnt(0)
	v_pk_add_f32 v[4:5], v[4:5], v[8:9]
	global_store_dwordx2 v[2:3], v[4:5], off
.LBB76_57:                              ;   in Loop: Header=BB76_4 Depth=1
	s_or_b64 exec, exec, s[10:11]
	s_and_b64 s[10:11], s[14:15], vcc
	s_and_saveexec_b64 s[8:9], s[10:11]
	s_cbranch_execz .LBB76_59
; %bb.58:                               ;   in Loop: Header=BB76_4 Depth=1
	v_lshlrev_b64 v[2:3], 3, v[18:19]
	v_add_co_u32_e32 v0, vcc, v0, v2
	v_addc_co_u32_e32 v1, vcc, v1, v3, vcc
	global_load_dwordx2 v[2:3], v[0:1], off
	v_pk_mul_f32 v[4:5], v[48:49], s[34:35] op_sel_hi:[0,1]
	v_pk_fma_f32 v[6:7], v[46:47], s[34:35], v[4:5] op_sel:[0,0,1] op_sel_hi:[1,1,0] neg_lo:[0,0,1] neg_hi:[0,0,1]
	v_pk_fma_f32 v[4:5], v[46:47], s[34:35], v[4:5] op_sel:[0,0,1] op_sel_hi:[0,1,0]
	v_mov_b32_e32 v7, v5
	s_waitcnt vmcnt(0)
	v_pk_add_f32 v[2:3], v[2:3], v[6:7]
	global_store_dwordx2 v[0:1], v[2:3], off
.LBB76_59:                              ;   in Loop: Header=BB76_4 Depth=1
	s_or_b64 exec, exec, s[8:9]
	v_add_u32_e32 v0, 16, v55
	v_ashrrev_i32_e32 v1, 31, v0
	v_cmp_gt_i32_e32 vcc, s30, v0
	v_mul_lo_u32 v2, v1, s44
	v_mul_lo_u32 v3, v0, s45
	v_mad_u64_u32 v[0:1], s[8:9], v0, s44, 0
	v_add3_u32 v1, v1, v3, v2
	v_lshlrev_b64 v[0:1], 3, v[0:1]
	v_mov_b32_e32 v2, s49
	v_add_co_u32_e64 v0, s[8:9], s48, v0
	v_addc_co_u32_e64 v1, s[8:9], v2, v1, s[8:9]
	s_and_b64 s[8:9], s[4:5], vcc
	s_and_saveexec_b64 s[10:11], s[8:9]
	s_cbranch_execz .LBB76_61
; %bb.60:                               ;   in Loop: Header=BB76_4 Depth=1
	v_add_co_u32_e64 v2, s[8:9], v0, v26
	v_addc_co_u32_e64 v3, s[8:9], v1, v27, s[8:9]
	global_load_dwordx2 v[4:5], v[2:3], off
	v_pk_mul_f32 v[6:7], v[44:45], s[34:35] op_sel_hi:[0,1]
	v_pk_fma_f32 v[8:9], v[42:43], s[34:35], v[6:7] op_sel:[0,0,1] op_sel_hi:[1,1,0] neg_lo:[0,0,1] neg_hi:[0,0,1]
	v_pk_fma_f32 v[6:7], v[42:43], s[34:35], v[6:7] op_sel:[0,0,1] op_sel_hi:[0,1,0]
	v_mov_b32_e32 v9, v7
	s_waitcnt vmcnt(0)
	v_pk_add_f32 v[4:5], v[4:5], v[8:9]
	global_store_dwordx2 v[2:3], v[4:5], off
.LBB76_61:                              ;   in Loop: Header=BB76_4 Depth=1
	s_or_b64 exec, exec, s[10:11]
	s_and_b64 s[10:11], s[14:15], vcc
	s_and_saveexec_b64 s[8:9], s[10:11]
	s_cbranch_execz .LBB76_3
; %bb.62:                               ;   in Loop: Header=BB76_4 Depth=1
	v_lshlrev_b64 v[2:3], 3, v[18:19]
	v_add_co_u32_e32 v0, vcc, v0, v2
	v_addc_co_u32_e32 v1, vcc, v1, v3, vcc
	global_load_dwordx2 v[2:3], v[0:1], off
	v_pk_mul_f32 v[4:5], v[38:39], s[34:35] op_sel_hi:[0,1]
	v_pk_fma_f32 v[6:7], v[40:41], s[34:35], v[4:5] op_sel:[0,0,1] op_sel_hi:[1,1,0] neg_lo:[0,0,1] neg_hi:[0,0,1]
	v_pk_fma_f32 v[4:5], v[40:41], s[34:35], v[4:5] op_sel:[0,0,1] op_sel_hi:[0,1,0]
	v_mov_b32_e32 v7, v5
	s_waitcnt vmcnt(0)
	v_pk_add_f32 v[2:3], v[2:3], v[6:7]
	global_store_dwordx2 v[0:1], v[2:3], off
	s_branch .LBB76_3
.LBB76_63:
	s_endpgm
	.section	.rodata,"a",@progbits
	.p2align	6, 0x0
	.amdhsa_kernel _ZL30rocblas_trmm_outofplace_kernelI19rocblas_complex_numIfELi32ELi2ELb1ELb0ELb1ELb0EPKS1_S2_S1_Ev17rocblas_diagonal_iiT6_lPT7_lllS7_lllPT8_llli
		.amdhsa_group_segment_fixed_size 16384
		.amdhsa_private_segment_fixed_size 0
		.amdhsa_kernarg_size 392
		.amdhsa_user_sgpr_count 6
		.amdhsa_user_sgpr_private_segment_buffer 1
		.amdhsa_user_sgpr_dispatch_ptr 0
		.amdhsa_user_sgpr_queue_ptr 0
		.amdhsa_user_sgpr_kernarg_segment_ptr 1
		.amdhsa_user_sgpr_dispatch_id 0
		.amdhsa_user_sgpr_flat_scratch_init 0
		.amdhsa_user_sgpr_kernarg_preload_length 0
		.amdhsa_user_sgpr_kernarg_preload_offset 0
		.amdhsa_user_sgpr_private_segment_size 0
		.amdhsa_uses_dynamic_stack 0
		.amdhsa_system_sgpr_private_segment_wavefront_offset 0
		.amdhsa_system_sgpr_workgroup_id_x 1
		.amdhsa_system_sgpr_workgroup_id_y 1
		.amdhsa_system_sgpr_workgroup_id_z 1
		.amdhsa_system_sgpr_workgroup_info 0
		.amdhsa_system_vgpr_workitem_id 1
		.amdhsa_next_free_vgpr 78
		.amdhsa_next_free_sgpr 54
		.amdhsa_accum_offset 80
		.amdhsa_reserve_vcc 1
		.amdhsa_reserve_flat_scratch 0
		.amdhsa_float_round_mode_32 0
		.amdhsa_float_round_mode_16_64 0
		.amdhsa_float_denorm_mode_32 3
		.amdhsa_float_denorm_mode_16_64 3
		.amdhsa_dx10_clamp 1
		.amdhsa_ieee_mode 1
		.amdhsa_fp16_overflow 0
		.amdhsa_tg_split 0
		.amdhsa_exception_fp_ieee_invalid_op 0
		.amdhsa_exception_fp_denorm_src 0
		.amdhsa_exception_fp_ieee_div_zero 0
		.amdhsa_exception_fp_ieee_overflow 0
		.amdhsa_exception_fp_ieee_underflow 0
		.amdhsa_exception_fp_ieee_inexact 0
		.amdhsa_exception_int_div_zero 0
	.end_amdhsa_kernel
	.section	.text._ZL30rocblas_trmm_outofplace_kernelI19rocblas_complex_numIfELi32ELi2ELb1ELb0ELb1ELb0EPKS1_S2_S1_Ev17rocblas_diagonal_iiT6_lPT7_lllS7_lllPT8_llli,"axG",@progbits,_ZL30rocblas_trmm_outofplace_kernelI19rocblas_complex_numIfELi32ELi2ELb1ELb0ELb1ELb0EPKS1_S2_S1_Ev17rocblas_diagonal_iiT6_lPT7_lllS7_lllPT8_llli,comdat
.Lfunc_end76:
	.size	_ZL30rocblas_trmm_outofplace_kernelI19rocblas_complex_numIfELi32ELi2ELb1ELb0ELb1ELb0EPKS1_S2_S1_Ev17rocblas_diagonal_iiT6_lPT7_lllS7_lllPT8_llli, .Lfunc_end76-_ZL30rocblas_trmm_outofplace_kernelI19rocblas_complex_numIfELi32ELi2ELb1ELb0ELb1ELb0EPKS1_S2_S1_Ev17rocblas_diagonal_iiT6_lPT7_lllS7_lllPT8_llli
                                        ; -- End function
	.section	.AMDGPU.csdata,"",@progbits
; Kernel info:
; codeLenInByte = 6680
; NumSgprs: 58
; NumVgprs: 78
; NumAgprs: 0
; TotalNumVgprs: 78
; ScratchSize: 0
; MemoryBound: 1
; FloatMode: 240
; IeeeMode: 1
; LDSByteSize: 16384 bytes/workgroup (compile time only)
; SGPRBlocks: 7
; VGPRBlocks: 9
; NumSGPRsForWavesPerEU: 58
; NumVGPRsForWavesPerEU: 78
; AccumOffset: 80
; Occupancy: 6
; WaveLimiterHint : 0
; COMPUTE_PGM_RSRC2:SCRATCH_EN: 0
; COMPUTE_PGM_RSRC2:USER_SGPR: 6
; COMPUTE_PGM_RSRC2:TRAP_HANDLER: 0
; COMPUTE_PGM_RSRC2:TGID_X_EN: 1
; COMPUTE_PGM_RSRC2:TGID_Y_EN: 1
; COMPUTE_PGM_RSRC2:TGID_Z_EN: 1
; COMPUTE_PGM_RSRC2:TIDIG_COMP_CNT: 1
; COMPUTE_PGM_RSRC3_GFX90A:ACCUM_OFFSET: 19
; COMPUTE_PGM_RSRC3_GFX90A:TG_SPLIT: 0
	.section	.text._ZL30rocblas_trmm_outofplace_kernelI19rocblas_complex_numIfELi32ELi2ELb1ELb0ELb1ELb0ES1_KS1_S1_Ev17rocblas_diagonal_iiT6_lPT7_lllS6_lllPT8_llli,"axG",@progbits,_ZL30rocblas_trmm_outofplace_kernelI19rocblas_complex_numIfELi32ELi2ELb1ELb0ELb1ELb0ES1_KS1_S1_Ev17rocblas_diagonal_iiT6_lPT7_lllS6_lllPT8_llli,comdat
	.globl	_ZL30rocblas_trmm_outofplace_kernelI19rocblas_complex_numIfELi32ELi2ELb1ELb0ELb1ELb0ES1_KS1_S1_Ev17rocblas_diagonal_iiT6_lPT7_lllS6_lllPT8_llli ; -- Begin function _ZL30rocblas_trmm_outofplace_kernelI19rocblas_complex_numIfELi32ELi2ELb1ELb0ELb1ELb0ES1_KS1_S1_Ev17rocblas_diagonal_iiT6_lPT7_lllS6_lllPT8_llli
	.p2align	8
	.type	_ZL30rocblas_trmm_outofplace_kernelI19rocblas_complex_numIfELi32ELi2ELb1ELb0ELb1ELb0ES1_KS1_S1_Ev17rocblas_diagonal_iiT6_lPT7_lllS6_lllPT8_llli,@function
_ZL30rocblas_trmm_outofplace_kernelI19rocblas_complex_numIfELi32ELi2ELb1ELb0ELb1ELb0ES1_KS1_S1_Ev17rocblas_diagonal_iiT6_lPT7_lllS6_lllPT8_llli: ; @_ZL30rocblas_trmm_outofplace_kernelI19rocblas_complex_numIfELi32ELi2ELb1ELb0ELb1ELb0ES1_KS1_S1_Ev17rocblas_diagonal_iiT6_lPT7_lllS6_lllPT8_llli
; %bb.0:
	s_load_dwordx4 s[28:31], s[4:5], 0x0
	s_load_dword s35, s[4:5], 0x10
	s_waitcnt lgkmcnt(0)
	s_or_b32 s0, s31, s35
	s_bitset0_b32 s0, 31
	s_cmp_eq_u32 s0, 0
	s_cbranch_scc1 .LBB77_63
; %bb.1:
	s_add_i32 s0, s30, -1
	s_ashr_i32 s1, s0, 31
	s_lshr_b32 s1, s1, 27
	s_add_i32 s0, s0, s1
	s_ashr_i32 s33, s0, 5
	s_cmp_gt_i32 s7, s33
	s_cbranch_scc1 .LBB77_63
; %bb.2:
	s_load_dwordx16 s[12:27], s[4:5], 0x20
	s_load_dwordx8 s[36:43], s[4:5], 0x60
	s_mov_b32 s34, s31
	v_and_b32_e32 v2, 0x3ff, v0
	v_bfe_u32 v39, v0, 10, 10
	s_waitcnt lgkmcnt(0)
	s_mul_i32 s0, s8, s19
	s_mul_hi_u32 s1, s8, s18
	s_add_i32 s1, s1, s0
	s_mul_i32 s0, s8, s18
	s_lshl_b64 s[10:11], s[0:1], 3
	s_add_u32 s0, s12, s10
	s_addc_u32 s1, s13, s11
	s_lshl_b64 s[44:45], s[14:15], 3
	s_add_u32 s2, s0, s44
	s_addc_u32 s3, s1, s45
	s_mul_i32 s0, s8, s43
	s_mul_hi_u32 s1, s8, s42
	s_add_i32 s1, s1, s0
	s_mul_i32 s0, s8, s42
	s_lshl_b64 s[0:1], s[0:1], 3
	s_add_u32 s9, s36, s0
	s_addc_u32 s14, s37, s1
	s_lshl_b64 s[0:1], s[38:39], 3
	s_add_u32 s31, s9, s0
	s_addc_u32 s48, s14, s1
	s_lshl_b32 s6, s6, 5
	v_add_u32_e32 v14, s6, v2
	v_ashrrev_i32_e32 v15, 31, v14
	v_mul_lo_u32 v3, v15, s16
	v_mul_lo_u32 v4, v14, s17
	v_mad_u64_u32 v[0:1], s[0:1], v14, s16, 0
	v_add3_u32 v1, v1, v4, v3
	v_add_u32_e32 v12, s6, v39
	v_lshlrev_b64 v[0:1], 3, v[0:1]
	v_ashrrev_i32_e32 v13, 31, v12
	v_mov_b32_e32 v3, s3
	v_add_co_u32_e32 v4, vcc, s2, v0
	v_addc_co_u32_e32 v3, vcc, v3, v1, vcc
	v_lshlrev_b64 v[0:1], 3, v[12:13]
	v_add_co_u32_e32 v41, vcc, v4, v0
	s_sub_i32 s6, s29, s6
	v_addc_co_u32_e32 v43, vcc, v3, v1, vcc
	s_cmp_gt_i32 s6, 0
	s_cselect_b64 s[18:19], -1, 0
	s_cmpk_eq_i32 s28, 0x84
	v_add_co_u32_e32 v16, vcc, 16, v14
	s_cselect_b64 s[36:37], -1, 0
	s_ashr_i32 s39, s29, 31
	s_ashr_i32 s49, s30, 31
	v_addc_co_u32_e32 v17, vcc, 0, v15, vcc
	s_add_u32 s42, s29, -16
	v_sub_co_u32_e32 v20, vcc, v14, v12
	s_mul_i32 s9, s27, s8
	s_mul_hi_u32 s27, s26, s8
	s_addc_u32 s43, s39, -1
	v_subb_co_u32_e32 v21, vcc, v15, v13, vcc
	s_add_i32 s9, s27, s9
	s_mul_i32 s8, s26, s8
	s_load_dword s50, s[4:5], 0x8c
	v_add_co_u32_e32 v22, vcc, 16, v20
	s_lshl_b64 s[8:9], s[8:9], 3
	s_lshl_b64 s[22:23], s[22:23], 3
	v_addc_co_u32_e32 v23, vcc, 0, v21, vcc
	s_add_u32 s8, s8, s22
	v_add_co_u32_e32 v24, vcc, -16, v20
	s_addc_u32 s9, s9, s23
	v_addc_co_u32_e32 v25, vcc, -1, v21, vcc
	v_lshlrev_b64 v[26:27], 3, v[14:15]
	s_add_u32 s8, s20, s8
	s_movk_i32 s20, 0x80
	v_add_co_u32_e32 v4, vcc, s20, v26
	v_lshlrev_b32_e32 v45, 3, v2
	s_addc_u32 s9, s21, s9
	v_addc_co_u32_e32 v2, vcc, 0, v27, vcc
	s_lshl_b64 s[20:21], s[24:25], 3
	s_waitcnt lgkmcnt(0)
	s_lshl_b32 s51, s50, 5
	v_lshlrev_b32_e32 v3, 8, v39
	v_add_co_u32_e32 v28, vcc, s8, v4
	s_add_u32 s8, s44, s10
	v_add_u32_e32 v47, v45, v3
	v_add_u32_e32 v49, 0x2000, v3
	v_mov_b32_e32 v3, s9
	s_addc_u32 s9, s45, s11
	v_addc_co_u32_e32 v29, vcc, v2, v3, vcc
	v_mul_lo_u32 v5, s16, v2
	v_pk_mov_b32 v[2:3], s[8:9], s[8:9] op_sel:[0,1]
	v_mul_lo_u32 v6, s17, v4
	v_mad_u64_u32 v[2:3], s[8:9], s16, v4, v[2:3]
	v_add3_u32 v3, v6, v3, v5
	v_add_co_u32_e32 v0, vcc, v2, v0
	v_addc_co_u32_e32 v1, vcc, v3, v1, vcc
	s_mov_b32 s38, s29
	v_add_u32_e32 v18, 16, v14
	v_mov_b32_e32 v2, s13
	v_add_co_u32_e32 v53, vcc, s12, v0
	v_cmp_le_i32_e64 s[0:1], s29, v14
	v_cmp_le_i64_e64 s[2:3], s[38:39], v[16:17]
	v_add_u32_e32 v51, v49, v45
	v_cmp_gt_i32_e64 s[4:5], s29, v14
	v_cmp_gt_i32_e64 s[14:15], s29, v18
	v_ashrrev_i32_e32 v19, 31, v18
	v_lshl_add_u32 v30, s7, 5, v39
	v_addc_co_u32_e32 v54, vcc, v2, v1, vcc
	v_mov_b32_e32 v33, 0
	v_mov_b32_e32 v32, 1.0
	s_branch .LBB77_4
.LBB77_3:                               ;   in Loop: Header=BB77_4 Depth=1
	s_or_b64 exec, exec, s[8:9]
	s_add_i32 s7, s50, s7
	s_cmp_le_i32 s7, s33
	v_add_u32_e32 v30, s51, v30
	s_cbranch_scc0 .LBB77_63
.LBB77_4:                               ; =>This Loop Header: Depth=1
                                        ;     Child Loop BB77_7 Depth 2
	v_lshl_add_u32 v55, s7, 5, v39
	v_ashrrev_i32_e32 v56, 31, v55
	s_andn2_b64 vcc, exec, s[18:19]
	v_mov_b32_e32 v50, v33
	v_mov_b32_e32 v52, v33
	;; [unrolled: 1-line block ×8, first 2 shown]
	s_cbranch_vccnz .LBB77_55
; %bb.5:                                ;   in Loop: Header=BB77_4 Depth=1
	v_ashrrev_i32_e32 v31, 31, v30
	v_mad_u64_u32 v[34:35], s[8:9], s20, v30, v[28:29]
	v_mul_lo_u32 v0, s21, v30
	v_mul_lo_u32 v1, s20, v31
	v_add3_u32 v35, v0, v35, v1
	v_lshlrev_b64 v[0:1], 3, v[30:31]
	v_add_co_u32_e32 v0, vcc, 0x80, v0
	v_addc_co_u32_e32 v1, vcc, 0, v1, vcc
	v_mul_lo_u32 v1, s24, v1
	v_mul_lo_u32 v2, s25, v0
	v_mad_u64_u32 v[36:37], s[8:9], s24, v0, v[28:29]
	v_add3_u32 v37, v2, v37, v1
	v_mov_b32_e32 v1, s49
	v_sub_co_u32_e32 v0, vcc, s30, v55
	v_subb_co_u32_e32 v1, vcc, v1, v56, vcc
	s_mov_b64 s[22:23], 0
	v_cmp_lt_i64_e32 vcc, 0, v[0:1]
	v_cmp_lt_i64_e64 s[8:9], 16, v[0:1]
	v_mov_b32_e32 v38, 0
	s_mov_b64 s[26:27], 0
	v_mov_b32_e32 v40, 0
	v_mov_b32_e32 v44, 0
	;; [unrolled: 1-line block ×7, first 2 shown]
	s_branch .LBB77_7
.LBB77_6:                               ;   in Loop: Header=BB77_7 Depth=2
	s_or_b64 exec, exec, s[12:13]
	s_waitcnt lgkmcnt(0)
	s_barrier
	ds_read2_b64 v[58:61], v45 offset1:16
	ds_read_b128 v[62:65], v49
	ds_read_b128 v[8:11], v49 offset:16
	ds_read_b128 v[4:7], v49 offset:32
	ds_read_b128 v[0:3], v49 offset:48
	ds_read_b128 v[66:69], v49 offset:4096
	ds_read_b128 v[70:73], v49 offset:4112
	s_waitcnt lgkmcnt(5)
	v_mul_f32_e32 v31, v63, v59
	v_mul_f32_e32 v57, v62, v59
	v_fma_f32 v31, v62, v58, -v31
	v_fmac_f32_e32 v57, v63, v58
	v_add_f32_e32 v31, v50, v31
	v_add_f32_e32 v50, v52, v57
	v_mul_f32_e32 v52, v63, v61
	v_fma_f32 v52, v62, v60, -v52
	ds_read2_b64 v[74:77], v45 offset0:32 offset1:48
	v_add_f32_e32 v46, v46, v52
	s_waitcnt lgkmcnt(2)
	v_mul_f32_e32 v52, v67, v59
	v_mul_f32_e32 v57, v62, v61
	v_fma_f32 v52, v66, v58, -v52
	v_fmac_f32_e32 v57, v63, v60
	v_add_f32_e32 v42, v42, v52
	v_mul_f32_e32 v52, v67, v61
	v_add_f32_e32 v48, v48, v57
	v_mul_f32_e32 v57, v66, v59
	v_fma_f32 v52, v66, v60, -v52
	v_fmac_f32_e32 v57, v67, v58
	v_add_f32_e32 v40, v40, v52
	s_waitcnt lgkmcnt(0)
	v_mul_f32_e32 v52, v65, v75
	v_add_f32_e32 v44, v44, v57
	v_mul_f32_e32 v57, v66, v61
	v_fma_f32 v52, v64, v74, -v52
	v_fmac_f32_e32 v57, v67, v60
	v_add_f32_e32 v31, v31, v52
	v_mul_f32_e32 v52, v65, v77
	v_add_f32_e32 v38, v38, v57
	v_mul_f32_e32 v57, v64, v75
	v_fma_f32 v52, v64, v76, -v52
	ds_read2_b64 v[58:61], v45 offset0:64 offset1:80
	v_fmac_f32_e32 v57, v65, v74
	v_add_f32_e32 v46, v46, v52
	v_mul_f32_e32 v52, v69, v75
	v_add_f32_e32 v50, v50, v57
	v_mul_f32_e32 v57, v64, v77
	v_fma_f32 v52, v68, v74, -v52
	v_fmac_f32_e32 v57, v65, v76
	v_add_f32_e32 v42, v42, v52
	v_mul_f32_e32 v52, v69, v77
	v_add_f32_e32 v48, v48, v57
	v_mul_f32_e32 v57, v68, v75
	v_fma_f32 v52, v68, v76, -v52
	v_fmac_f32_e32 v57, v69, v74
	v_add_f32_e32 v40, v40, v52
	s_waitcnt lgkmcnt(0)
	v_mul_f32_e32 v52, v9, v59
	v_add_f32_e32 v44, v44, v57
	v_mul_f32_e32 v57, v68, v77
	v_fma_f32 v52, v8, v58, -v52
	v_fmac_f32_e32 v57, v69, v76
	v_add_f32_e32 v31, v31, v52
	v_mul_f32_e32 v52, v9, v61
	v_add_f32_e32 v38, v38, v57
	v_mul_f32_e32 v57, v8, v59
	v_fma_f32 v52, v8, v60, -v52
	v_mul_f32_e32 v8, v8, v61
	v_fmac_f32_e32 v8, v9, v60
	ds_read2_b64 v[62:65], v45 offset0:96 offset1:112
	v_fmac_f32_e32 v57, v9, v58
	v_add_f32_e32 v9, v46, v52
	v_add_f32_e32 v8, v48, v8
	v_mul_f32_e32 v46, v71, v59
	v_mul_f32_e32 v48, v70, v59
	v_fma_f32 v46, v70, v58, -v46
	v_fmac_f32_e32 v48, v71, v58
	v_add_f32_e32 v42, v42, v46
	v_add_f32_e32 v44, v44, v48
	v_mul_f32_e32 v46, v71, v61
	v_mul_f32_e32 v48, v70, v61
	v_fma_f32 v46, v70, v60, -v46
	v_fmac_f32_e32 v48, v71, v60
	v_add_f32_e32 v40, v40, v46
	v_add_f32_e32 v38, v38, v48
	s_waitcnt lgkmcnt(0)
	v_mul_f32_e32 v46, v11, v63
	v_mul_f32_e32 v48, v10, v63
	v_add_f32_e32 v50, v50, v57
	v_fma_f32 v46, v10, v62, -v46
	v_fmac_f32_e32 v48, v11, v62
	v_add_f32_e32 v31, v31, v46
	v_add_f32_e32 v46, v50, v48
	v_mul_f32_e32 v48, v11, v65
	v_fma_f32 v48, v10, v64, -v48
	v_mul_f32_e32 v10, v10, v65
	v_fmac_f32_e32 v10, v11, v64
	v_add_f32_e32 v50, v8, v10
	v_mul_f32_e32 v8, v73, v63
	v_add_f32_e32 v48, v9, v48
	v_fma_f32 v8, v72, v62, -v8
	v_mul_f32_e32 v9, v72, v63
	v_fmac_f32_e32 v9, v73, v62
	v_add_f32_e32 v42, v42, v8
	v_mul_f32_e32 v8, v73, v65
	v_add_f32_e32 v44, v44, v9
	v_fma_f32 v52, v72, v64, -v8
	ds_read2_b64 v[8:11], v45 offset0:128 offset1:144
	ds_read_b128 v[58:61], v49 offset:4128
	v_add_f32_e32 v40, v40, v52
	v_mul_f32_e32 v57, v72, v65
	v_fmac_f32_e32 v57, v73, v64
	ds_read_b128 v[62:65], v49 offset:4144
	s_waitcnt lgkmcnt(2)
	v_mul_f32_e32 v52, v5, v9
	v_fma_f32 v52, v4, v8, -v52
	v_add_f32_e32 v31, v31, v52
	v_mul_f32_e32 v52, v5, v11
	v_add_f32_e32 v38, v38, v57
	v_mul_f32_e32 v57, v4, v9
	v_fma_f32 v52, v4, v10, -v52
	v_mul_f32_e32 v4, v4, v11
	ds_read2_b64 v[66:69], v45 offset0:160 offset1:176
	v_fmac_f32_e32 v57, v5, v8
	v_fmac_f32_e32 v4, v5, v10
	v_add_f32_e32 v5, v48, v52
	s_waitcnt lgkmcnt(2)
	v_mul_f32_e32 v48, v59, v9
	v_fma_f32 v48, v58, v8, -v48
	v_mul_f32_e32 v9, v58, v9
	v_fmac_f32_e32 v9, v59, v8
	v_add_f32_e32 v8, v42, v48
	v_mul_f32_e32 v42, v59, v11
	v_mul_f32_e32 v11, v58, v11
	v_fma_f32 v42, v58, v10, -v42
	v_fmac_f32_e32 v11, v59, v10
	v_add_f32_e32 v10, v40, v42
	v_add_f32_e32 v11, v38, v11
	s_waitcnt lgkmcnt(0)
	v_mul_f32_e32 v38, v7, v67
	v_mul_f32_e32 v40, v6, v67
	v_add_f32_e32 v46, v46, v57
	v_fma_f32 v38, v6, v66, -v38
	v_fmac_f32_e32 v40, v7, v66
	v_add_f32_e32 v31, v31, v38
	v_add_f32_e32 v38, v46, v40
	v_mul_f32_e32 v40, v7, v69
	v_fma_f32 v40, v6, v68, -v40
	v_mul_f32_e32 v6, v6, v69
	v_add_f32_e32 v4, v50, v4
	v_fmac_f32_e32 v6, v7, v68
	v_add_f32_e32 v42, v4, v6
	v_mul_f32_e32 v4, v61, v67
	v_add_f32_e32 v40, v5, v40
	v_fma_f32 v4, v60, v66, -v4
	v_mul_f32_e32 v5, v60, v67
	v_add_f32_e32 v9, v44, v9
	v_fmac_f32_e32 v5, v61, v66
	v_add_f32_e32 v8, v8, v4
	v_mul_f32_e32 v4, v61, v69
	v_add_f32_e32 v9, v9, v5
	v_fma_f32 v44, v60, v68, -v4
	ds_read2_b64 v[4:7], v45 offset0:192 offset1:208
	v_add_f32_e32 v44, v10, v44
	v_mul_f32_e32 v46, v60, v69
	v_fmac_f32_e32 v46, v61, v68
	v_add_f32_e32 v46, v11, v46
	s_waitcnt lgkmcnt(0)
	v_mul_f32_e32 v10, v1, v5
	v_fma_f32 v10, v0, v4, -v10
	v_add_f32_e32 v31, v31, v10
	v_mul_f32_e32 v10, v1, v7
	v_mul_f32_e32 v11, v0, v5
	v_fma_f32 v10, v0, v6, -v10
	v_mul_f32_e32 v0, v0, v7
	v_fmac_f32_e32 v11, v1, v4
	v_fmac_f32_e32 v0, v1, v6
	v_add_f32_e32 v1, v40, v10
	v_mul_f32_e32 v10, v63, v5
	v_fma_f32 v10, v62, v4, -v10
	v_mul_f32_e32 v5, v62, v5
	v_fmac_f32_e32 v5, v63, v4
	v_add_f32_e32 v4, v8, v10
	v_mul_f32_e32 v8, v63, v7
	v_add_f32_e32 v38, v38, v11
	v_add_f32_e32 v5, v9, v5
	v_fma_f32 v40, v62, v6, -v8
	ds_read2_b64 v[8:11], v45 offset0:224 offset1:240
	v_mul_f32_e32 v7, v62, v7
	v_fmac_f32_e32 v7, v63, v6
	v_add_f32_e32 v0, v42, v0
	v_add_f32_e32 v42, v46, v7
	s_waitcnt lgkmcnt(0)
	v_mul_f32_e32 v6, v3, v9
	v_fma_f32 v6, v2, v8, -v6
	v_add_f32_e32 v31, v31, v6
	v_mul_f32_e32 v6, v3, v11
	v_mul_f32_e32 v7, v2, v9
	v_fma_f32 v6, v2, v10, -v6
	v_mul_f32_e32 v2, v2, v11
	v_fmac_f32_e32 v2, v3, v10
	v_add_f32_e32 v40, v44, v40
	v_add_f32_e32 v44, v0, v2
	v_mul_f32_e32 v0, v65, v9
	v_fma_f32 v0, v64, v8, -v0
	v_mul_f32_e32 v2, v64, v9
	v_add_f32_e32 v46, v4, v0
	v_mul_f32_e32 v0, v65, v11
	v_fmac_f32_e32 v7, v3, v8
	v_fmac_f32_e32 v2, v65, v8
	v_fma_f32 v50, v64, v10, -v0
	v_add_u32_e32 v0, 0x800, v45
	v_add_f32_e32 v38, v38, v7
	v_add_f32_e32 v1, v1, v6
	v_add_f32_e32 v48, v5, v2
	ds_read2_b64 v[2:5], v0 offset1:16
	ds_read_b128 v[6:9], v49 offset:64
	v_mul_f32_e32 v11, v64, v11
	v_fmac_f32_e32 v11, v65, v10
	ds_read_b128 v[58:61], v49 offset:80
	ds_read_b128 v[62:65], v49 offset:4160
	v_add_f32_e32 v10, v40, v50
	s_waitcnt lgkmcnt(2)
	v_mul_f32_e32 v40, v7, v3
	v_fma_f32 v40, v6, v2, -v40
	v_add_f32_e32 v31, v31, v40
	v_mul_f32_e32 v40, v7, v5
	ds_read2_b64 v[70:73], v0 offset0:32 offset1:48
	v_add_f32_e32 v11, v42, v11
	v_mul_f32_e32 v42, v6, v3
	v_fma_f32 v40, v6, v4, -v40
	v_mul_f32_e32 v6, v6, v5
	v_fmac_f32_e32 v42, v7, v2
	v_fmac_f32_e32 v6, v7, v4
	s_waitcnt lgkmcnt(1)
	v_mul_f32_e32 v7, v63, v3
	v_fma_f32 v7, v62, v2, -v7
	v_mul_f32_e32 v3, v62, v3
	v_fmac_f32_e32 v3, v63, v2
	v_add_f32_e32 v2, v46, v7
	v_mul_f32_e32 v7, v63, v5
	v_mul_f32_e32 v5, v62, v5
	v_fma_f32 v7, v62, v4, -v7
	v_fmac_f32_e32 v5, v63, v4
	s_waitcnt lgkmcnt(0)
	v_mul_f32_e32 v4, v9, v71
	v_add_f32_e32 v7, v10, v7
	v_add_f32_e32 v10, v11, v5
	v_fma_f32 v4, v8, v70, -v4
	v_mul_f32_e32 v5, v8, v71
	v_add_f32_e32 v38, v38, v42
	v_fmac_f32_e32 v5, v9, v70
	v_add_f32_e32 v11, v31, v4
	v_mul_f32_e32 v4, v9, v73
	v_add_f32_e32 v1, v1, v40
	v_add_f32_e32 v31, v38, v5
	v_fma_f32 v4, v8, v72, -v4
	v_mul_f32_e32 v5, v8, v73
	v_add_f32_e32 v6, v44, v6
	v_fmac_f32_e32 v5, v9, v72
	v_add_f32_e32 v1, v1, v4
	v_mul_f32_e32 v4, v65, v71
	v_add_f32_e32 v6, v6, v5
	v_fma_f32 v4, v64, v70, -v4
	v_mul_f32_e32 v5, v64, v71
	v_add_f32_e32 v3, v48, v3
	v_fmac_f32_e32 v5, v65, v70
	v_add_f32_e32 v8, v2, v4
	v_mul_f32_e32 v2, v65, v73
	v_add_f32_e32 v9, v3, v5
	v_fma_f32 v38, v64, v72, -v2
	ds_read2_b64 v[2:5], v0 offset0:64 offset1:80
	v_mul_f32_e32 v40, v64, v73
	ds_read_b128 v[66:69], v49 offset:4176
	v_fmac_f32_e32 v40, v65, v72
	v_add_f32_e32 v10, v10, v40
	s_waitcnt lgkmcnt(1)
	v_mul_f32_e32 v40, v58, v3
	v_fmac_f32_e32 v40, v59, v2
	v_add_f32_e32 v31, v31, v40
	v_mul_f32_e32 v40, v58, v5
	v_add_f32_e32 v38, v7, v38
	v_mul_f32_e32 v7, v59, v3
	v_fmac_f32_e32 v40, v59, v4
	v_fma_f32 v7, v58, v2, -v7
	v_add_f32_e32 v40, v6, v40
	s_waitcnt lgkmcnt(0)
	v_mul_f32_e32 v6, v67, v3
	v_add_f32_e32 v11, v11, v7
	v_mul_f32_e32 v7, v59, v5
	v_fma_f32 v6, v66, v2, -v6
	v_mul_f32_e32 v3, v66, v3
	v_fma_f32 v7, v58, v4, -v7
	v_fmac_f32_e32 v3, v67, v2
	v_add_f32_e32 v2, v8, v6
	v_mul_f32_e32 v6, v67, v5
	v_add_f32_e32 v1, v1, v7
	v_add_f32_e32 v3, v9, v3
	v_fma_f32 v42, v66, v4, -v6
	ds_read2_b64 v[6:9], v0 offset0:96 offset1:112
	v_mul_f32_e32 v5, v66, v5
	v_fmac_f32_e32 v5, v67, v4
	v_add_f32_e32 v10, v10, v5
	v_add_f32_e32 v38, v38, v42
	s_waitcnt lgkmcnt(0)
	v_mul_f32_e32 v4, v61, v7
	v_fma_f32 v4, v60, v6, -v4
	v_mul_f32_e32 v5, v60, v7
	v_fmac_f32_e32 v5, v61, v6
	v_add_f32_e32 v11, v11, v4
	v_mul_f32_e32 v4, v61, v9
	v_add_f32_e32 v31, v31, v5
	v_fma_f32 v4, v60, v8, -v4
	v_mul_f32_e32 v5, v60, v9
	v_fmac_f32_e32 v5, v61, v8
	v_add_f32_e32 v1, v1, v4
	v_mul_f32_e32 v4, v69, v7
	v_add_f32_e32 v40, v40, v5
	;; [unrolled: 6-line block ×3, first 2 shown]
	v_fma_f32 v6, v68, v8, -v2
	ds_read2_b64 v[2:5], v0 offset0:128 offset1:144
	ds_read_b128 v[58:61], v49 offset:96
	v_mul_f32_e32 v7, v68, v9
	v_fmac_f32_e32 v7, v69, v8
	v_add_f32_e32 v38, v38, v6
	v_add_f32_e32 v10, v10, v7
	ds_read_b128 v[6:9], v49 offset:112
	ds_read_b128 v[62:65], v49 offset:4192
	s_waitcnt lgkmcnt(2)
	v_mul_f32_e32 v46, v59, v3
	v_fma_f32 v46, v58, v2, -v46
	v_add_f32_e32 v11, v11, v46
	v_mul_f32_e32 v46, v59, v5
	ds_read2_b64 v[70:73], v0 offset0:160 offset1:176
	v_fma_f32 v46, v58, v4, -v46
	v_mul_f32_e32 v48, v58, v3
	v_add_f32_e32 v1, v1, v46
	s_waitcnt lgkmcnt(1)
	v_mul_f32_e32 v46, v63, v3
	v_fmac_f32_e32 v48, v59, v2
	v_fma_f32 v46, v62, v2, -v46
	v_mul_f32_e32 v3, v62, v3
	v_add_f32_e32 v31, v31, v48
	v_mul_f32_e32 v48, v58, v5
	v_fmac_f32_e32 v3, v63, v2
	v_add_f32_e32 v2, v42, v46
	v_mul_f32_e32 v42, v63, v5
	v_mul_f32_e32 v5, v62, v5
	v_fmac_f32_e32 v48, v59, v4
	v_fma_f32 v42, v62, v4, -v42
	v_fmac_f32_e32 v5, v63, v4
	s_waitcnt lgkmcnt(0)
	v_mul_f32_e32 v4, v61, v71
	v_add_f32_e32 v10, v10, v5
	v_fma_f32 v4, v60, v70, -v4
	v_mul_f32_e32 v5, v60, v71
	v_fmac_f32_e32 v5, v61, v70
	v_add_f32_e32 v11, v11, v4
	v_mul_f32_e32 v4, v61, v73
	v_add_f32_e32 v31, v31, v5
	v_fma_f32 v4, v60, v72, -v4
	v_mul_f32_e32 v5, v60, v73
	v_add_f32_e32 v40, v40, v48
	v_fmac_f32_e32 v5, v61, v72
	v_add_f32_e32 v1, v1, v4
	v_mul_f32_e32 v4, v65, v71
	v_add_f32_e32 v40, v40, v5
	v_fma_f32 v4, v64, v70, -v4
	v_mul_f32_e32 v5, v64, v71
	v_add_f32_e32 v3, v44, v3
	v_add_f32_e32 v38, v38, v42
	v_fmac_f32_e32 v5, v65, v70
	v_add_f32_e32 v42, v2, v4
	v_mul_f32_e32 v2, v65, v73
	v_add_f32_e32 v44, v3, v5
	v_fma_f32 v46, v64, v72, -v2
	ds_read2_b64 v[2:5], v0 offset0:192 offset1:208
	ds_read_b128 v[66:69], v49 offset:4208
	v_add_f32_e32 v38, v38, v46
	v_mul_f32_e32 v48, v64, v73
	v_fmac_f32_e32 v48, v65, v72
	s_waitcnt lgkmcnt(1)
	v_mul_f32_e32 v46, v7, v3
	v_fma_f32 v46, v6, v2, -v46
	v_add_f32_e32 v11, v11, v46
	v_mul_f32_e32 v46, v7, v5
	v_add_f32_e32 v10, v10, v48
	v_mul_f32_e32 v48, v6, v3
	v_fma_f32 v46, v6, v4, -v46
	v_mul_f32_e32 v6, v6, v5
	v_fmac_f32_e32 v48, v7, v2
	v_fmac_f32_e32 v6, v7, v4
	v_add_f32_e32 v7, v1, v46
	s_waitcnt lgkmcnt(0)
	v_mul_f32_e32 v1, v67, v3
	v_fma_f32 v1, v66, v2, -v1
	v_mul_f32_e32 v3, v66, v3
	v_add_f32_e32 v6, v40, v6
	v_fmac_f32_e32 v3, v67, v2
	v_add_f32_e32 v40, v42, v1
	v_mul_f32_e32 v1, v67, v5
	v_add_f32_e32 v42, v44, v3
	v_fma_f32 v44, v66, v4, -v1
	ds_read2_b64 v[0:3], v0 offset0:224 offset1:240
	v_mul_f32_e32 v5, v66, v5
	v_fmac_f32_e32 v5, v67, v4
	v_add_f32_e32 v38, v38, v44
	v_add_f32_e32 v44, v10, v5
	s_waitcnt lgkmcnt(0)
	v_mul_f32_e32 v4, v9, v1
	v_fma_f32 v4, v8, v0, -v4
	v_add_f32_e32 v46, v11, v4
	v_mul_f32_e32 v4, v9, v3
	v_mul_f32_e32 v5, v8, v1
	v_fma_f32 v4, v8, v2, -v4
	v_add_f32_e32 v31, v31, v48
	v_fmac_f32_e32 v5, v9, v0
	v_add_f32_e32 v48, v7, v4
	v_mul_f32_e32 v4, v69, v1
	v_mul_f32_e32 v1, v68, v1
	v_add_f32_e32 v31, v31, v5
	v_mul_f32_e32 v5, v8, v3
	v_fma_f32 v4, v68, v0, -v4
	v_fmac_f32_e32 v1, v69, v0
	v_mul_f32_e32 v0, v69, v3
	v_fmac_f32_e32 v5, v9, v2
	v_add_f32_e32 v1, v42, v1
	v_fma_f32 v42, v68, v2, -v0
	v_add_u32_e32 v0, 0x1000, v45
	v_add_f32_e32 v50, v6, v5
	v_add_f32_e32 v40, v40, v4
	ds_read2_b64 v[4:7], v0 offset1:16
	ds_read_b128 v[8:11], v49 offset:128
	v_mul_f32_e32 v3, v68, v3
	ds_read_b128 v[58:61], v49 offset:144
	ds_read_b128 v[62:65], v49 offset:4224
	v_fmac_f32_e32 v3, v69, v2
	s_waitcnt lgkmcnt(2)
	v_mul_f32_e32 v2, v9, v5
	v_add_f32_e32 v38, v38, v42
	v_add_f32_e32 v42, v44, v3
	v_fma_f32 v2, v8, v4, -v2
	v_mul_f32_e32 v3, v8, v5
	v_fmac_f32_e32 v3, v9, v4
	v_add_f32_e32 v44, v46, v2
	v_mul_f32_e32 v2, v9, v7
	v_add_f32_e32 v31, v31, v3
	v_fma_f32 v2, v8, v6, -v2
	v_mul_f32_e32 v3, v8, v7
	v_fmac_f32_e32 v3, v9, v6
	v_add_f32_e32 v8, v48, v2
	s_waitcnt lgkmcnt(0)
	v_mul_f32_e32 v2, v63, v5
	v_add_f32_e32 v9, v50, v3
	v_fma_f32 v2, v62, v4, -v2
	v_mul_f32_e32 v3, v62, v5
	v_fmac_f32_e32 v3, v63, v4
	v_add_f32_e32 v40, v40, v2
	v_mul_f32_e32 v2, v63, v7
	v_add_f32_e32 v1, v1, v3
	v_fma_f32 v46, v62, v6, -v2
	ds_read2_b64 v[2:5], v0 offset0:32 offset1:48
	v_mul_f32_e32 v7, v62, v7
	v_fmac_f32_e32 v7, v63, v6
	v_add_f32_e32 v42, v42, v7
	ds_read_b128 v[66:69], v49 offset:4240
	s_waitcnt lgkmcnt(1)
	v_mul_f32_e32 v6, v11, v3
	v_fma_f32 v6, v10, v2, -v6
	v_mul_f32_e32 v7, v10, v3
	v_add_f32_e32 v44, v44, v6
	v_mul_f32_e32 v6, v11, v5
	v_fmac_f32_e32 v7, v11, v2
	v_fma_f32 v6, v10, v4, -v6
	v_add_f32_e32 v31, v31, v7
	v_mul_f32_e32 v7, v10, v5
	v_add_f32_e32 v10, v8, v6
	v_mul_f32_e32 v6, v65, v3
	v_fmac_f32_e32 v7, v11, v4
	v_fma_f32 v6, v64, v2, -v6
	v_mul_f32_e32 v3, v64, v3
	v_add_f32_e32 v11, v9, v7
	v_fmac_f32_e32 v3, v65, v2
	v_add_f32_e32 v2, v40, v6
	ds_read2_b64 v[6:9], v0 offset0:64 offset1:80
	v_add_f32_e32 v1, v1, v3
	v_mul_f32_e32 v3, v65, v5
	v_add_f32_e32 v38, v38, v46
	v_fma_f32 v3, v64, v4, -v3
	v_mul_f32_e32 v5, v64, v5
	v_add_f32_e32 v38, v38, v3
	s_waitcnt lgkmcnt(0)
	v_mul_f32_e32 v3, v59, v7
	v_fmac_f32_e32 v5, v65, v4
	v_fma_f32 v3, v58, v6, -v3
	v_mul_f32_e32 v4, v58, v7
	v_add_f32_e32 v40, v42, v5
	v_fmac_f32_e32 v4, v59, v6
	v_add_f32_e32 v42, v44, v3
	v_mul_f32_e32 v3, v59, v9
	v_add_f32_e32 v31, v31, v4
	v_fma_f32 v3, v58, v8, -v3
	v_mul_f32_e32 v4, v58, v9
	v_fmac_f32_e32 v4, v59, v8
	v_add_f32_e32 v10, v10, v3
	v_mul_f32_e32 v3, v67, v7
	v_add_f32_e32 v11, v11, v4
	v_fma_f32 v3, v66, v6, -v3
	v_mul_f32_e32 v4, v66, v7
	v_fmac_f32_e32 v4, v67, v6
	v_add_f32_e32 v6, v2, v3
	v_mul_f32_e32 v2, v67, v9
	v_add_f32_e32 v1, v1, v4
	v_fma_f32 v7, v66, v8, -v2
	ds_read2_b64 v[2:5], v0 offset0:96 offset1:112
	v_add_f32_e32 v38, v38, v7
	v_mul_f32_e32 v9, v66, v9
	v_fmac_f32_e32 v9, v67, v8
	v_add_f32_e32 v40, v40, v9
	s_waitcnt lgkmcnt(0)
	v_mul_f32_e32 v7, v61, v3
	v_fma_f32 v7, v60, v2, -v7
	v_mul_f32_e32 v8, v60, v3
	v_add_f32_e32 v42, v42, v7
	v_mul_f32_e32 v7, v61, v5
	v_fmac_f32_e32 v8, v61, v2
	v_fma_f32 v7, v60, v4, -v7
	v_add_f32_e32 v31, v31, v8
	v_mul_f32_e32 v8, v60, v5
	v_add_f32_e32 v10, v10, v7
	v_mul_f32_e32 v7, v69, v3
	v_fmac_f32_e32 v8, v61, v4
	v_fma_f32 v7, v68, v2, -v7
	v_add_f32_e32 v11, v11, v8
	v_mul_f32_e32 v3, v68, v3
	v_add_f32_e32 v44, v6, v7
	ds_read2_b64 v[6:9], v0 offset0:128 offset1:144
	ds_read_b128 v[58:61], v49 offset:160
	v_fmac_f32_e32 v3, v69, v2
	v_add_f32_e32 v1, v1, v3
	v_mul_f32_e32 v2, v69, v5
	v_mul_f32_e32 v3, v68, v5
	v_fma_f32 v2, v68, v4, -v2
	v_fmac_f32_e32 v3, v69, v4
	v_add_f32_e32 v38, v38, v2
	v_add_f32_e32 v40, v40, v3
	ds_read_b128 v[2:5], v49 offset:176
	ds_read_b128 v[62:65], v49 offset:4256
	s_waitcnt lgkmcnt(2)
	v_mul_f32_e32 v46, v59, v7
	v_fma_f32 v46, v58, v6, -v46
	v_add_f32_e32 v42, v42, v46
	v_mul_f32_e32 v46, v59, v9
	v_fma_f32 v46, v58, v8, -v46
	ds_read2_b64 v[70:73], v0 offset0:160 offset1:176
	v_mul_f32_e32 v48, v58, v7
	v_add_f32_e32 v10, v10, v46
	s_waitcnt lgkmcnt(1)
	v_mul_f32_e32 v46, v63, v7
	v_mul_f32_e32 v7, v62, v7
	v_fmac_f32_e32 v7, v63, v6
	v_add_f32_e32 v1, v1, v7
	v_mul_f32_e32 v7, v63, v9
	v_fmac_f32_e32 v48, v59, v6
	v_fma_f32 v7, v62, v8, -v7
	v_add_f32_e32 v31, v31, v48
	v_mul_f32_e32 v48, v58, v9
	v_mul_f32_e32 v9, v62, v9
	v_add_f32_e32 v38, v38, v7
	s_waitcnt lgkmcnt(0)
	v_mul_f32_e32 v7, v61, v71
	v_fmac_f32_e32 v48, v59, v8
	v_fmac_f32_e32 v9, v63, v8
	v_fma_f32 v7, v60, v70, -v7
	v_mul_f32_e32 v8, v60, v71
	v_fmac_f32_e32 v8, v61, v70
	v_add_f32_e32 v42, v42, v7
	v_mul_f32_e32 v7, v61, v73
	v_add_f32_e32 v31, v31, v8
	v_fma_f32 v7, v60, v72, -v7
	v_mul_f32_e32 v8, v60, v73
	v_add_f32_e32 v11, v11, v48
	v_fma_f32 v46, v62, v6, -v46
	v_fmac_f32_e32 v8, v61, v72
	v_add_f32_e32 v10, v10, v7
	v_mul_f32_e32 v7, v65, v71
	v_add_f32_e32 v6, v44, v46
	v_add_f32_e32 v11, v11, v8
	v_fma_f32 v7, v64, v70, -v7
	v_mul_f32_e32 v8, v64, v71
	v_fmac_f32_e32 v8, v65, v70
	v_add_f32_e32 v44, v6, v7
	v_mul_f32_e32 v6, v65, v73
	v_add_f32_e32 v40, v40, v9
	v_add_f32_e32 v1, v1, v8
	v_fma_f32 v46, v64, v72, -v6
	ds_read2_b64 v[6:9], v0 offset0:192 offset1:208
	ds_read_b128 v[66:69], v49 offset:4272
	v_add_f32_e32 v38, v38, v46
	v_mul_f32_e32 v48, v64, v73
	v_fmac_f32_e32 v48, v65, v72
	s_waitcnt lgkmcnt(1)
	v_mul_f32_e32 v46, v3, v7
	v_fma_f32 v46, v2, v6, -v46
	v_add_f32_e32 v42, v42, v46
	v_mul_f32_e32 v46, v3, v9
	v_add_f32_e32 v40, v40, v48
	v_mul_f32_e32 v48, v2, v7
	v_fma_f32 v46, v2, v8, -v46
	v_mul_f32_e32 v2, v2, v9
	v_fmac_f32_e32 v48, v3, v6
	v_fmac_f32_e32 v2, v3, v8
	s_waitcnt lgkmcnt(0)
	v_mul_f32_e32 v3, v66, v7
	v_add_f32_e32 v11, v11, v2
	v_mul_f32_e32 v2, v67, v7
	v_fmac_f32_e32 v3, v67, v6
	v_fma_f32 v2, v66, v6, -v2
	v_add_f32_e32 v7, v1, v3
	v_mul_f32_e32 v1, v67, v9
	v_add_f32_e32 v6, v44, v2
	v_fma_f32 v44, v66, v8, -v1
	ds_read2_b64 v[0:3], v0 offset0:224 offset1:240
	v_mul_f32_e32 v9, v66, v9
	v_fmac_f32_e32 v9, v67, v8
	v_add_f32_e32 v40, v40, v9
	v_add_f32_e32 v10, v10, v46
	s_waitcnt lgkmcnt(0)
	v_mul_f32_e32 v8, v5, v1
	v_fma_f32 v8, v4, v0, -v8
	v_add_f32_e32 v42, v42, v8
	v_mul_f32_e32 v8, v5, v3
	v_mul_f32_e32 v9, v4, v1
	v_fma_f32 v8, v4, v2, -v8
	v_mul_f32_e32 v4, v4, v3
	v_fmac_f32_e32 v4, v5, v2
	v_add_f32_e32 v46, v11, v4
	v_mul_f32_e32 v4, v69, v1
	v_mul_f32_e32 v1, v68, v1
	v_fmac_f32_e32 v9, v5, v0
	v_fma_f32 v4, v68, v0, -v4
	v_fmac_f32_e32 v1, v69, v0
	v_mul_f32_e32 v0, v69, v3
	v_add_f32_e32 v31, v31, v48
	v_fma_f32 v50, v68, v2, -v0
	v_add_u32_e32 v0, 0x1800, v45
	v_add_f32_e32 v38, v38, v44
	v_add_f32_e32 v31, v31, v9
	;; [unrolled: 1-line block ×5, first 2 shown]
	ds_read2_b64 v[4:7], v0 offset1:16
	ds_read_b128 v[8:11], v49 offset:192
	v_mul_f32_e32 v3, v68, v3
	ds_read_b128 v[58:61], v49 offset:208
	ds_read_b128 v[62:65], v49 offset:4288
	v_fmac_f32_e32 v3, v69, v2
	s_waitcnt lgkmcnt(2)
	v_mul_f32_e32 v2, v9, v5
	v_add_f32_e32 v40, v40, v3
	v_fma_f32 v2, v8, v4, -v2
	v_mul_f32_e32 v3, v8, v5
	v_fmac_f32_e32 v3, v9, v4
	v_add_f32_e32 v42, v42, v2
	v_mul_f32_e32 v2, v9, v7
	v_add_f32_e32 v31, v31, v3
	v_fma_f32 v2, v8, v6, -v2
	v_mul_f32_e32 v3, v8, v7
	v_fmac_f32_e32 v3, v9, v6
	v_add_f32_e32 v8, v44, v2
	s_waitcnt lgkmcnt(0)
	v_mul_f32_e32 v2, v63, v5
	v_add_f32_e32 v9, v46, v3
	v_fma_f32 v2, v62, v4, -v2
	v_mul_f32_e32 v3, v62, v5
	v_fmac_f32_e32 v3, v63, v4
	v_add_f32_e32 v44, v48, v2
	v_mul_f32_e32 v2, v63, v7
	v_add_f32_e32 v1, v1, v3
	v_fma_f32 v46, v62, v6, -v2
	ds_read2_b64 v[2:5], v0 offset0:32 offset1:48
	v_mul_f32_e32 v7, v62, v7
	v_fmac_f32_e32 v7, v63, v6
	v_add_f32_e32 v40, v40, v7
	v_add_f32_e32 v38, v38, v50
	s_waitcnt lgkmcnt(0)
	v_mul_f32_e32 v6, v11, v3
	v_fma_f32 v6, v10, v2, -v6
	v_mul_f32_e32 v7, v10, v3
	v_add_f32_e32 v42, v42, v6
	v_mul_f32_e32 v6, v11, v5
	v_fmac_f32_e32 v7, v11, v2
	v_fma_f32 v6, v10, v4, -v6
	v_add_f32_e32 v31, v31, v7
	v_mul_f32_e32 v7, v10, v5
	v_add_f32_e32 v10, v8, v6
	v_mul_f32_e32 v6, v65, v3
	v_fmac_f32_e32 v7, v11, v4
	v_fma_f32 v6, v64, v2, -v6
	v_mul_f32_e32 v3, v64, v3
	v_add_f32_e32 v11, v9, v7
	v_fmac_f32_e32 v3, v65, v2
	v_add_f32_e32 v2, v44, v6
	ds_read2_b64 v[6:9], v0 offset0:64 offset1:80
	v_add_f32_e32 v1, v1, v3
	v_mul_f32_e32 v3, v65, v5
	ds_read_b128 v[66:69], v49 offset:4304
	v_add_f32_e32 v38, v38, v46
	v_fma_f32 v3, v64, v4, -v3
	v_mul_f32_e32 v5, v64, v5
	v_add_f32_e32 v38, v38, v3
	s_waitcnt lgkmcnt(1)
	v_mul_f32_e32 v3, v59, v7
	v_fmac_f32_e32 v5, v65, v4
	v_fma_f32 v3, v58, v6, -v3
	v_mul_f32_e32 v4, v58, v7
	v_fmac_f32_e32 v4, v59, v6
	v_add_f32_e32 v42, v42, v3
	v_mul_f32_e32 v3, v59, v9
	v_add_f32_e32 v31, v31, v4
	v_fma_f32 v3, v58, v8, -v3
	v_mul_f32_e32 v4, v58, v9
	v_fmac_f32_e32 v4, v59, v8
	v_add_f32_e32 v10, v10, v3
	s_waitcnt lgkmcnt(0)
	v_mul_f32_e32 v3, v67, v7
	v_add_f32_e32 v11, v11, v4
	v_fma_f32 v3, v66, v6, -v3
	v_mul_f32_e32 v4, v66, v7
	v_fmac_f32_e32 v4, v67, v6
	v_add_f32_e32 v6, v2, v3
	v_mul_f32_e32 v2, v67, v9
	v_add_f32_e32 v40, v40, v5
	v_add_f32_e32 v1, v1, v4
	v_fma_f32 v7, v66, v8, -v2
	ds_read2_b64 v[2:5], v0 offset0:96 offset1:112
	v_add_f32_e32 v38, v38, v7
	v_mul_f32_e32 v9, v66, v9
	v_fmac_f32_e32 v9, v67, v8
	v_add_f32_e32 v40, v40, v9
	s_waitcnt lgkmcnt(0)
	v_mul_f32_e32 v7, v61, v3
	v_fma_f32 v7, v60, v2, -v7
	v_mul_f32_e32 v8, v60, v3
	v_add_f32_e32 v42, v42, v7
	v_mul_f32_e32 v7, v61, v5
	v_fmac_f32_e32 v8, v61, v2
	v_fma_f32 v7, v60, v4, -v7
	v_add_f32_e32 v31, v31, v8
	v_mul_f32_e32 v8, v60, v5
	v_add_f32_e32 v10, v10, v7
	v_mul_f32_e32 v7, v69, v3
	v_fmac_f32_e32 v8, v61, v4
	v_fma_f32 v7, v68, v2, -v7
	v_add_f32_e32 v11, v11, v8
	v_mul_f32_e32 v3, v68, v3
	v_add_f32_e32 v44, v6, v7
	ds_read2_b64 v[6:9], v0 offset0:128 offset1:144
	ds_read_b128 v[58:61], v49 offset:224
	v_fmac_f32_e32 v3, v69, v2
	v_add_f32_e32 v1, v1, v3
	v_mul_f32_e32 v2, v69, v5
	v_mul_f32_e32 v3, v68, v5
	v_fma_f32 v2, v68, v4, -v2
	v_fmac_f32_e32 v3, v69, v4
	v_add_f32_e32 v38, v38, v2
	v_add_f32_e32 v40, v40, v3
	ds_read_b128 v[2:5], v49 offset:240
	ds_read_b128 v[62:65], v49 offset:4320
	s_waitcnt lgkmcnt(2)
	v_mul_f32_e32 v46, v59, v7
	v_fma_f32 v46, v58, v6, -v46
	v_add_f32_e32 v42, v42, v46
	v_mul_f32_e32 v46, v59, v9
	v_fma_f32 v46, v58, v8, -v46
	ds_read2_b64 v[70:73], v0 offset0:160 offset1:176
	v_mul_f32_e32 v48, v58, v7
	v_add_f32_e32 v10, v10, v46
	s_waitcnt lgkmcnt(1)
	v_mul_f32_e32 v46, v63, v7
	v_mul_f32_e32 v7, v62, v7
	v_fmac_f32_e32 v7, v63, v6
	v_add_f32_e32 v1, v1, v7
	v_mul_f32_e32 v7, v63, v9
	v_fmac_f32_e32 v48, v59, v6
	v_fma_f32 v7, v62, v8, -v7
	v_add_f32_e32 v31, v31, v48
	v_mul_f32_e32 v48, v58, v9
	v_mul_f32_e32 v9, v62, v9
	v_add_f32_e32 v38, v38, v7
	s_waitcnt lgkmcnt(0)
	v_mul_f32_e32 v7, v61, v71
	v_fmac_f32_e32 v48, v59, v8
	v_fmac_f32_e32 v9, v63, v8
	v_fma_f32 v7, v60, v70, -v7
	v_mul_f32_e32 v8, v60, v71
	v_fmac_f32_e32 v8, v61, v70
	v_add_f32_e32 v42, v42, v7
	v_mul_f32_e32 v7, v61, v73
	v_add_f32_e32 v31, v31, v8
	v_fma_f32 v7, v60, v72, -v7
	v_mul_f32_e32 v8, v60, v73
	v_add_f32_e32 v11, v11, v48
	v_fma_f32 v46, v62, v6, -v46
	v_fmac_f32_e32 v8, v61, v72
	v_add_f32_e32 v10, v10, v7
	v_mul_f32_e32 v7, v65, v71
	v_add_f32_e32 v6, v44, v46
	v_add_f32_e32 v11, v11, v8
	v_fma_f32 v7, v64, v70, -v7
	v_mul_f32_e32 v8, v64, v71
	v_fmac_f32_e32 v8, v65, v70
	v_add_f32_e32 v44, v6, v7
	v_mul_f32_e32 v6, v65, v73
	v_add_f32_e32 v40, v40, v9
	v_add_f32_e32 v1, v1, v8
	v_fma_f32 v46, v64, v72, -v6
	ds_read2_b64 v[6:9], v0 offset0:192 offset1:208
	ds_read_b128 v[66:69], v49 offset:4336
	v_add_f32_e32 v38, v38, v46
	v_mul_f32_e32 v48, v64, v73
	v_fmac_f32_e32 v48, v65, v72
	s_waitcnt lgkmcnt(1)
	v_mul_f32_e32 v46, v3, v7
	v_fma_f32 v46, v2, v6, -v46
	v_add_f32_e32 v42, v42, v46
	v_mul_f32_e32 v46, v3, v9
	v_add_f32_e32 v40, v40, v48
	v_mul_f32_e32 v48, v2, v7
	v_fma_f32 v46, v2, v8, -v46
	v_mul_f32_e32 v2, v2, v9
	v_fmac_f32_e32 v48, v3, v6
	v_fmac_f32_e32 v2, v3, v8
	s_waitcnt lgkmcnt(0)
	v_mul_f32_e32 v3, v66, v7
	v_add_f32_e32 v11, v11, v2
	v_mul_f32_e32 v2, v67, v7
	v_fmac_f32_e32 v3, v67, v6
	v_fma_f32 v2, v66, v6, -v2
	v_add_f32_e32 v7, v1, v3
	v_mul_f32_e32 v1, v67, v9
	v_add_f32_e32 v6, v44, v2
	v_fma_f32 v44, v66, v8, -v1
	ds_read2_b64 v[0:3], v0 offset0:224 offset1:240
	v_mul_f32_e32 v9, v66, v9
	v_fmac_f32_e32 v9, v67, v8
	v_add_f32_e32 v9, v40, v9
	v_add_f32_e32 v31, v31, v48
	s_waitcnt lgkmcnt(0)
	v_mul_f32_e32 v40, v4, v1
	v_fmac_f32_e32 v40, v5, v0
	v_add_f32_e32 v8, v38, v44
	v_mul_f32_e32 v38, v5, v1
	v_add_f32_e32 v52, v31, v40
	v_mul_f32_e32 v31, v5, v3
	v_fma_f32 v38, v4, v0, -v38
	v_fma_f32 v31, v4, v2, -v31
	v_mul_f32_e32 v4, v4, v3
	v_fmac_f32_e32 v4, v5, v2
	v_add_f32_e32 v48, v11, v4
	v_mul_f32_e32 v4, v69, v1
	v_mul_f32_e32 v1, v68, v1
	s_add_u32 s26, s26, 32
	v_fmac_f32_e32 v1, v69, v0
	s_addc_u32 s27, s27, 0
	v_fma_f32 v4, v68, v0, -v4
	v_add_f32_e32 v44, v7, v1
	v_mul_f32_e32 v0, v69, v3
	v_mul_f32_e32 v1, v68, v3
	s_add_u32 s22, s22, 0x100
	v_add_f32_e32 v10, v10, v46
	v_fma_f32 v0, v68, v2, -v0
	v_fmac_f32_e32 v1, v69, v2
	s_addc_u32 s23, s23, 0
	v_add_f32_e32 v50, v42, v38
	v_add_f32_e32 v46, v10, v31
	;; [unrolled: 1-line block ×5, first 2 shown]
	s_cmp_ge_i32 s26, s6
	s_barrier
	s_cbranch_scc1 .LBB77_55
.LBB77_7:                               ;   Parent Loop BB77_4 Depth=1
                                        ; =>  This Inner Loop Header: Depth=2
	v_mov_b32_e32 v0, s27
	v_add_co_u32_e64 v2, s[10:11], s26, v12
	v_addc_co_u32_e64 v3, s[10:11], v13, v0, s[10:11]
	v_mov_b32_e32 v1, s23
	v_add_co_u32_e64 v0, s[10:11], s22, v41
	v_addc_co_u32_e64 v1, s[10:11], v43, v1, s[10:11]
	v_cmp_eq_u64_e64 s[10:11], s[26:27], v[20:21]
	v_cmp_le_i64_e64 s[12:13], s[38:39], v[2:3]
	s_and_b64 s[44:45], s[36:37], s[10:11]
	v_cmp_lt_i64_e64 s[10:11], v[2:3], v[14:15]
	s_or_b64 s[16:17], s[12:13], s[10:11]
	s_or_b64 s[16:17], s[16:17], s[44:45]
	;; [unrolled: 1-line block ×3, first 2 shown]
	s_xor_b64 s[16:17], s[16:17], -1
	s_and_saveexec_b64 s[28:29], s[16:17]
	s_xor_b64 s[16:17], exec, s[28:29]
	s_cbranch_execz .LBB77_9
; %bb.8:                                ;   in Loop: Header=BB77_7 Depth=2
	global_load_dwordx2 v[4:5], v[0:1], off
	s_waitcnt vmcnt(0)
	ds_write_b64 v47, v[4:5]
.LBB77_9:                               ;   in Loop: Header=BB77_7 Depth=2
	s_or_saveexec_b64 s[16:17], s[16:17]
	s_xor_b64 s[28:29], s[44:45], -1
	s_xor_b64 exec, exec, s[16:17]
	s_cbranch_execz .LBB77_15
; %bb.10:                               ;   in Loop: Header=BB77_7 Depth=2
	s_and_saveexec_b64 s[46:47], s[28:29]
	s_xor_b64 s[46:47], exec, s[46:47]
	s_cbranch_execz .LBB77_12
; %bb.11:                               ;   in Loop: Header=BB77_7 Depth=2
	v_mov_b32_e32 v4, v33
	v_mov_b32_e32 v5, v33
	ds_write_b64 v47, v[4:5]
.LBB77_12:                              ;   in Loop: Header=BB77_7 Depth=2
	s_andn2_saveexec_b64 s[46:47], s[46:47]
	s_cbranch_execz .LBB77_14
; %bb.13:                               ;   in Loop: Header=BB77_7 Depth=2
	ds_write_b64 v47, v[32:33]
.LBB77_14:                              ;   in Loop: Header=BB77_7 Depth=2
	s_or_b64 exec, exec, s[46:47]
.LBB77_15:                              ;   in Loop: Header=BB77_7 Depth=2
	s_or_b64 exec, exec, s[16:17]
	v_cmp_eq_u64_e64 s[16:17], s[26:27], v[22:23]
	s_and_b64 s[46:47], s[36:37], s[16:17]
	v_cmp_gt_i64_e64 s[16:17], v[16:17], v[2:3]
	s_or_b64 s[12:13], s[12:13], s[16:17]
	s_or_b64 s[12:13], s[12:13], s[46:47]
	;; [unrolled: 1-line block ×3, first 2 shown]
	s_xor_b64 s[12:13], s[12:13], -1
	s_and_saveexec_b64 s[16:17], s[12:13]
	s_xor_b64 s[16:17], exec, s[16:17]
	s_cbranch_execz .LBB77_17
; %bb.16:                               ;   in Loop: Header=BB77_7 Depth=2
	v_mov_b32_e32 v5, s23
	v_add_co_u32_e64 v4, s[12:13], s22, v53
	v_addc_co_u32_e64 v5, s[12:13], v54, v5, s[12:13]
	global_load_dwordx2 v[4:5], v[4:5], off
	s_waitcnt vmcnt(0)
	ds_write_b64 v47, v[4:5] offset:128
.LBB77_17:                              ;   in Loop: Header=BB77_7 Depth=2
	s_andn2_saveexec_b64 s[12:13], s[16:17]
	s_cbranch_execz .LBB77_23
; %bb.18:                               ;   in Loop: Header=BB77_7 Depth=2
	s_xor_b64 s[16:17], s[46:47], -1
	s_and_saveexec_b64 s[46:47], s[16:17]
	s_xor_b64 s[16:17], exec, s[46:47]
	s_cbranch_execz .LBB77_20
; %bb.19:                               ;   in Loop: Header=BB77_7 Depth=2
	v_mov_b32_e32 v4, v33
	v_mov_b32_e32 v5, v33
	ds_write_b64 v47, v[4:5] offset:128
.LBB77_20:                              ;   in Loop: Header=BB77_7 Depth=2
	s_andn2_saveexec_b64 s[16:17], s[16:17]
	s_cbranch_execz .LBB77_22
; %bb.21:                               ;   in Loop: Header=BB77_7 Depth=2
	ds_write_b64 v47, v[32:33] offset:128
.LBB77_22:                              ;   in Loop: Header=BB77_7 Depth=2
	s_or_b64 exec, exec, s[16:17]
.LBB77_23:                              ;   in Loop: Header=BB77_7 Depth=2
	s_or_b64 exec, exec, s[12:13]
	v_add_co_u32_e64 v2, s[12:13], 16, v2
	v_addc_co_u32_e64 v3, s[12:13], 0, v3, s[12:13]
	v_cmp_eq_u64_e64 s[16:17], s[26:27], v[24:25]
	v_cmp_le_i64_e64 s[12:13], s[38:39], v[2:3]
	s_and_b64 s[46:47], s[36:37], s[16:17]
	v_cmp_lt_i64_e64 s[16:17], v[2:3], v[14:15]
	s_or_b64 s[16:17], s[12:13], s[16:17]
	s_or_b64 s[16:17], s[16:17], s[46:47]
	;; [unrolled: 1-line block ×3, first 2 shown]
	s_xor_b64 s[16:17], s[16:17], -1
	s_and_saveexec_b64 s[52:53], s[16:17]
	s_xor_b64 s[16:17], exec, s[52:53]
	s_cbranch_execz .LBB77_25
; %bb.24:                               ;   in Loop: Header=BB77_7 Depth=2
	global_load_dwordx2 v[0:1], v[0:1], off offset:128
	s_waitcnt vmcnt(0)
	ds_write_b64 v47, v[0:1] offset:4096
.LBB77_25:                              ;   in Loop: Header=BB77_7 Depth=2
	s_andn2_saveexec_b64 s[16:17], s[16:17]
	s_cbranch_execz .LBB77_31
; %bb.26:                               ;   in Loop: Header=BB77_7 Depth=2
	s_xor_b64 s[46:47], s[46:47], -1
	s_and_saveexec_b64 s[52:53], s[46:47]
	s_xor_b64 s[46:47], exec, s[52:53]
	s_cbranch_execz .LBB77_28
; %bb.27:                               ;   in Loop: Header=BB77_7 Depth=2
	v_mov_b32_e32 v0, v33
	v_mov_b32_e32 v1, v33
	ds_write_b64 v47, v[0:1] offset:4096
.LBB77_28:                              ;   in Loop: Header=BB77_7 Depth=2
	s_andn2_saveexec_b64 s[46:47], s[46:47]
	s_cbranch_execz .LBB77_30
; %bb.29:                               ;   in Loop: Header=BB77_7 Depth=2
	ds_write_b64 v47, v[32:33] offset:4096
.LBB77_30:                              ;   in Loop: Header=BB77_7 Depth=2
	s_or_b64 exec, exec, s[46:47]
.LBB77_31:                              ;   in Loop: Header=BB77_7 Depth=2
	s_or_b64 exec, exec, s[16:17]
	s_or_b64 s[10:11], s[12:13], s[10:11]
	s_or_b64 s[10:11], s[10:11], s[44:45]
	;; [unrolled: 1-line block ×3, first 2 shown]
	s_xor_b64 s[10:11], s[10:11], -1
	s_and_saveexec_b64 s[12:13], s[10:11]
	s_xor_b64 s[12:13], exec, s[12:13]
	s_cbranch_execz .LBB77_33
; %bb.32:                               ;   in Loop: Header=BB77_7 Depth=2
	v_mov_b32_e32 v1, s23
	v_add_co_u32_e64 v0, s[10:11], s22, v53
	v_addc_co_u32_e64 v1, s[10:11], v54, v1, s[10:11]
	global_load_dwordx2 v[0:1], v[0:1], off offset:128
	s_waitcnt vmcnt(0)
	ds_write_b64 v47, v[0:1] offset:4224
.LBB77_33:                              ;   in Loop: Header=BB77_7 Depth=2
	s_andn2_saveexec_b64 s[10:11], s[12:13]
	s_cbranch_execz .LBB77_39
; %bb.34:                               ;   in Loop: Header=BB77_7 Depth=2
	s_and_saveexec_b64 s[12:13], s[28:29]
	s_xor_b64 s[12:13], exec, s[12:13]
	s_cbranch_execz .LBB77_36
; %bb.35:                               ;   in Loop: Header=BB77_7 Depth=2
	v_mov_b32_e32 v0, v33
	v_mov_b32_e32 v1, v33
	ds_write_b64 v47, v[0:1] offset:4224
.LBB77_36:                              ;   in Loop: Header=BB77_7 Depth=2
	s_andn2_saveexec_b64 s[12:13], s[12:13]
	s_cbranch_execz .LBB77_38
; %bb.37:                               ;   in Loop: Header=BB77_7 Depth=2
	ds_write_b64 v47, v[32:33] offset:4224
.LBB77_38:                              ;   in Loop: Header=BB77_7 Depth=2
	s_or_b64 exec, exec, s[12:13]
.LBB77_39:                              ;   in Loop: Header=BB77_7 Depth=2
	s_or_b64 exec, exec, s[10:11]
	v_mov_b32_e32 v1, s27
	v_add_co_u32_e64 v0, s[10:11], s26, v14
	v_addc_co_u32_e64 v1, s[10:11], v15, v1, s[10:11]
	v_cmp_gt_i64_e64 s[10:11], s[38:39], v[0:1]
	s_and_b64 s[12:13], vcc, s[10:11]
	s_xor_b64 s[12:13], s[12:13], -1
	s_and_saveexec_b64 s[16:17], s[12:13]
	s_xor_b64 s[12:13], exec, s[16:17]
	s_cbranch_execz .LBB77_41
; %bb.40:                               ;   in Loop: Header=BB77_7 Depth=2
	v_mov_b32_e32 v2, v33
	v_mov_b32_e32 v3, v33
	ds_write_b64 v51, v[2:3]
.LBB77_41:                              ;   in Loop: Header=BB77_7 Depth=2
	s_or_saveexec_b64 s[16:17], s[12:13]
	v_mov_b32_e32 v3, s23
	v_add_co_u32_e64 v2, s[12:13], s22, v34
	v_addc_co_u32_e64 v3, s[12:13], v35, v3, s[12:13]
	s_xor_b64 exec, exec, s[16:17]
	s_cbranch_execz .LBB77_43
; %bb.42:                               ;   in Loop: Header=BB77_7 Depth=2
	global_load_dwordx2 v[4:5], v[2:3], off offset:-128
	s_waitcnt vmcnt(0)
	ds_write_b64 v51, v[4:5]
.LBB77_43:                              ;   in Loop: Header=BB77_7 Depth=2
	s_or_b64 exec, exec, s[16:17]
	v_cmp_gt_i64_e64 s[12:13], s[42:43], v[0:1]
	s_and_b64 s[16:17], vcc, s[12:13]
	s_xor_b64 s[16:17], s[16:17], -1
	s_and_saveexec_b64 s[28:29], s[16:17]
	s_xor_b64 s[16:17], exec, s[28:29]
	s_cbranch_execz .LBB77_45
; %bb.44:                               ;   in Loop: Header=BB77_7 Depth=2
	v_mov_b32_e32 v0, v33
	v_mov_b32_e32 v1, v33
	ds_write_b64 v51, v[0:1] offset:128
                                        ; implicit-def: $vgpr2_vgpr3
.LBB77_45:                              ;   in Loop: Header=BB77_7 Depth=2
	s_andn2_saveexec_b64 s[16:17], s[16:17]
	s_cbranch_execz .LBB77_47
; %bb.46:                               ;   in Loop: Header=BB77_7 Depth=2
	global_load_dwordx2 v[0:1], v[2:3], off
	s_waitcnt vmcnt(0)
	ds_write_b64 v51, v[0:1] offset:128
.LBB77_47:                              ;   in Loop: Header=BB77_7 Depth=2
	s_or_b64 exec, exec, s[16:17]
	s_and_b64 s[10:11], s[8:9], s[10:11]
	s_xor_b64 s[10:11], s[10:11], -1
	s_and_saveexec_b64 s[16:17], s[10:11]
	s_xor_b64 s[10:11], exec, s[16:17]
	s_cbranch_execz .LBB77_49
; %bb.48:                               ;   in Loop: Header=BB77_7 Depth=2
	v_mov_b32_e32 v0, v33
	v_mov_b32_e32 v1, v33
	ds_write_b64 v51, v[0:1] offset:4096
.LBB77_49:                              ;   in Loop: Header=BB77_7 Depth=2
	s_andn2_saveexec_b64 s[16:17], s[10:11]
	s_cbranch_execz .LBB77_51
; %bb.50:                               ;   in Loop: Header=BB77_7 Depth=2
	v_mov_b32_e32 v1, s23
	v_add_co_u32_e64 v0, s[10:11], s22, v36
	v_addc_co_u32_e64 v1, s[10:11], v37, v1, s[10:11]
	global_load_dwordx2 v[0:1], v[0:1], off offset:-128
	s_waitcnt vmcnt(0)
	ds_write_b64 v51, v[0:1] offset:4096
.LBB77_51:                              ;   in Loop: Header=BB77_7 Depth=2
	s_or_b64 exec, exec, s[16:17]
	s_and_b64 s[10:11], s[8:9], s[12:13]
	s_xor_b64 s[10:11], s[10:11], -1
	s_and_saveexec_b64 s[12:13], s[10:11]
	s_xor_b64 s[10:11], exec, s[12:13]
	s_cbranch_execz .LBB77_53
; %bb.52:                               ;   in Loop: Header=BB77_7 Depth=2
	v_mov_b32_e32 v0, v33
	v_mov_b32_e32 v1, v33
	ds_write_b64 v51, v[0:1] offset:4224
.LBB77_53:                              ;   in Loop: Header=BB77_7 Depth=2
	s_andn2_saveexec_b64 s[12:13], s[10:11]
	s_cbranch_execz .LBB77_6
; %bb.54:                               ;   in Loop: Header=BB77_7 Depth=2
	v_mov_b32_e32 v1, s23
	v_add_co_u32_e64 v0, s[10:11], s22, v36
	v_addc_co_u32_e64 v1, s[10:11], v37, v1, s[10:11]
	global_load_dwordx2 v[0:1], v[0:1], off
	s_waitcnt vmcnt(0)
	ds_write_b64 v51, v[0:1] offset:4224
	s_branch .LBB77_6
.LBB77_55:                              ;   in Loop: Header=BB77_4 Depth=1
	v_mul_lo_u32 v2, v56, s40
	v_mul_lo_u32 v3, v55, s41
	v_mad_u64_u32 v[0:1], s[8:9], v55, s40, 0
	v_add3_u32 v1, v1, v3, v2
	v_lshlrev_b64 v[0:1], 3, v[0:1]
	v_mov_b32_e32 v2, s48
	v_add_co_u32_e64 v0, s[8:9], s31, v0
	v_cmp_gt_i32_e32 vcc, s30, v55
	v_addc_co_u32_e64 v1, s[8:9], v2, v1, s[8:9]
	s_and_b64 s[8:9], s[4:5], vcc
	s_and_saveexec_b64 s[10:11], s[8:9]
	s_cbranch_execz .LBB77_57
; %bb.56:                               ;   in Loop: Header=BB77_4 Depth=1
	v_add_co_u32_e64 v2, s[8:9], v0, v26
	v_addc_co_u32_e64 v3, s[8:9], v1, v27, s[8:9]
	global_load_dwordx2 v[4:5], v[2:3], off
	v_pk_mul_f32 v[6:7], v[52:53], s[34:35] op_sel_hi:[0,1]
	v_pk_fma_f32 v[8:9], v[50:51], s[34:35], v[6:7] op_sel:[0,0,1] op_sel_hi:[1,1,0] neg_lo:[0,0,1] neg_hi:[0,0,1]
	v_pk_fma_f32 v[6:7], v[50:51], s[34:35], v[6:7] op_sel:[0,0,1] op_sel_hi:[0,1,0]
	v_mov_b32_e32 v9, v7
	s_waitcnt vmcnt(0)
	v_pk_add_f32 v[4:5], v[4:5], v[8:9]
	global_store_dwordx2 v[2:3], v[4:5], off
.LBB77_57:                              ;   in Loop: Header=BB77_4 Depth=1
	s_or_b64 exec, exec, s[10:11]
	s_and_b64 s[10:11], s[14:15], vcc
	s_and_saveexec_b64 s[8:9], s[10:11]
	s_cbranch_execz .LBB77_59
; %bb.58:                               ;   in Loop: Header=BB77_4 Depth=1
	v_lshlrev_b64 v[2:3], 3, v[18:19]
	v_add_co_u32_e32 v0, vcc, v0, v2
	v_addc_co_u32_e32 v1, vcc, v1, v3, vcc
	global_load_dwordx2 v[2:3], v[0:1], off
	v_pk_mul_f32 v[4:5], v[48:49], s[34:35] op_sel_hi:[0,1]
	v_pk_fma_f32 v[6:7], v[46:47], s[34:35], v[4:5] op_sel:[0,0,1] op_sel_hi:[1,1,0] neg_lo:[0,0,1] neg_hi:[0,0,1]
	v_pk_fma_f32 v[4:5], v[46:47], s[34:35], v[4:5] op_sel:[0,0,1] op_sel_hi:[0,1,0]
	v_mov_b32_e32 v7, v5
	s_waitcnt vmcnt(0)
	v_pk_add_f32 v[2:3], v[2:3], v[6:7]
	global_store_dwordx2 v[0:1], v[2:3], off
.LBB77_59:                              ;   in Loop: Header=BB77_4 Depth=1
	s_or_b64 exec, exec, s[8:9]
	v_add_u32_e32 v0, 16, v55
	v_ashrrev_i32_e32 v1, 31, v0
	v_cmp_gt_i32_e32 vcc, s30, v0
	v_mul_lo_u32 v2, v1, s40
	v_mul_lo_u32 v3, v0, s41
	v_mad_u64_u32 v[0:1], s[8:9], v0, s40, 0
	v_add3_u32 v1, v1, v3, v2
	v_lshlrev_b64 v[0:1], 3, v[0:1]
	v_mov_b32_e32 v2, s48
	v_add_co_u32_e64 v0, s[8:9], s31, v0
	v_addc_co_u32_e64 v1, s[8:9], v2, v1, s[8:9]
	s_and_b64 s[8:9], s[4:5], vcc
	s_and_saveexec_b64 s[10:11], s[8:9]
	s_cbranch_execz .LBB77_61
; %bb.60:                               ;   in Loop: Header=BB77_4 Depth=1
	v_add_co_u32_e64 v2, s[8:9], v0, v26
	v_addc_co_u32_e64 v3, s[8:9], v1, v27, s[8:9]
	global_load_dwordx2 v[4:5], v[2:3], off
	v_pk_mul_f32 v[6:7], v[44:45], s[34:35] op_sel_hi:[0,1]
	v_pk_fma_f32 v[8:9], v[42:43], s[34:35], v[6:7] op_sel:[0,0,1] op_sel_hi:[1,1,0] neg_lo:[0,0,1] neg_hi:[0,0,1]
	v_pk_fma_f32 v[6:7], v[42:43], s[34:35], v[6:7] op_sel:[0,0,1] op_sel_hi:[0,1,0]
	v_mov_b32_e32 v9, v7
	s_waitcnt vmcnt(0)
	v_pk_add_f32 v[4:5], v[4:5], v[8:9]
	global_store_dwordx2 v[2:3], v[4:5], off
.LBB77_61:                              ;   in Loop: Header=BB77_4 Depth=1
	s_or_b64 exec, exec, s[10:11]
	s_and_b64 s[10:11], s[14:15], vcc
	s_and_saveexec_b64 s[8:9], s[10:11]
	s_cbranch_execz .LBB77_3
; %bb.62:                               ;   in Loop: Header=BB77_4 Depth=1
	v_lshlrev_b64 v[2:3], 3, v[18:19]
	v_add_co_u32_e32 v0, vcc, v0, v2
	v_addc_co_u32_e32 v1, vcc, v1, v3, vcc
	global_load_dwordx2 v[2:3], v[0:1], off
	v_pk_mul_f32 v[4:5], v[38:39], s[34:35] op_sel_hi:[0,1]
	v_pk_fma_f32 v[6:7], v[40:41], s[34:35], v[4:5] op_sel:[0,0,1] op_sel_hi:[1,1,0] neg_lo:[0,0,1] neg_hi:[0,0,1]
	v_pk_fma_f32 v[4:5], v[40:41], s[34:35], v[4:5] op_sel:[0,0,1] op_sel_hi:[0,1,0]
	v_mov_b32_e32 v7, v5
	s_waitcnt vmcnt(0)
	v_pk_add_f32 v[2:3], v[2:3], v[6:7]
	global_store_dwordx2 v[0:1], v[2:3], off
	s_branch .LBB77_3
.LBB77_63:
	s_endpgm
	.section	.rodata,"a",@progbits
	.p2align	6, 0x0
	.amdhsa_kernel _ZL30rocblas_trmm_outofplace_kernelI19rocblas_complex_numIfELi32ELi2ELb1ELb0ELb1ELb0ES1_KS1_S1_Ev17rocblas_diagonal_iiT6_lPT7_lllS6_lllPT8_llli
		.amdhsa_group_segment_fixed_size 16384
		.amdhsa_private_segment_fixed_size 0
		.amdhsa_kernarg_size 392
		.amdhsa_user_sgpr_count 6
		.amdhsa_user_sgpr_private_segment_buffer 1
		.amdhsa_user_sgpr_dispatch_ptr 0
		.amdhsa_user_sgpr_queue_ptr 0
		.amdhsa_user_sgpr_kernarg_segment_ptr 1
		.amdhsa_user_sgpr_dispatch_id 0
		.amdhsa_user_sgpr_flat_scratch_init 0
		.amdhsa_user_sgpr_kernarg_preload_length 0
		.amdhsa_user_sgpr_kernarg_preload_offset 0
		.amdhsa_user_sgpr_private_segment_size 0
		.amdhsa_uses_dynamic_stack 0
		.amdhsa_system_sgpr_private_segment_wavefront_offset 0
		.amdhsa_system_sgpr_workgroup_id_x 1
		.amdhsa_system_sgpr_workgroup_id_y 1
		.amdhsa_system_sgpr_workgroup_id_z 1
		.amdhsa_system_sgpr_workgroup_info 0
		.amdhsa_system_vgpr_workitem_id 1
		.amdhsa_next_free_vgpr 78
		.amdhsa_next_free_sgpr 54
		.amdhsa_accum_offset 80
		.amdhsa_reserve_vcc 1
		.amdhsa_reserve_flat_scratch 0
		.amdhsa_float_round_mode_32 0
		.amdhsa_float_round_mode_16_64 0
		.amdhsa_float_denorm_mode_32 3
		.amdhsa_float_denorm_mode_16_64 3
		.amdhsa_dx10_clamp 1
		.amdhsa_ieee_mode 1
		.amdhsa_fp16_overflow 0
		.amdhsa_tg_split 0
		.amdhsa_exception_fp_ieee_invalid_op 0
		.amdhsa_exception_fp_denorm_src 0
		.amdhsa_exception_fp_ieee_div_zero 0
		.amdhsa_exception_fp_ieee_overflow 0
		.amdhsa_exception_fp_ieee_underflow 0
		.amdhsa_exception_fp_ieee_inexact 0
		.amdhsa_exception_int_div_zero 0
	.end_amdhsa_kernel
	.section	.text._ZL30rocblas_trmm_outofplace_kernelI19rocblas_complex_numIfELi32ELi2ELb1ELb0ELb1ELb0ES1_KS1_S1_Ev17rocblas_diagonal_iiT6_lPT7_lllS6_lllPT8_llli,"axG",@progbits,_ZL30rocblas_trmm_outofplace_kernelI19rocblas_complex_numIfELi32ELi2ELb1ELb0ELb1ELb0ES1_KS1_S1_Ev17rocblas_diagonal_iiT6_lPT7_lllS6_lllPT8_llli,comdat
.Lfunc_end77:
	.size	_ZL30rocblas_trmm_outofplace_kernelI19rocblas_complex_numIfELi32ELi2ELb1ELb0ELb1ELb0ES1_KS1_S1_Ev17rocblas_diagonal_iiT6_lPT7_lllS6_lllPT8_llli, .Lfunc_end77-_ZL30rocblas_trmm_outofplace_kernelI19rocblas_complex_numIfELi32ELi2ELb1ELb0ELb1ELb0ES1_KS1_S1_Ev17rocblas_diagonal_iiT6_lPT7_lllS6_lllPT8_llli
                                        ; -- End function
	.section	.AMDGPU.csdata,"",@progbits
; Kernel info:
; codeLenInByte = 6644
; NumSgprs: 58
; NumVgprs: 78
; NumAgprs: 0
; TotalNumVgprs: 78
; ScratchSize: 0
; MemoryBound: 1
; FloatMode: 240
; IeeeMode: 1
; LDSByteSize: 16384 bytes/workgroup (compile time only)
; SGPRBlocks: 7
; VGPRBlocks: 9
; NumSGPRsForWavesPerEU: 58
; NumVGPRsForWavesPerEU: 78
; AccumOffset: 80
; Occupancy: 6
; WaveLimiterHint : 0
; COMPUTE_PGM_RSRC2:SCRATCH_EN: 0
; COMPUTE_PGM_RSRC2:USER_SGPR: 6
; COMPUTE_PGM_RSRC2:TRAP_HANDLER: 0
; COMPUTE_PGM_RSRC2:TGID_X_EN: 1
; COMPUTE_PGM_RSRC2:TGID_Y_EN: 1
; COMPUTE_PGM_RSRC2:TGID_Z_EN: 1
; COMPUTE_PGM_RSRC2:TIDIG_COMP_CNT: 1
; COMPUTE_PGM_RSRC3_GFX90A:ACCUM_OFFSET: 19
; COMPUTE_PGM_RSRC3_GFX90A:TG_SPLIT: 0
	.section	.text._ZL30rocblas_trmm_outofplace_kernelI19rocblas_complex_numIfELi32ELi2ELb1ELb1ELb1ELb0EPKS1_S2_S1_Ev17rocblas_diagonal_iiT6_lPT7_lllS7_lllPT8_llli,"axG",@progbits,_ZL30rocblas_trmm_outofplace_kernelI19rocblas_complex_numIfELi32ELi2ELb1ELb1ELb1ELb0EPKS1_S2_S1_Ev17rocblas_diagonal_iiT6_lPT7_lllS7_lllPT8_llli,comdat
	.globl	_ZL30rocblas_trmm_outofplace_kernelI19rocblas_complex_numIfELi32ELi2ELb1ELb1ELb1ELb0EPKS1_S2_S1_Ev17rocblas_diagonal_iiT6_lPT7_lllS7_lllPT8_llli ; -- Begin function _ZL30rocblas_trmm_outofplace_kernelI19rocblas_complex_numIfELi32ELi2ELb1ELb1ELb1ELb0EPKS1_S2_S1_Ev17rocblas_diagonal_iiT6_lPT7_lllS7_lllPT8_llli
	.p2align	8
	.type	_ZL30rocblas_trmm_outofplace_kernelI19rocblas_complex_numIfELi32ELi2ELb1ELb1ELb1ELb0EPKS1_S2_S1_Ev17rocblas_diagonal_iiT6_lPT7_lllS7_lllPT8_llli,@function
_ZL30rocblas_trmm_outofplace_kernelI19rocblas_complex_numIfELi32ELi2ELb1ELb1ELb1ELb0EPKS1_S2_S1_Ev17rocblas_diagonal_iiT6_lPT7_lllS7_lllPT8_llli: ; @_ZL30rocblas_trmm_outofplace_kernelI19rocblas_complex_numIfELi32ELi2ELb1ELb1ELb1ELb0EPKS1_S2_S1_Ev17rocblas_diagonal_iiT6_lPT7_lllS7_lllPT8_llli
; %bb.0:
	s_load_dwordx16 s[12:27], s[4:5], 0x10
	s_waitcnt lgkmcnt(0)
	s_mul_i32 s0, s8, s15
	s_mul_hi_u32 s1, s8, s14
	s_add_i32 s1, s1, s0
	s_mul_i32 s0, s8, s14
	s_lshl_b64 s[0:1], s[0:1], 3
	s_add_u32 s0, s12, s0
	s_addc_u32 s1, s13, s1
	s_load_dwordx2 s[34:35], s[0:1], 0x0
	s_waitcnt lgkmcnt(0)
	s_or_b32 s0, s34, s35
	s_bitset0_b32 s0, 31
	s_cmp_eq_u32 s0, 0
	s_cbranch_scc1 .LBB78_63
; %bb.1:
	s_load_dwordx4 s[28:31], s[4:5], 0x0
	s_waitcnt lgkmcnt(0)
	s_add_i32 s0, s30, -1
	s_ashr_i32 s1, s0, 31
	s_lshr_b32 s1, s1, 27
	s_add_i32 s0, s0, s1
	s_ashr_i32 s31, s0, 5
	s_cmp_gt_i32 s7, s31
	s_cbranch_scc1 .LBB78_63
; %bb.2:
	s_mul_i32 s0, s8, s23
	s_mul_hi_u32 s1, s8, s22
	s_add_i32 s1, s1, s0
	s_mul_i32 s0, s8, s22
	s_load_dwordx4 s[44:47], s[4:5], 0x70
	s_load_dword s33, s[4:5], 0x8c
	s_lshl_b64 s[10:11], s[0:1], 3
	s_add_u32 s0, s16, s10
	s_load_dwordx8 s[36:43], s[4:5], 0x50
	s_addc_u32 s1, s17, s11
	s_lshl_b64 s[12:13], s[18:19], 3
	s_add_u32 s2, s0, s12
	s_addc_u32 s3, s1, s13
	s_waitcnt lgkmcnt(0)
	s_mul_i32 s0, s8, s47
	s_mul_hi_u32 s1, s8, s46
	s_add_i32 s1, s1, s0
	s_mul_i32 s0, s8, s46
	s_lshl_b64 s[0:1], s[0:1], 3
	s_add_u32 s4, s40, s0
	s_addc_u32 s5, s41, s1
	s_lshl_b64 s[0:1], s[42:43], 3
	s_add_u32 s48, s4, s0
	s_addc_u32 s49, s5, s1
	s_lshl_b32 s50, s6, 5
	v_and_b32_e32 v16, 0x3ff, v0
	v_add_u32_e32 v18, s50, v16
	v_ashrrev_i32_e32 v19, 31, v18
	v_bfe_u32 v12, v0, 10, 10
	v_mul_lo_u32 v2, v19, s20
	v_mul_lo_u32 v3, v18, s21
	v_mad_u64_u32 v[0:1], s[0:1], v18, s20, 0
	v_add3_u32 v1, v1, v3, v2
	v_lshlrev_b64 v[0:1], 3, v[0:1]
	v_mov_b32_e32 v2, s3
	v_add_co_u32_e32 v0, vcc, s2, v0
	v_addc_co_u32_e32 v1, vcc, v2, v1, vcc
	v_lshlrev_b32_e32 v2, 3, v12
	v_add_co_u32_e32 v13, vcc, v0, v2
	s_cmp_gt_i32 s6, -1
	v_addc_co_u32_e32 v17, vcc, 0, v1, vcc
	s_cselect_b64 s[18:19], -1, 0
	s_cmpk_eq_i32 s28, 0x84
	s_cselect_b64 s[22:23], -1, 0
	s_ashr_i32 s41, s29, 31
	s_ashr_i32 s6, s30, 31
	v_add_co_u32_e32 v20, vcc, 16, v18
	v_addc_co_u32_e32 v21, vcc, 0, v19, vcc
	s_add_u32 s42, s29, -16
	s_mul_i32 s9, s39, s8
	s_mul_hi_u32 s28, s38, s8
	s_addc_u32 s43, s41, -1
	v_sub_co_u32_e32 v24, vcc, v18, v12
	s_add_i32 s9, s28, s9
	s_mul_i32 s8, s38, s8
	v_subbrev_co_u32_e32 v25, vcc, 0, v19, vcc
	s_lshl_b64 s[8:9], s[8:9], 3
	s_lshl_b64 s[26:27], s[26:27], 3
	v_add_co_u32_e32 v26, vcc, 16, v24
	s_add_u32 s8, s8, s26
	v_addc_co_u32_e32 v27, vcc, 0, v25, vcc
	s_addc_u32 s9, s9, s27
	v_add_co_u32_e32 v28, vcc, -16, v24
	s_add_u32 s8, s24, s8
	v_lshlrev_b32_e32 v0, 8, v12
	v_lshlrev_b32_e32 v41, 3, v16
	v_addc_co_u32_e32 v29, vcc, -1, v25, vcc
	s_addc_u32 s9, s25, s9
	v_add_u32_e32 v43, v41, v0
	v_add_u32_e32 v45, 0x2000, v0
	v_mov_b32_e32 v0, s9
	v_add_co_u32_e32 v1, vcc, s8, v41
	v_addc_co_u32_e32 v0, vcc, 0, v0, vcc
	s_movk_i32 s8, 0x80
	v_add_co_u32_e32 v30, vcc, s8, v1
	v_addc_co_u32_e32 v31, vcc, 0, v0, vcc
	s_lshl_b64 s[24:25], s[36:37], 3
	s_lshl_b32 s51, s33, 5
	v_lshlrev_b64 v[34:35], 3, v[18:19]
	v_add_co_u32_e32 v3, vcc, s8, v34
	s_add_u32 s8, s12, s10
	v_addc_co_u32_e32 v0, vcc, 0, v35, vcc
	s_addc_u32 s9, s13, s11
	v_mul_lo_u32 v4, s20, v0
	v_pk_mov_b32 v[0:1], s[8:9], s[8:9] op_sel:[0,1]
	v_mul_lo_u32 v5, s21, v3
	v_mad_u64_u32 v[0:1], s[8:9], s20, v3, v[0:1]
	v_add3_u32 v1, v5, v1, v4
	v_add_co_u32_e32 v0, vcc, v0, v2
	v_addc_co_u32_e32 v1, vcc, 0, v1, vcc
	s_mov_b32 s40, s29
	v_add_u32_e32 v22, 16, v18
	v_mov_b32_e32 v2, s17
	v_add_co_u32_e32 v49, vcc, s16, v0
	v_mov_b32_e32 v15, 0
	v_cmp_le_i32_e64 s[0:1], s29, v18
	v_cmp_le_i64_e64 s[2:3], s[40:41], v[20:21]
	v_add_u32_e32 v47, v45, v41
	v_cmp_gt_i32_e64 s[4:5], s29, v18
	v_cmp_gt_i32_e64 s[14:15], s29, v22
	v_ashrrev_i32_e32 v23, 31, v22
	v_lshl_add_u32 v32, s7, 5, v12
	v_addc_co_u32_e32 v51, vcc, v2, v1, vcc
	v_mov_b32_e32 v14, 1.0
	s_branch .LBB78_4
.LBB78_3:                               ;   in Loop: Header=BB78_4 Depth=1
	s_or_b64 exec, exec, s[8:9]
	s_add_i32 s7, s33, s7
	s_cmp_le_i32 s7, s31
	v_add_u32_e32 v32, s51, v32
	s_cbranch_scc0 .LBB78_63
.LBB78_4:                               ; =>This Loop Header: Depth=1
                                        ;     Child Loop BB78_7 Depth 2
	v_lshl_add_u32 v53, s7, 5, v12
	v_ashrrev_i32_e32 v55, 31, v53
	s_andn2_b64 vcc, exec, s[18:19]
	v_mov_b32_e32 v52, v15
	v_mov_b32_e32 v54, v15
	;; [unrolled: 1-line block ×8, first 2 shown]
	s_cbranch_vccnz .LBB78_55
; %bb.5:                                ;   in Loop: Header=BB78_4 Depth=1
	v_ashrrev_i32_e32 v33, 31, v32
	v_mad_u64_u32 v[36:37], s[8:9], s24, v32, v[30:31]
	v_mul_lo_u32 v0, s25, v32
	v_mul_lo_u32 v1, s24, v33
	v_add3_u32 v37, v0, v37, v1
	v_lshlrev_b64 v[0:1], 3, v[32:33]
	v_add_co_u32_e32 v0, vcc, 0x80, v0
	v_addc_co_u32_e32 v1, vcc, 0, v1, vcc
	v_mul_lo_u32 v1, s36, v1
	v_mul_lo_u32 v2, s37, v0
	v_mad_u64_u32 v[38:39], s[8:9], s36, v0, v[30:31]
	v_add3_u32 v39, v2, v39, v1
	v_mov_b32_e32 v1, s6
	v_sub_co_u32_e32 v0, vcc, s30, v53
	v_subb_co_u32_e32 v1, vcc, v1, v55, vcc
	s_mov_b64 s[20:21], 0
	v_cmp_lt_i64_e32 vcc, 0, v[0:1]
	v_cmp_lt_i64_e64 s[8:9], 16, v[0:1]
	v_mov_b32_e32 v40, 0
	s_mov_b64 s[26:27], 0
	v_mov_b32_e32 v42, 0
	v_mov_b32_e32 v46, 0
	;; [unrolled: 1-line block ×7, first 2 shown]
	s_branch .LBB78_7
.LBB78_6:                               ;   in Loop: Header=BB78_7 Depth=2
	s_or_b64 exec, exec, s[12:13]
	s_waitcnt lgkmcnt(0)
	s_barrier
	ds_read2_b64 v[56:59], v41 offset1:16
	ds_read_b128 v[60:63], v45
	ds_read_b128 v[8:11], v45 offset:16
	ds_read_b128 v[4:7], v45 offset:32
	;; [unrolled: 1-line block ×3, first 2 shown]
	ds_read2_b64 v[72:75], v41 offset0:32 offset1:48
	s_waitcnt lgkmcnt(4)
	v_mul_f32_e32 v33, v61, v57
	v_mul_f32_e32 v64, v60, v57
	v_fma_f32 v33, v60, v56, -v33
	v_fmac_f32_e32 v64, v61, v56
	v_add_f32_e32 v33, v52, v33
	v_add_f32_e32 v52, v54, v64
	ds_read_b128 v[64:67], v45 offset:4096
	ds_read_b128 v[68:71], v45 offset:4112
	v_mul_f32_e32 v54, v61, v59
	v_fma_f32 v54, v60, v58, -v54
	v_add_f32_e32 v48, v48, v54
	s_waitcnt lgkmcnt(1)
	v_mul_f32_e32 v54, v65, v57
	v_mul_f32_e32 v57, v64, v57
	v_fma_f32 v54, v64, v56, -v54
	v_fmac_f32_e32 v57, v65, v56
	v_mul_f32_e32 v56, v64, v59
	v_fmac_f32_e32 v56, v65, v58
	v_add_f32_e32 v40, v40, v56
	v_mul_f32_e32 v56, v62, v73
	v_mul_f32_e32 v60, v60, v59
	v_add_f32_e32 v44, v44, v54
	v_mul_f32_e32 v54, v65, v59
	v_fmac_f32_e32 v56, v63, v72
	v_fmac_f32_e32 v60, v61, v58
	v_fma_f32 v54, v64, v58, -v54
	v_add_f32_e32 v52, v52, v56
	v_mul_f32_e32 v56, v62, v75
	v_add_f32_e32 v50, v50, v60
	v_add_f32_e32 v42, v42, v54
	v_mul_f32_e32 v54, v63, v73
	v_fmac_f32_e32 v56, v63, v74
	v_fma_f32 v54, v62, v72, -v54
	v_add_f32_e32 v50, v50, v56
	v_mul_f32_e32 v56, v66, v73
	v_add_f32_e32 v46, v46, v57
	v_add_f32_e32 v33, v33, v54
	v_mul_f32_e32 v54, v63, v75
	v_fmac_f32_e32 v56, v67, v72
	v_fma_f32 v54, v62, v74, -v54
	v_add_f32_e32 v46, v46, v56
	ds_read2_b64 v[56:59], v41 offset0:64 offset1:80
	v_add_f32_e32 v48, v48, v54
	v_mul_f32_e32 v54, v67, v73
	v_fma_f32 v54, v66, v72, -v54
	v_add_f32_e32 v44, v44, v54
	v_mul_f32_e32 v54, v67, v75
	v_fma_f32 v54, v66, v74, -v54
	v_mul_f32_e32 v60, v66, v75
	v_add_f32_e32 v42, v42, v54
	s_waitcnt lgkmcnt(0)
	v_mul_f32_e32 v54, v9, v57
	v_fmac_f32_e32 v60, v67, v74
	v_fma_f32 v54, v8, v56, -v54
	v_add_f32_e32 v40, v40, v60
	v_mul_f32_e32 v60, v8, v57
	v_add_f32_e32 v33, v33, v54
	v_mul_f32_e32 v54, v9, v59
	v_fmac_f32_e32 v60, v9, v56
	v_fma_f32 v54, v8, v58, -v54
	v_mul_f32_e32 v8, v8, v59
	v_add_f32_e32 v52, v52, v60
	v_fmac_f32_e32 v8, v9, v58
	ds_read2_b64 v[60:63], v41 offset0:96 offset1:112
	v_add_f32_e32 v9, v48, v54
	v_add_f32_e32 v8, v50, v8
	v_mul_f32_e32 v48, v69, v57
	v_mul_f32_e32 v50, v68, v57
	v_fma_f32 v48, v68, v56, -v48
	v_fmac_f32_e32 v50, v69, v56
	v_add_f32_e32 v44, v44, v48
	v_add_f32_e32 v46, v46, v50
	v_mul_f32_e32 v48, v69, v59
	v_mul_f32_e32 v50, v68, v59
	v_fma_f32 v48, v68, v58, -v48
	v_fmac_f32_e32 v50, v69, v58
	v_add_f32_e32 v42, v42, v48
	v_add_f32_e32 v40, v40, v50
	s_waitcnt lgkmcnt(0)
	v_mul_f32_e32 v48, v11, v61
	v_mul_f32_e32 v50, v10, v61
	v_fma_f32 v48, v10, v60, -v48
	v_fmac_f32_e32 v50, v11, v60
	v_add_f32_e32 v33, v33, v48
	v_add_f32_e32 v48, v52, v50
	v_mul_f32_e32 v50, v11, v63
	v_fma_f32 v50, v10, v62, -v50
	v_mul_f32_e32 v10, v10, v63
	v_fmac_f32_e32 v10, v11, v62
	v_add_f32_e32 v52, v8, v10
	v_mul_f32_e32 v8, v71, v61
	v_add_f32_e32 v50, v9, v50
	v_fma_f32 v8, v70, v60, -v8
	v_mul_f32_e32 v9, v70, v61
	v_fmac_f32_e32 v9, v71, v60
	v_add_f32_e32 v44, v44, v8
	v_mul_f32_e32 v8, v71, v63
	v_add_f32_e32 v46, v46, v9
	v_fma_f32 v54, v70, v62, -v8
	ds_read2_b64 v[8:11], v41 offset0:128 offset1:144
	v_mul_f32_e32 v56, v70, v63
	v_fmac_f32_e32 v56, v71, v62
	v_add_f32_e32 v40, v40, v56
	v_add_f32_e32 v42, v42, v54
	s_waitcnt lgkmcnt(0)
	v_mul_f32_e32 v56, v4, v9
	v_fmac_f32_e32 v56, v5, v8
	v_add_f32_e32 v48, v48, v56
	ds_read_b128 v[56:59], v45 offset:4128
	ds_read_b128 v[60:63], v45 offset:4144
	v_mul_f32_e32 v54, v5, v9
	v_fma_f32 v54, v4, v8, -v54
	v_add_f32_e32 v33, v33, v54
	v_mul_f32_e32 v54, v5, v11
	v_fma_f32 v54, v4, v10, -v54
	v_mul_f32_e32 v4, v4, v11
	ds_read2_b64 v[64:67], v41 offset0:160 offset1:176
	v_fmac_f32_e32 v4, v5, v10
	v_add_f32_e32 v5, v50, v54
	s_waitcnt lgkmcnt(2)
	v_mul_f32_e32 v50, v57, v9
	v_fma_f32 v50, v56, v8, -v50
	v_mul_f32_e32 v9, v56, v9
	v_fmac_f32_e32 v9, v57, v8
	v_add_f32_e32 v8, v44, v50
	v_mul_f32_e32 v44, v57, v11
	v_mul_f32_e32 v11, v56, v11
	v_fma_f32 v44, v56, v10, -v44
	v_fmac_f32_e32 v11, v57, v10
	v_add_f32_e32 v10, v42, v44
	v_add_f32_e32 v11, v40, v11
	s_waitcnt lgkmcnt(0)
	v_mul_f32_e32 v40, v7, v65
	v_mul_f32_e32 v42, v6, v65
	v_fma_f32 v40, v6, v64, -v40
	v_fmac_f32_e32 v42, v7, v64
	v_add_f32_e32 v33, v33, v40
	v_add_f32_e32 v40, v48, v42
	v_mul_f32_e32 v42, v7, v67
	v_fma_f32 v42, v6, v66, -v42
	v_mul_f32_e32 v6, v6, v67
	v_add_f32_e32 v4, v52, v4
	v_fmac_f32_e32 v6, v7, v66
	v_add_f32_e32 v44, v4, v6
	v_mul_f32_e32 v4, v59, v65
	v_add_f32_e32 v42, v5, v42
	v_fma_f32 v4, v58, v64, -v4
	v_mul_f32_e32 v5, v58, v65
	v_add_f32_e32 v9, v46, v9
	v_fmac_f32_e32 v5, v59, v64
	v_add_f32_e32 v8, v8, v4
	v_mul_f32_e32 v4, v59, v67
	v_add_f32_e32 v9, v9, v5
	v_fma_f32 v46, v58, v66, -v4
	ds_read2_b64 v[4:7], v41 offset0:192 offset1:208
	v_add_f32_e32 v46, v10, v46
	v_mul_f32_e32 v48, v58, v67
	v_fmac_f32_e32 v48, v59, v66
	v_add_f32_e32 v48, v11, v48
	s_waitcnt lgkmcnt(0)
	v_mul_f32_e32 v10, v1, v5
	v_fma_f32 v10, v0, v4, -v10
	v_add_f32_e32 v33, v33, v10
	v_mul_f32_e32 v10, v1, v7
	v_mul_f32_e32 v11, v0, v5
	v_fma_f32 v10, v0, v6, -v10
	v_mul_f32_e32 v0, v0, v7
	v_fmac_f32_e32 v11, v1, v4
	v_fmac_f32_e32 v0, v1, v6
	v_add_f32_e32 v1, v42, v10
	v_mul_f32_e32 v10, v61, v5
	v_fma_f32 v10, v60, v4, -v10
	v_mul_f32_e32 v5, v60, v5
	v_fmac_f32_e32 v5, v61, v4
	v_add_f32_e32 v4, v8, v10
	v_mul_f32_e32 v8, v61, v7
	v_add_f32_e32 v40, v40, v11
	v_add_f32_e32 v5, v9, v5
	v_fma_f32 v42, v60, v6, -v8
	ds_read2_b64 v[8:11], v41 offset0:224 offset1:240
	v_mul_f32_e32 v7, v60, v7
	v_fmac_f32_e32 v7, v61, v6
	v_add_f32_e32 v0, v44, v0
	v_add_f32_e32 v44, v48, v7
	s_waitcnt lgkmcnt(0)
	v_mul_f32_e32 v6, v3, v9
	v_fma_f32 v6, v2, v8, -v6
	v_add_f32_e32 v33, v33, v6
	v_mul_f32_e32 v6, v3, v11
	v_mul_f32_e32 v7, v2, v9
	v_fma_f32 v6, v2, v10, -v6
	v_mul_f32_e32 v2, v2, v11
	v_fmac_f32_e32 v2, v3, v10
	v_add_f32_e32 v42, v46, v42
	v_add_f32_e32 v46, v0, v2
	v_mul_f32_e32 v0, v63, v9
	v_fma_f32 v0, v62, v8, -v0
	v_mul_f32_e32 v2, v62, v9
	v_add_f32_e32 v48, v4, v0
	v_mul_f32_e32 v0, v63, v11
	v_fmac_f32_e32 v7, v3, v8
	v_fmac_f32_e32 v2, v63, v8
	v_fma_f32 v52, v62, v10, -v0
	v_add_u32_e32 v0, 0x800, v41
	v_add_f32_e32 v40, v40, v7
	v_add_f32_e32 v1, v1, v6
	;; [unrolled: 1-line block ×3, first 2 shown]
	ds_read2_b64 v[2:5], v0 offset1:16
	ds_read_b128 v[6:9], v45 offset:64
	v_mul_f32_e32 v11, v62, v11
	v_fmac_f32_e32 v11, v63, v10
	ds_read_b128 v[56:59], v45 offset:80
	ds_read_b128 v[60:63], v45 offset:4160
	v_add_f32_e32 v10, v42, v52
	s_waitcnt lgkmcnt(2)
	v_mul_f32_e32 v42, v7, v3
	v_fma_f32 v42, v6, v2, -v42
	v_add_f32_e32 v33, v33, v42
	v_mul_f32_e32 v42, v7, v5
	ds_read2_b64 v[68:71], v0 offset0:32 offset1:48
	v_add_f32_e32 v11, v44, v11
	v_mul_f32_e32 v44, v6, v3
	v_fma_f32 v42, v6, v4, -v42
	v_mul_f32_e32 v6, v6, v5
	v_fmac_f32_e32 v44, v7, v2
	v_fmac_f32_e32 v6, v7, v4
	s_waitcnt lgkmcnt(1)
	v_mul_f32_e32 v7, v61, v3
	v_fma_f32 v7, v60, v2, -v7
	v_mul_f32_e32 v3, v60, v3
	v_fmac_f32_e32 v3, v61, v2
	v_add_f32_e32 v2, v48, v7
	v_mul_f32_e32 v7, v61, v5
	v_mul_f32_e32 v5, v60, v5
	v_fma_f32 v7, v60, v4, -v7
	v_fmac_f32_e32 v5, v61, v4
	s_waitcnt lgkmcnt(0)
	v_mul_f32_e32 v4, v9, v69
	v_add_f32_e32 v7, v10, v7
	v_add_f32_e32 v10, v11, v5
	v_fma_f32 v4, v8, v68, -v4
	v_mul_f32_e32 v5, v8, v69
	v_add_f32_e32 v40, v40, v44
	v_fmac_f32_e32 v5, v9, v68
	v_add_f32_e32 v11, v33, v4
	v_mul_f32_e32 v4, v9, v71
	v_add_f32_e32 v1, v1, v42
	v_add_f32_e32 v33, v40, v5
	v_fma_f32 v4, v8, v70, -v4
	v_mul_f32_e32 v5, v8, v71
	v_add_f32_e32 v6, v46, v6
	v_fmac_f32_e32 v5, v9, v70
	v_add_f32_e32 v1, v1, v4
	v_mul_f32_e32 v4, v63, v69
	v_add_f32_e32 v6, v6, v5
	v_fma_f32 v4, v62, v68, -v4
	v_mul_f32_e32 v5, v62, v69
	v_add_f32_e32 v3, v50, v3
	v_fmac_f32_e32 v5, v63, v68
	v_add_f32_e32 v8, v2, v4
	v_mul_f32_e32 v2, v63, v71
	v_add_f32_e32 v9, v3, v5
	v_fma_f32 v40, v62, v70, -v2
	ds_read2_b64 v[2:5], v0 offset0:64 offset1:80
	v_mul_f32_e32 v42, v62, v71
	ds_read_b128 v[64:67], v45 offset:4176
	v_fmac_f32_e32 v42, v63, v70
	v_add_f32_e32 v10, v10, v42
	s_waitcnt lgkmcnt(1)
	v_mul_f32_e32 v42, v56, v3
	v_fmac_f32_e32 v42, v57, v2
	v_add_f32_e32 v33, v33, v42
	v_mul_f32_e32 v42, v56, v5
	v_add_f32_e32 v40, v7, v40
	v_mul_f32_e32 v7, v57, v3
	v_fmac_f32_e32 v42, v57, v4
	v_fma_f32 v7, v56, v2, -v7
	v_add_f32_e32 v42, v6, v42
	s_waitcnt lgkmcnt(0)
	v_mul_f32_e32 v6, v65, v3
	v_add_f32_e32 v11, v11, v7
	v_mul_f32_e32 v7, v57, v5
	v_fma_f32 v6, v64, v2, -v6
	v_mul_f32_e32 v3, v64, v3
	v_fma_f32 v7, v56, v4, -v7
	v_fmac_f32_e32 v3, v65, v2
	v_add_f32_e32 v2, v8, v6
	v_mul_f32_e32 v6, v65, v5
	v_add_f32_e32 v1, v1, v7
	v_add_f32_e32 v3, v9, v3
	v_fma_f32 v44, v64, v4, -v6
	ds_read2_b64 v[6:9], v0 offset0:96 offset1:112
	v_mul_f32_e32 v5, v64, v5
	v_fmac_f32_e32 v5, v65, v4
	v_add_f32_e32 v10, v10, v5
	v_add_f32_e32 v40, v40, v44
	s_waitcnt lgkmcnt(0)
	v_mul_f32_e32 v4, v59, v7
	v_fma_f32 v4, v58, v6, -v4
	v_mul_f32_e32 v5, v58, v7
	v_fmac_f32_e32 v5, v59, v6
	v_add_f32_e32 v11, v11, v4
	v_mul_f32_e32 v4, v59, v9
	v_add_f32_e32 v33, v33, v5
	v_fma_f32 v4, v58, v8, -v4
	v_mul_f32_e32 v5, v58, v9
	v_fmac_f32_e32 v5, v59, v8
	v_add_f32_e32 v1, v1, v4
	v_mul_f32_e32 v4, v67, v7
	v_add_f32_e32 v42, v42, v5
	;; [unrolled: 6-line block ×3, first 2 shown]
	v_fma_f32 v6, v66, v8, -v2
	ds_read2_b64 v[2:5], v0 offset0:128 offset1:144
	ds_read_b128 v[56:59], v45 offset:96
	v_mul_f32_e32 v7, v66, v9
	v_fmac_f32_e32 v7, v67, v8
	v_add_f32_e32 v40, v40, v6
	v_add_f32_e32 v10, v10, v7
	ds_read_b128 v[6:9], v45 offset:112
	ds_read_b128 v[60:63], v45 offset:4192
	s_waitcnt lgkmcnt(2)
	v_mul_f32_e32 v48, v57, v3
	v_fma_f32 v48, v56, v2, -v48
	v_add_f32_e32 v11, v11, v48
	v_mul_f32_e32 v48, v57, v5
	ds_read2_b64 v[68:71], v0 offset0:160 offset1:176
	v_fma_f32 v48, v56, v4, -v48
	v_mul_f32_e32 v50, v56, v3
	v_add_f32_e32 v1, v1, v48
	s_waitcnt lgkmcnt(1)
	v_mul_f32_e32 v48, v61, v3
	v_fmac_f32_e32 v50, v57, v2
	v_fma_f32 v48, v60, v2, -v48
	v_mul_f32_e32 v3, v60, v3
	v_add_f32_e32 v33, v33, v50
	v_mul_f32_e32 v50, v56, v5
	v_fmac_f32_e32 v3, v61, v2
	v_add_f32_e32 v2, v44, v48
	v_mul_f32_e32 v44, v61, v5
	v_mul_f32_e32 v5, v60, v5
	v_fmac_f32_e32 v50, v57, v4
	v_fma_f32 v44, v60, v4, -v44
	v_fmac_f32_e32 v5, v61, v4
	s_waitcnt lgkmcnt(0)
	v_mul_f32_e32 v4, v59, v69
	v_add_f32_e32 v10, v10, v5
	v_fma_f32 v4, v58, v68, -v4
	v_mul_f32_e32 v5, v58, v69
	v_fmac_f32_e32 v5, v59, v68
	v_add_f32_e32 v11, v11, v4
	v_mul_f32_e32 v4, v59, v71
	v_add_f32_e32 v33, v33, v5
	v_fma_f32 v4, v58, v70, -v4
	v_mul_f32_e32 v5, v58, v71
	v_add_f32_e32 v42, v42, v50
	v_fmac_f32_e32 v5, v59, v70
	v_add_f32_e32 v1, v1, v4
	v_mul_f32_e32 v4, v63, v69
	v_add_f32_e32 v42, v42, v5
	v_fma_f32 v4, v62, v68, -v4
	v_mul_f32_e32 v5, v62, v69
	v_add_f32_e32 v3, v46, v3
	v_add_f32_e32 v40, v40, v44
	v_fmac_f32_e32 v5, v63, v68
	v_add_f32_e32 v44, v2, v4
	v_mul_f32_e32 v2, v63, v71
	v_add_f32_e32 v46, v3, v5
	v_fma_f32 v48, v62, v70, -v2
	ds_read2_b64 v[2:5], v0 offset0:192 offset1:208
	ds_read_b128 v[64:67], v45 offset:4208
	v_add_f32_e32 v40, v40, v48
	v_mul_f32_e32 v50, v62, v71
	v_fmac_f32_e32 v50, v63, v70
	s_waitcnt lgkmcnt(1)
	v_mul_f32_e32 v48, v7, v3
	v_fma_f32 v48, v6, v2, -v48
	v_add_f32_e32 v11, v11, v48
	v_mul_f32_e32 v48, v7, v5
	v_add_f32_e32 v10, v10, v50
	v_mul_f32_e32 v50, v6, v3
	v_fma_f32 v48, v6, v4, -v48
	v_mul_f32_e32 v6, v6, v5
	v_fmac_f32_e32 v50, v7, v2
	v_fmac_f32_e32 v6, v7, v4
	v_add_f32_e32 v7, v1, v48
	s_waitcnt lgkmcnt(0)
	v_mul_f32_e32 v1, v65, v3
	v_fma_f32 v1, v64, v2, -v1
	v_mul_f32_e32 v3, v64, v3
	v_add_f32_e32 v6, v42, v6
	v_fmac_f32_e32 v3, v65, v2
	v_add_f32_e32 v42, v44, v1
	v_mul_f32_e32 v1, v65, v5
	v_add_f32_e32 v44, v46, v3
	v_fma_f32 v46, v64, v4, -v1
	ds_read2_b64 v[0:3], v0 offset0:224 offset1:240
	v_mul_f32_e32 v5, v64, v5
	v_fmac_f32_e32 v5, v65, v4
	v_add_f32_e32 v40, v40, v46
	v_add_f32_e32 v46, v10, v5
	s_waitcnt lgkmcnt(0)
	v_mul_f32_e32 v4, v9, v1
	v_fma_f32 v4, v8, v0, -v4
	v_add_f32_e32 v48, v11, v4
	v_mul_f32_e32 v4, v9, v3
	v_mul_f32_e32 v5, v8, v1
	v_fma_f32 v4, v8, v2, -v4
	v_add_f32_e32 v33, v33, v50
	v_fmac_f32_e32 v5, v9, v0
	v_add_f32_e32 v50, v7, v4
	v_mul_f32_e32 v4, v67, v1
	v_mul_f32_e32 v1, v66, v1
	v_add_f32_e32 v33, v33, v5
	v_mul_f32_e32 v5, v8, v3
	v_fma_f32 v4, v66, v0, -v4
	v_fmac_f32_e32 v1, v67, v0
	v_mul_f32_e32 v0, v67, v3
	v_fmac_f32_e32 v5, v9, v2
	v_add_f32_e32 v1, v44, v1
	v_fma_f32 v44, v66, v2, -v0
	v_add_u32_e32 v0, 0x1000, v41
	v_add_f32_e32 v52, v6, v5
	v_add_f32_e32 v42, v42, v4
	ds_read2_b64 v[4:7], v0 offset1:16
	ds_read_b128 v[8:11], v45 offset:128
	v_mul_f32_e32 v3, v66, v3
	ds_read_b128 v[56:59], v45 offset:144
	ds_read_b128 v[60:63], v45 offset:4224
	v_fmac_f32_e32 v3, v67, v2
	s_waitcnt lgkmcnt(2)
	v_mul_f32_e32 v2, v9, v5
	v_add_f32_e32 v40, v40, v44
	v_add_f32_e32 v44, v46, v3
	v_fma_f32 v2, v8, v4, -v2
	v_mul_f32_e32 v3, v8, v5
	v_fmac_f32_e32 v3, v9, v4
	v_add_f32_e32 v46, v48, v2
	v_mul_f32_e32 v2, v9, v7
	v_add_f32_e32 v33, v33, v3
	v_fma_f32 v2, v8, v6, -v2
	v_mul_f32_e32 v3, v8, v7
	v_fmac_f32_e32 v3, v9, v6
	v_add_f32_e32 v8, v50, v2
	s_waitcnt lgkmcnt(0)
	v_mul_f32_e32 v2, v61, v5
	v_add_f32_e32 v9, v52, v3
	v_fma_f32 v2, v60, v4, -v2
	v_mul_f32_e32 v3, v60, v5
	v_fmac_f32_e32 v3, v61, v4
	v_add_f32_e32 v42, v42, v2
	v_mul_f32_e32 v2, v61, v7
	v_add_f32_e32 v1, v1, v3
	v_fma_f32 v48, v60, v6, -v2
	ds_read2_b64 v[2:5], v0 offset0:32 offset1:48
	v_mul_f32_e32 v7, v60, v7
	v_fmac_f32_e32 v7, v61, v6
	v_add_f32_e32 v44, v44, v7
	ds_read_b128 v[64:67], v45 offset:4240
	s_waitcnt lgkmcnt(1)
	v_mul_f32_e32 v6, v11, v3
	v_fma_f32 v6, v10, v2, -v6
	v_mul_f32_e32 v7, v10, v3
	v_add_f32_e32 v46, v46, v6
	v_mul_f32_e32 v6, v11, v5
	v_fmac_f32_e32 v7, v11, v2
	v_fma_f32 v6, v10, v4, -v6
	v_add_f32_e32 v33, v33, v7
	v_mul_f32_e32 v7, v10, v5
	v_add_f32_e32 v10, v8, v6
	v_mul_f32_e32 v6, v63, v3
	v_fmac_f32_e32 v7, v11, v4
	v_fma_f32 v6, v62, v2, -v6
	v_mul_f32_e32 v3, v62, v3
	v_add_f32_e32 v11, v9, v7
	v_fmac_f32_e32 v3, v63, v2
	v_add_f32_e32 v2, v42, v6
	ds_read2_b64 v[6:9], v0 offset0:64 offset1:80
	v_add_f32_e32 v1, v1, v3
	v_mul_f32_e32 v3, v63, v5
	v_add_f32_e32 v40, v40, v48
	v_fma_f32 v3, v62, v4, -v3
	v_mul_f32_e32 v5, v62, v5
	v_add_f32_e32 v40, v40, v3
	s_waitcnt lgkmcnt(0)
	v_mul_f32_e32 v3, v57, v7
	v_fmac_f32_e32 v5, v63, v4
	v_fma_f32 v3, v56, v6, -v3
	v_mul_f32_e32 v4, v56, v7
	v_add_f32_e32 v42, v44, v5
	v_fmac_f32_e32 v4, v57, v6
	v_add_f32_e32 v44, v46, v3
	v_mul_f32_e32 v3, v57, v9
	v_add_f32_e32 v33, v33, v4
	v_fma_f32 v3, v56, v8, -v3
	v_mul_f32_e32 v4, v56, v9
	v_fmac_f32_e32 v4, v57, v8
	v_add_f32_e32 v10, v10, v3
	v_mul_f32_e32 v3, v65, v7
	v_add_f32_e32 v11, v11, v4
	v_fma_f32 v3, v64, v6, -v3
	v_mul_f32_e32 v4, v64, v7
	v_fmac_f32_e32 v4, v65, v6
	v_add_f32_e32 v6, v2, v3
	v_mul_f32_e32 v2, v65, v9
	v_add_f32_e32 v1, v1, v4
	v_fma_f32 v7, v64, v8, -v2
	ds_read2_b64 v[2:5], v0 offset0:96 offset1:112
	v_add_f32_e32 v40, v40, v7
	v_mul_f32_e32 v9, v64, v9
	v_fmac_f32_e32 v9, v65, v8
	v_add_f32_e32 v42, v42, v9
	s_waitcnt lgkmcnt(0)
	v_mul_f32_e32 v7, v59, v3
	v_fma_f32 v7, v58, v2, -v7
	v_mul_f32_e32 v8, v58, v3
	v_add_f32_e32 v44, v44, v7
	v_mul_f32_e32 v7, v59, v5
	v_fmac_f32_e32 v8, v59, v2
	v_fma_f32 v7, v58, v4, -v7
	v_add_f32_e32 v33, v33, v8
	v_mul_f32_e32 v8, v58, v5
	v_add_f32_e32 v10, v10, v7
	v_mul_f32_e32 v7, v67, v3
	v_fmac_f32_e32 v8, v59, v4
	v_fma_f32 v7, v66, v2, -v7
	v_add_f32_e32 v11, v11, v8
	v_mul_f32_e32 v3, v66, v3
	v_add_f32_e32 v46, v6, v7
	ds_read2_b64 v[6:9], v0 offset0:128 offset1:144
	ds_read_b128 v[56:59], v45 offset:160
	v_fmac_f32_e32 v3, v67, v2
	v_add_f32_e32 v1, v1, v3
	v_mul_f32_e32 v2, v67, v5
	v_mul_f32_e32 v3, v66, v5
	v_fma_f32 v2, v66, v4, -v2
	v_fmac_f32_e32 v3, v67, v4
	v_add_f32_e32 v40, v40, v2
	v_add_f32_e32 v42, v42, v3
	ds_read_b128 v[2:5], v45 offset:176
	ds_read_b128 v[60:63], v45 offset:4256
	s_waitcnt lgkmcnt(2)
	v_mul_f32_e32 v48, v57, v7
	v_fma_f32 v48, v56, v6, -v48
	v_add_f32_e32 v44, v44, v48
	v_mul_f32_e32 v48, v57, v9
	v_fma_f32 v48, v56, v8, -v48
	ds_read2_b64 v[68:71], v0 offset0:160 offset1:176
	v_mul_f32_e32 v50, v56, v7
	v_add_f32_e32 v10, v10, v48
	s_waitcnt lgkmcnt(1)
	v_mul_f32_e32 v48, v61, v7
	v_mul_f32_e32 v7, v60, v7
	v_fmac_f32_e32 v7, v61, v6
	v_add_f32_e32 v1, v1, v7
	v_mul_f32_e32 v7, v61, v9
	v_fmac_f32_e32 v50, v57, v6
	v_fma_f32 v7, v60, v8, -v7
	v_add_f32_e32 v33, v33, v50
	v_mul_f32_e32 v50, v56, v9
	v_mul_f32_e32 v9, v60, v9
	v_add_f32_e32 v40, v40, v7
	s_waitcnt lgkmcnt(0)
	v_mul_f32_e32 v7, v59, v69
	v_fmac_f32_e32 v50, v57, v8
	v_fmac_f32_e32 v9, v61, v8
	v_fma_f32 v7, v58, v68, -v7
	v_mul_f32_e32 v8, v58, v69
	v_fmac_f32_e32 v8, v59, v68
	v_add_f32_e32 v44, v44, v7
	v_mul_f32_e32 v7, v59, v71
	v_add_f32_e32 v33, v33, v8
	v_fma_f32 v7, v58, v70, -v7
	v_mul_f32_e32 v8, v58, v71
	v_add_f32_e32 v11, v11, v50
	v_fma_f32 v48, v60, v6, -v48
	v_fmac_f32_e32 v8, v59, v70
	v_add_f32_e32 v10, v10, v7
	v_mul_f32_e32 v7, v63, v69
	v_add_f32_e32 v6, v46, v48
	v_add_f32_e32 v11, v11, v8
	v_fma_f32 v7, v62, v68, -v7
	v_mul_f32_e32 v8, v62, v69
	v_fmac_f32_e32 v8, v63, v68
	v_add_f32_e32 v46, v6, v7
	v_mul_f32_e32 v6, v63, v71
	v_add_f32_e32 v42, v42, v9
	v_add_f32_e32 v1, v1, v8
	v_fma_f32 v48, v62, v70, -v6
	ds_read2_b64 v[6:9], v0 offset0:192 offset1:208
	ds_read_b128 v[64:67], v45 offset:4272
	v_add_f32_e32 v40, v40, v48
	v_mul_f32_e32 v50, v62, v71
	v_fmac_f32_e32 v50, v63, v70
	s_waitcnt lgkmcnt(1)
	v_mul_f32_e32 v48, v3, v7
	v_fma_f32 v48, v2, v6, -v48
	v_add_f32_e32 v44, v44, v48
	v_mul_f32_e32 v48, v3, v9
	v_add_f32_e32 v42, v42, v50
	v_mul_f32_e32 v50, v2, v7
	v_fma_f32 v48, v2, v8, -v48
	v_mul_f32_e32 v2, v2, v9
	v_fmac_f32_e32 v50, v3, v6
	v_fmac_f32_e32 v2, v3, v8
	s_waitcnt lgkmcnt(0)
	v_mul_f32_e32 v3, v64, v7
	v_add_f32_e32 v11, v11, v2
	v_mul_f32_e32 v2, v65, v7
	v_fmac_f32_e32 v3, v65, v6
	v_fma_f32 v2, v64, v6, -v2
	v_add_f32_e32 v7, v1, v3
	v_mul_f32_e32 v1, v65, v9
	v_add_f32_e32 v6, v46, v2
	v_fma_f32 v46, v64, v8, -v1
	ds_read2_b64 v[0:3], v0 offset0:224 offset1:240
	v_mul_f32_e32 v9, v64, v9
	v_fmac_f32_e32 v9, v65, v8
	v_add_f32_e32 v42, v42, v9
	v_add_f32_e32 v10, v10, v48
	s_waitcnt lgkmcnt(0)
	v_mul_f32_e32 v8, v5, v1
	v_fma_f32 v8, v4, v0, -v8
	v_add_f32_e32 v44, v44, v8
	v_mul_f32_e32 v8, v5, v3
	v_mul_f32_e32 v9, v4, v1
	v_fma_f32 v8, v4, v2, -v8
	v_mul_f32_e32 v4, v4, v3
	v_fmac_f32_e32 v4, v5, v2
	v_add_f32_e32 v48, v11, v4
	v_mul_f32_e32 v4, v67, v1
	v_mul_f32_e32 v1, v66, v1
	v_fmac_f32_e32 v9, v5, v0
	v_fma_f32 v4, v66, v0, -v4
	v_fmac_f32_e32 v1, v67, v0
	v_mul_f32_e32 v0, v67, v3
	v_add_f32_e32 v33, v33, v50
	v_fma_f32 v52, v66, v2, -v0
	v_add_u32_e32 v0, 0x1800, v41
	v_add_f32_e32 v40, v40, v46
	v_add_f32_e32 v33, v33, v9
	;; [unrolled: 1-line block ×5, first 2 shown]
	ds_read2_b64 v[4:7], v0 offset1:16
	ds_read_b128 v[8:11], v45 offset:192
	v_mul_f32_e32 v3, v66, v3
	ds_read_b128 v[56:59], v45 offset:208
	ds_read_b128 v[60:63], v45 offset:4288
	v_fmac_f32_e32 v3, v67, v2
	s_waitcnt lgkmcnt(2)
	v_mul_f32_e32 v2, v9, v5
	v_add_f32_e32 v42, v42, v3
	v_fma_f32 v2, v8, v4, -v2
	v_mul_f32_e32 v3, v8, v5
	v_fmac_f32_e32 v3, v9, v4
	v_add_f32_e32 v44, v44, v2
	v_mul_f32_e32 v2, v9, v7
	v_add_f32_e32 v33, v33, v3
	v_fma_f32 v2, v8, v6, -v2
	v_mul_f32_e32 v3, v8, v7
	v_fmac_f32_e32 v3, v9, v6
	v_add_f32_e32 v8, v46, v2
	s_waitcnt lgkmcnt(0)
	v_mul_f32_e32 v2, v61, v5
	v_add_f32_e32 v9, v48, v3
	v_fma_f32 v2, v60, v4, -v2
	v_mul_f32_e32 v3, v60, v5
	v_fmac_f32_e32 v3, v61, v4
	v_add_f32_e32 v46, v50, v2
	v_mul_f32_e32 v2, v61, v7
	v_add_f32_e32 v1, v1, v3
	v_fma_f32 v48, v60, v6, -v2
	ds_read2_b64 v[2:5], v0 offset0:32 offset1:48
	v_mul_f32_e32 v7, v60, v7
	v_fmac_f32_e32 v7, v61, v6
	v_add_f32_e32 v42, v42, v7
	v_add_f32_e32 v40, v40, v52
	s_waitcnt lgkmcnt(0)
	v_mul_f32_e32 v6, v11, v3
	v_fma_f32 v6, v10, v2, -v6
	v_mul_f32_e32 v7, v10, v3
	v_add_f32_e32 v44, v44, v6
	v_mul_f32_e32 v6, v11, v5
	v_fmac_f32_e32 v7, v11, v2
	v_fma_f32 v6, v10, v4, -v6
	v_add_f32_e32 v33, v33, v7
	v_mul_f32_e32 v7, v10, v5
	v_add_f32_e32 v10, v8, v6
	v_mul_f32_e32 v6, v63, v3
	v_fmac_f32_e32 v7, v11, v4
	v_fma_f32 v6, v62, v2, -v6
	v_mul_f32_e32 v3, v62, v3
	v_add_f32_e32 v11, v9, v7
	v_fmac_f32_e32 v3, v63, v2
	v_add_f32_e32 v2, v46, v6
	ds_read2_b64 v[6:9], v0 offset0:64 offset1:80
	v_add_f32_e32 v1, v1, v3
	v_mul_f32_e32 v3, v63, v5
	ds_read_b128 v[64:67], v45 offset:4304
	v_add_f32_e32 v40, v40, v48
	v_fma_f32 v3, v62, v4, -v3
	v_mul_f32_e32 v5, v62, v5
	v_add_f32_e32 v40, v40, v3
	s_waitcnt lgkmcnt(1)
	v_mul_f32_e32 v3, v57, v7
	v_fmac_f32_e32 v5, v63, v4
	v_fma_f32 v3, v56, v6, -v3
	v_mul_f32_e32 v4, v56, v7
	v_fmac_f32_e32 v4, v57, v6
	v_add_f32_e32 v44, v44, v3
	v_mul_f32_e32 v3, v57, v9
	v_add_f32_e32 v33, v33, v4
	v_fma_f32 v3, v56, v8, -v3
	v_mul_f32_e32 v4, v56, v9
	v_fmac_f32_e32 v4, v57, v8
	v_add_f32_e32 v10, v10, v3
	s_waitcnt lgkmcnt(0)
	v_mul_f32_e32 v3, v65, v7
	v_add_f32_e32 v11, v11, v4
	v_fma_f32 v3, v64, v6, -v3
	v_mul_f32_e32 v4, v64, v7
	v_fmac_f32_e32 v4, v65, v6
	v_add_f32_e32 v6, v2, v3
	v_mul_f32_e32 v2, v65, v9
	v_add_f32_e32 v42, v42, v5
	v_add_f32_e32 v1, v1, v4
	v_fma_f32 v7, v64, v8, -v2
	ds_read2_b64 v[2:5], v0 offset0:96 offset1:112
	v_add_f32_e32 v40, v40, v7
	v_mul_f32_e32 v9, v64, v9
	v_fmac_f32_e32 v9, v65, v8
	v_add_f32_e32 v42, v42, v9
	s_waitcnt lgkmcnt(0)
	v_mul_f32_e32 v7, v59, v3
	v_fma_f32 v7, v58, v2, -v7
	v_mul_f32_e32 v8, v58, v3
	v_add_f32_e32 v44, v44, v7
	v_mul_f32_e32 v7, v59, v5
	v_fmac_f32_e32 v8, v59, v2
	v_fma_f32 v7, v58, v4, -v7
	v_add_f32_e32 v33, v33, v8
	v_mul_f32_e32 v8, v58, v5
	v_add_f32_e32 v10, v10, v7
	v_mul_f32_e32 v7, v67, v3
	v_fmac_f32_e32 v8, v59, v4
	v_fma_f32 v7, v66, v2, -v7
	v_add_f32_e32 v11, v11, v8
	v_mul_f32_e32 v3, v66, v3
	v_add_f32_e32 v46, v6, v7
	ds_read2_b64 v[6:9], v0 offset0:128 offset1:144
	ds_read_b128 v[56:59], v45 offset:224
	v_fmac_f32_e32 v3, v67, v2
	v_add_f32_e32 v1, v1, v3
	v_mul_f32_e32 v2, v67, v5
	v_mul_f32_e32 v3, v66, v5
	v_fma_f32 v2, v66, v4, -v2
	v_fmac_f32_e32 v3, v67, v4
	v_add_f32_e32 v40, v40, v2
	v_add_f32_e32 v42, v42, v3
	ds_read_b128 v[2:5], v45 offset:240
	ds_read_b128 v[60:63], v45 offset:4320
	s_waitcnt lgkmcnt(2)
	v_mul_f32_e32 v48, v57, v7
	v_fma_f32 v48, v56, v6, -v48
	v_add_f32_e32 v44, v44, v48
	v_mul_f32_e32 v48, v57, v9
	v_fma_f32 v48, v56, v8, -v48
	ds_read2_b64 v[68:71], v0 offset0:160 offset1:176
	v_mul_f32_e32 v50, v56, v7
	v_add_f32_e32 v10, v10, v48
	s_waitcnt lgkmcnt(1)
	v_mul_f32_e32 v48, v61, v7
	v_mul_f32_e32 v7, v60, v7
	v_fmac_f32_e32 v7, v61, v6
	v_add_f32_e32 v1, v1, v7
	v_mul_f32_e32 v7, v61, v9
	v_fmac_f32_e32 v50, v57, v6
	v_fma_f32 v7, v60, v8, -v7
	v_add_f32_e32 v33, v33, v50
	v_mul_f32_e32 v50, v56, v9
	v_mul_f32_e32 v9, v60, v9
	v_add_f32_e32 v40, v40, v7
	s_waitcnt lgkmcnt(0)
	v_mul_f32_e32 v7, v59, v69
	v_fmac_f32_e32 v50, v57, v8
	v_fmac_f32_e32 v9, v61, v8
	v_fma_f32 v7, v58, v68, -v7
	v_mul_f32_e32 v8, v58, v69
	v_fmac_f32_e32 v8, v59, v68
	v_add_f32_e32 v44, v44, v7
	v_mul_f32_e32 v7, v59, v71
	v_add_f32_e32 v33, v33, v8
	v_fma_f32 v7, v58, v70, -v7
	v_mul_f32_e32 v8, v58, v71
	v_add_f32_e32 v11, v11, v50
	v_fma_f32 v48, v60, v6, -v48
	v_fmac_f32_e32 v8, v59, v70
	v_add_f32_e32 v10, v10, v7
	v_mul_f32_e32 v7, v63, v69
	v_add_f32_e32 v6, v46, v48
	v_add_f32_e32 v11, v11, v8
	v_fma_f32 v7, v62, v68, -v7
	v_mul_f32_e32 v8, v62, v69
	v_fmac_f32_e32 v8, v63, v68
	v_add_f32_e32 v46, v6, v7
	v_mul_f32_e32 v6, v63, v71
	v_add_f32_e32 v42, v42, v9
	v_add_f32_e32 v1, v1, v8
	v_fma_f32 v48, v62, v70, -v6
	ds_read2_b64 v[6:9], v0 offset0:192 offset1:208
	ds_read_b128 v[64:67], v45 offset:4336
	v_add_f32_e32 v40, v40, v48
	v_mul_f32_e32 v50, v62, v71
	v_fmac_f32_e32 v50, v63, v70
	s_waitcnt lgkmcnt(1)
	v_mul_f32_e32 v48, v3, v7
	v_fma_f32 v48, v2, v6, -v48
	v_add_f32_e32 v44, v44, v48
	v_mul_f32_e32 v48, v3, v9
	v_add_f32_e32 v42, v42, v50
	v_mul_f32_e32 v50, v2, v7
	v_fma_f32 v48, v2, v8, -v48
	v_mul_f32_e32 v2, v2, v9
	v_fmac_f32_e32 v50, v3, v6
	v_fmac_f32_e32 v2, v3, v8
	s_waitcnt lgkmcnt(0)
	v_mul_f32_e32 v3, v64, v7
	v_add_f32_e32 v11, v11, v2
	v_mul_f32_e32 v2, v65, v7
	v_fmac_f32_e32 v3, v65, v6
	v_fma_f32 v2, v64, v6, -v2
	v_add_f32_e32 v7, v1, v3
	v_mul_f32_e32 v1, v65, v9
	v_add_f32_e32 v6, v46, v2
	v_fma_f32 v46, v64, v8, -v1
	ds_read2_b64 v[0:3], v0 offset0:224 offset1:240
	v_mul_f32_e32 v9, v64, v9
	v_fmac_f32_e32 v9, v65, v8
	v_add_f32_e32 v9, v42, v9
	v_add_f32_e32 v33, v33, v50
	s_waitcnt lgkmcnt(0)
	v_mul_f32_e32 v42, v4, v1
	v_fmac_f32_e32 v42, v5, v0
	v_add_f32_e32 v8, v40, v46
	v_mul_f32_e32 v40, v5, v1
	v_add_f32_e32 v54, v33, v42
	v_mul_f32_e32 v33, v5, v3
	v_fma_f32 v40, v4, v0, -v40
	v_fma_f32 v33, v4, v2, -v33
	v_mul_f32_e32 v4, v4, v3
	v_fmac_f32_e32 v4, v5, v2
	v_add_f32_e32 v50, v11, v4
	v_mul_f32_e32 v4, v67, v1
	v_mul_f32_e32 v1, v66, v1
	s_add_u32 s26, s26, 32
	v_fmac_f32_e32 v1, v67, v0
	s_addc_u32 s27, s27, 0
	s_sub_i32 s10, s26, 32
	v_fma_f32 v4, v66, v0, -v4
	v_add_f32_e32 v46, v7, v1
	v_mul_f32_e32 v0, v67, v3
	v_mul_f32_e32 v1, v66, v3
	s_add_u32 s20, s20, 0x100
	v_add_f32_e32 v10, v10, v48
	v_fma_f32 v0, v66, v2, -v0
	v_fmac_f32_e32 v1, v67, v2
	s_addc_u32 s21, s21, 0
	v_add_f32_e32 v52, v44, v40
	v_add_f32_e32 v48, v10, v33
	;; [unrolled: 1-line block ×5, first 2 shown]
	s_cmp_ge_i32 s10, s50
	s_barrier
	s_cbranch_scc1 .LBB78_55
.LBB78_7:                               ;   Parent Loop BB78_4 Depth=1
                                        ; =>  This Inner Loop Header: Depth=2
	v_mov_b32_e32 v0, s27
	v_add_co_u32_e64 v2, s[10:11], s26, v12
	v_addc_co_u32_e64 v3, s[10:11], 0, v0, s[10:11]
	v_mov_b32_e32 v1, s21
	v_add_co_u32_e64 v0, s[10:11], s20, v13
	v_addc_co_u32_e64 v1, s[10:11], v17, v1, s[10:11]
	v_cmp_eq_u64_e64 s[10:11], s[26:27], v[24:25]
	v_cmp_le_i64_e64 s[12:13], s[40:41], v[2:3]
	s_and_b64 s[38:39], s[22:23], s[10:11]
	v_cmp_gt_i64_e64 s[10:11], v[2:3], v[18:19]
	s_or_b64 s[16:17], s[12:13], s[10:11]
	s_or_b64 s[16:17], s[16:17], s[38:39]
	;; [unrolled: 1-line block ×3, first 2 shown]
	s_xor_b64 s[16:17], s[16:17], -1
	s_and_saveexec_b64 s[28:29], s[16:17]
	s_xor_b64 s[16:17], exec, s[28:29]
	s_cbranch_execz .LBB78_9
; %bb.8:                                ;   in Loop: Header=BB78_7 Depth=2
	global_load_dwordx2 v[4:5], v[0:1], off
	s_waitcnt vmcnt(0)
	ds_write_b64 v43, v[4:5]
.LBB78_9:                               ;   in Loop: Header=BB78_7 Depth=2
	s_or_saveexec_b64 s[16:17], s[16:17]
	s_xor_b64 s[28:29], s[38:39], -1
	s_xor_b64 exec, exec, s[16:17]
	s_cbranch_execz .LBB78_15
; %bb.10:                               ;   in Loop: Header=BB78_7 Depth=2
	s_and_saveexec_b64 s[46:47], s[28:29]
	s_xor_b64 s[46:47], exec, s[46:47]
	s_cbranch_execz .LBB78_12
; %bb.11:                               ;   in Loop: Header=BB78_7 Depth=2
	v_mov_b32_e32 v4, v15
	v_mov_b32_e32 v5, v15
	ds_write_b64 v43, v[4:5]
.LBB78_12:                              ;   in Loop: Header=BB78_7 Depth=2
	s_andn2_saveexec_b64 s[46:47], s[46:47]
	s_cbranch_execz .LBB78_14
; %bb.13:                               ;   in Loop: Header=BB78_7 Depth=2
	ds_write_b64 v43, v[14:15]
.LBB78_14:                              ;   in Loop: Header=BB78_7 Depth=2
	s_or_b64 exec, exec, s[46:47]
.LBB78_15:                              ;   in Loop: Header=BB78_7 Depth=2
	s_or_b64 exec, exec, s[16:17]
	v_cmp_eq_u64_e64 s[16:17], s[26:27], v[26:27]
	s_and_b64 s[46:47], s[22:23], s[16:17]
	v_cmp_lt_i64_e64 s[16:17], v[20:21], v[2:3]
	s_or_b64 s[12:13], s[12:13], s[16:17]
	s_or_b64 s[12:13], s[12:13], s[46:47]
	;; [unrolled: 1-line block ×3, first 2 shown]
	s_xor_b64 s[12:13], s[12:13], -1
	s_and_saveexec_b64 s[16:17], s[12:13]
	s_xor_b64 s[16:17], exec, s[16:17]
	s_cbranch_execz .LBB78_17
; %bb.16:                               ;   in Loop: Header=BB78_7 Depth=2
	v_mov_b32_e32 v5, s21
	v_add_co_u32_e64 v4, s[12:13], s20, v49
	v_addc_co_u32_e64 v5, s[12:13], v51, v5, s[12:13]
	global_load_dwordx2 v[4:5], v[4:5], off
	s_waitcnt vmcnt(0)
	ds_write_b64 v43, v[4:5] offset:128
.LBB78_17:                              ;   in Loop: Header=BB78_7 Depth=2
	s_andn2_saveexec_b64 s[12:13], s[16:17]
	s_cbranch_execz .LBB78_23
; %bb.18:                               ;   in Loop: Header=BB78_7 Depth=2
	s_xor_b64 s[16:17], s[46:47], -1
	s_and_saveexec_b64 s[46:47], s[16:17]
	s_xor_b64 s[16:17], exec, s[46:47]
	s_cbranch_execz .LBB78_20
; %bb.19:                               ;   in Loop: Header=BB78_7 Depth=2
	v_mov_b32_e32 v4, v15
	v_mov_b32_e32 v5, v15
	ds_write_b64 v43, v[4:5] offset:128
.LBB78_20:                              ;   in Loop: Header=BB78_7 Depth=2
	s_andn2_saveexec_b64 s[16:17], s[16:17]
	s_cbranch_execz .LBB78_22
; %bb.21:                               ;   in Loop: Header=BB78_7 Depth=2
	ds_write_b64 v43, v[14:15] offset:128
.LBB78_22:                              ;   in Loop: Header=BB78_7 Depth=2
	s_or_b64 exec, exec, s[16:17]
.LBB78_23:                              ;   in Loop: Header=BB78_7 Depth=2
	s_or_b64 exec, exec, s[12:13]
	v_add_co_u32_e64 v2, s[12:13], 16, v2
	v_addc_co_u32_e64 v3, s[12:13], 0, v3, s[12:13]
	v_cmp_eq_u64_e64 s[16:17], s[26:27], v[28:29]
	v_cmp_le_i64_e64 s[12:13], s[40:41], v[2:3]
	s_and_b64 s[46:47], s[22:23], s[16:17]
	v_cmp_gt_i64_e64 s[16:17], v[2:3], v[18:19]
	s_or_b64 s[16:17], s[12:13], s[16:17]
	s_or_b64 s[16:17], s[16:17], s[46:47]
	;; [unrolled: 1-line block ×3, first 2 shown]
	s_xor_b64 s[16:17], s[16:17], -1
	s_and_saveexec_b64 s[52:53], s[16:17]
	s_xor_b64 s[16:17], exec, s[52:53]
	s_cbranch_execz .LBB78_25
; %bb.24:                               ;   in Loop: Header=BB78_7 Depth=2
	global_load_dwordx2 v[0:1], v[0:1], off offset:128
	s_waitcnt vmcnt(0)
	ds_write_b64 v43, v[0:1] offset:4096
.LBB78_25:                              ;   in Loop: Header=BB78_7 Depth=2
	s_andn2_saveexec_b64 s[16:17], s[16:17]
	s_cbranch_execz .LBB78_31
; %bb.26:                               ;   in Loop: Header=BB78_7 Depth=2
	s_xor_b64 s[46:47], s[46:47], -1
	s_and_saveexec_b64 s[52:53], s[46:47]
	s_xor_b64 s[46:47], exec, s[52:53]
	s_cbranch_execz .LBB78_28
; %bb.27:                               ;   in Loop: Header=BB78_7 Depth=2
	v_mov_b32_e32 v0, v15
	v_mov_b32_e32 v1, v15
	ds_write_b64 v43, v[0:1] offset:4096
.LBB78_28:                              ;   in Loop: Header=BB78_7 Depth=2
	s_andn2_saveexec_b64 s[46:47], s[46:47]
	s_cbranch_execz .LBB78_30
; %bb.29:                               ;   in Loop: Header=BB78_7 Depth=2
	ds_write_b64 v43, v[14:15] offset:4096
.LBB78_30:                              ;   in Loop: Header=BB78_7 Depth=2
	s_or_b64 exec, exec, s[46:47]
.LBB78_31:                              ;   in Loop: Header=BB78_7 Depth=2
	s_or_b64 exec, exec, s[16:17]
	s_or_b64 s[10:11], s[12:13], s[10:11]
	s_or_b64 s[10:11], s[10:11], s[38:39]
	;; [unrolled: 1-line block ×3, first 2 shown]
	s_xor_b64 s[10:11], s[10:11], -1
	s_and_saveexec_b64 s[12:13], s[10:11]
	s_xor_b64 s[12:13], exec, s[12:13]
	s_cbranch_execz .LBB78_33
; %bb.32:                               ;   in Loop: Header=BB78_7 Depth=2
	v_mov_b32_e32 v1, s21
	v_add_co_u32_e64 v0, s[10:11], s20, v49
	v_addc_co_u32_e64 v1, s[10:11], v51, v1, s[10:11]
	global_load_dwordx2 v[0:1], v[0:1], off offset:128
	s_waitcnt vmcnt(0)
	ds_write_b64 v43, v[0:1] offset:4224
.LBB78_33:                              ;   in Loop: Header=BB78_7 Depth=2
	s_andn2_saveexec_b64 s[10:11], s[12:13]
	s_cbranch_execz .LBB78_39
; %bb.34:                               ;   in Loop: Header=BB78_7 Depth=2
	s_and_saveexec_b64 s[12:13], s[28:29]
	s_xor_b64 s[12:13], exec, s[12:13]
	s_cbranch_execz .LBB78_36
; %bb.35:                               ;   in Loop: Header=BB78_7 Depth=2
	v_mov_b32_e32 v0, v15
	v_mov_b32_e32 v1, v15
	ds_write_b64 v43, v[0:1] offset:4224
.LBB78_36:                              ;   in Loop: Header=BB78_7 Depth=2
	s_andn2_saveexec_b64 s[12:13], s[12:13]
	s_cbranch_execz .LBB78_38
; %bb.37:                               ;   in Loop: Header=BB78_7 Depth=2
	ds_write_b64 v43, v[14:15] offset:4224
.LBB78_38:                              ;   in Loop: Header=BB78_7 Depth=2
	s_or_b64 exec, exec, s[12:13]
.LBB78_39:                              ;   in Loop: Header=BB78_7 Depth=2
	s_or_b64 exec, exec, s[10:11]
	v_mov_b32_e32 v1, s27
	v_add_co_u32_e64 v0, s[10:11], s26, v16
	v_addc_co_u32_e64 v1, s[10:11], 0, v1, s[10:11]
	v_cmp_gt_i64_e64 s[10:11], s[40:41], v[0:1]
	s_and_b64 s[12:13], vcc, s[10:11]
	s_xor_b64 s[12:13], s[12:13], -1
	s_and_saveexec_b64 s[16:17], s[12:13]
	s_xor_b64 s[12:13], exec, s[16:17]
	s_cbranch_execz .LBB78_41
; %bb.40:                               ;   in Loop: Header=BB78_7 Depth=2
	v_mov_b32_e32 v2, v15
	v_mov_b32_e32 v3, v15
	ds_write_b64 v47, v[2:3]
.LBB78_41:                              ;   in Loop: Header=BB78_7 Depth=2
	s_or_saveexec_b64 s[16:17], s[12:13]
	v_mov_b32_e32 v3, s21
	v_add_co_u32_e64 v2, s[12:13], s20, v36
	v_addc_co_u32_e64 v3, s[12:13], v37, v3, s[12:13]
	s_xor_b64 exec, exec, s[16:17]
	s_cbranch_execz .LBB78_43
; %bb.42:                               ;   in Loop: Header=BB78_7 Depth=2
	global_load_dwordx2 v[4:5], v[2:3], off offset:-128
	s_waitcnt vmcnt(0)
	ds_write_b64 v47, v[4:5]
.LBB78_43:                              ;   in Loop: Header=BB78_7 Depth=2
	s_or_b64 exec, exec, s[16:17]
	v_cmp_gt_i64_e64 s[12:13], s[42:43], v[0:1]
	s_and_b64 s[16:17], vcc, s[12:13]
	s_xor_b64 s[16:17], s[16:17], -1
	s_and_saveexec_b64 s[28:29], s[16:17]
	s_xor_b64 s[16:17], exec, s[28:29]
	s_cbranch_execz .LBB78_45
; %bb.44:                               ;   in Loop: Header=BB78_7 Depth=2
	v_mov_b32_e32 v0, v15
	v_mov_b32_e32 v1, v15
	ds_write_b64 v47, v[0:1] offset:128
                                        ; implicit-def: $vgpr2_vgpr3
.LBB78_45:                              ;   in Loop: Header=BB78_7 Depth=2
	s_andn2_saveexec_b64 s[16:17], s[16:17]
	s_cbranch_execz .LBB78_47
; %bb.46:                               ;   in Loop: Header=BB78_7 Depth=2
	global_load_dwordx2 v[0:1], v[2:3], off
	s_waitcnt vmcnt(0)
	ds_write_b64 v47, v[0:1] offset:128
.LBB78_47:                              ;   in Loop: Header=BB78_7 Depth=2
	s_or_b64 exec, exec, s[16:17]
	s_and_b64 s[10:11], s[8:9], s[10:11]
	s_xor_b64 s[10:11], s[10:11], -1
	s_and_saveexec_b64 s[16:17], s[10:11]
	s_xor_b64 s[10:11], exec, s[16:17]
	s_cbranch_execz .LBB78_49
; %bb.48:                               ;   in Loop: Header=BB78_7 Depth=2
	v_mov_b32_e32 v0, v15
	v_mov_b32_e32 v1, v15
	ds_write_b64 v47, v[0:1] offset:4096
.LBB78_49:                              ;   in Loop: Header=BB78_7 Depth=2
	s_andn2_saveexec_b64 s[16:17], s[10:11]
	s_cbranch_execz .LBB78_51
; %bb.50:                               ;   in Loop: Header=BB78_7 Depth=2
	v_mov_b32_e32 v1, s21
	v_add_co_u32_e64 v0, s[10:11], s20, v38
	v_addc_co_u32_e64 v1, s[10:11], v39, v1, s[10:11]
	global_load_dwordx2 v[0:1], v[0:1], off offset:-128
	s_waitcnt vmcnt(0)
	ds_write_b64 v47, v[0:1] offset:4096
.LBB78_51:                              ;   in Loop: Header=BB78_7 Depth=2
	s_or_b64 exec, exec, s[16:17]
	s_and_b64 s[10:11], s[8:9], s[12:13]
	s_xor_b64 s[10:11], s[10:11], -1
	s_and_saveexec_b64 s[12:13], s[10:11]
	s_xor_b64 s[10:11], exec, s[12:13]
	s_cbranch_execz .LBB78_53
; %bb.52:                               ;   in Loop: Header=BB78_7 Depth=2
	v_mov_b32_e32 v0, v15
	v_mov_b32_e32 v1, v15
	ds_write_b64 v47, v[0:1] offset:4224
.LBB78_53:                              ;   in Loop: Header=BB78_7 Depth=2
	s_andn2_saveexec_b64 s[12:13], s[10:11]
	s_cbranch_execz .LBB78_6
; %bb.54:                               ;   in Loop: Header=BB78_7 Depth=2
	v_mov_b32_e32 v1, s21
	v_add_co_u32_e64 v0, s[10:11], s20, v38
	v_addc_co_u32_e64 v1, s[10:11], v39, v1, s[10:11]
	global_load_dwordx2 v[0:1], v[0:1], off
	s_waitcnt vmcnt(0)
	ds_write_b64 v47, v[0:1] offset:4224
	s_branch .LBB78_6
.LBB78_55:                              ;   in Loop: Header=BB78_4 Depth=1
	v_mul_lo_u32 v2, v55, s44
	v_mul_lo_u32 v3, v53, s45
	v_mad_u64_u32 v[0:1], s[8:9], v53, s44, 0
	v_add3_u32 v1, v1, v3, v2
	v_lshlrev_b64 v[0:1], 3, v[0:1]
	v_mov_b32_e32 v2, s49
	v_add_co_u32_e64 v0, s[8:9], s48, v0
	v_cmp_gt_i32_e32 vcc, s30, v53
	v_addc_co_u32_e64 v1, s[8:9], v2, v1, s[8:9]
	s_and_b64 s[8:9], s[4:5], vcc
	s_and_saveexec_b64 s[10:11], s[8:9]
	s_cbranch_execz .LBB78_57
; %bb.56:                               ;   in Loop: Header=BB78_4 Depth=1
	v_add_co_u32_e64 v2, s[8:9], v0, v34
	v_addc_co_u32_e64 v3, s[8:9], v1, v35, s[8:9]
	global_load_dwordx2 v[4:5], v[2:3], off
	v_pk_mul_f32 v[6:7], v[54:55], s[34:35] op_sel_hi:[0,1]
	v_pk_fma_f32 v[8:9], v[52:53], s[34:35], v[6:7] op_sel:[0,0,1] op_sel_hi:[1,1,0] neg_lo:[0,0,1] neg_hi:[0,0,1]
	v_pk_fma_f32 v[6:7], v[52:53], s[34:35], v[6:7] op_sel:[0,0,1] op_sel_hi:[0,1,0]
	v_mov_b32_e32 v9, v7
	s_waitcnt vmcnt(0)
	v_pk_add_f32 v[4:5], v[4:5], v[8:9]
	global_store_dwordx2 v[2:3], v[4:5], off
.LBB78_57:                              ;   in Loop: Header=BB78_4 Depth=1
	s_or_b64 exec, exec, s[10:11]
	s_and_b64 s[10:11], s[14:15], vcc
	s_and_saveexec_b64 s[8:9], s[10:11]
	s_cbranch_execz .LBB78_59
; %bb.58:                               ;   in Loop: Header=BB78_4 Depth=1
	v_lshlrev_b64 v[2:3], 3, v[22:23]
	v_add_co_u32_e32 v0, vcc, v0, v2
	v_addc_co_u32_e32 v1, vcc, v1, v3, vcc
	global_load_dwordx2 v[2:3], v[0:1], off
	v_pk_mul_f32 v[4:5], v[50:51], s[34:35] op_sel_hi:[0,1]
	v_pk_fma_f32 v[6:7], v[48:49], s[34:35], v[4:5] op_sel:[0,0,1] op_sel_hi:[1,1,0] neg_lo:[0,0,1] neg_hi:[0,0,1]
	v_pk_fma_f32 v[4:5], v[48:49], s[34:35], v[4:5] op_sel:[0,0,1] op_sel_hi:[0,1,0]
	v_mov_b32_e32 v7, v5
	s_waitcnt vmcnt(0)
	v_pk_add_f32 v[2:3], v[2:3], v[6:7]
	global_store_dwordx2 v[0:1], v[2:3], off
.LBB78_59:                              ;   in Loop: Header=BB78_4 Depth=1
	s_or_b64 exec, exec, s[8:9]
	v_add_u32_e32 v0, 16, v53
	v_ashrrev_i32_e32 v1, 31, v0
	v_cmp_gt_i32_e32 vcc, s30, v0
	v_mul_lo_u32 v2, v1, s44
	v_mul_lo_u32 v3, v0, s45
	v_mad_u64_u32 v[0:1], s[8:9], v0, s44, 0
	v_add3_u32 v1, v1, v3, v2
	v_lshlrev_b64 v[0:1], 3, v[0:1]
	v_mov_b32_e32 v2, s49
	v_add_co_u32_e64 v0, s[8:9], s48, v0
	v_addc_co_u32_e64 v1, s[8:9], v2, v1, s[8:9]
	s_and_b64 s[8:9], s[4:5], vcc
	s_and_saveexec_b64 s[10:11], s[8:9]
	s_cbranch_execz .LBB78_61
; %bb.60:                               ;   in Loop: Header=BB78_4 Depth=1
	v_add_co_u32_e64 v2, s[8:9], v0, v34
	v_addc_co_u32_e64 v3, s[8:9], v1, v35, s[8:9]
	global_load_dwordx2 v[4:5], v[2:3], off
	v_pk_mul_f32 v[6:7], v[46:47], s[34:35] op_sel_hi:[0,1]
	v_pk_fma_f32 v[8:9], v[44:45], s[34:35], v[6:7] op_sel:[0,0,1] op_sel_hi:[1,1,0] neg_lo:[0,0,1] neg_hi:[0,0,1]
	v_pk_fma_f32 v[6:7], v[44:45], s[34:35], v[6:7] op_sel:[0,0,1] op_sel_hi:[0,1,0]
	v_mov_b32_e32 v9, v7
	s_waitcnt vmcnt(0)
	v_pk_add_f32 v[4:5], v[4:5], v[8:9]
	global_store_dwordx2 v[2:3], v[4:5], off
.LBB78_61:                              ;   in Loop: Header=BB78_4 Depth=1
	s_or_b64 exec, exec, s[10:11]
	s_and_b64 s[10:11], s[14:15], vcc
	s_and_saveexec_b64 s[8:9], s[10:11]
	s_cbranch_execz .LBB78_3
; %bb.62:                               ;   in Loop: Header=BB78_4 Depth=1
	v_lshlrev_b64 v[2:3], 3, v[22:23]
	v_add_co_u32_e32 v0, vcc, v0, v2
	v_addc_co_u32_e32 v1, vcc, v1, v3, vcc
	global_load_dwordx2 v[2:3], v[0:1], off
	v_pk_mul_f32 v[4:5], v[40:41], s[34:35] op_sel_hi:[0,1]
	v_pk_fma_f32 v[6:7], v[42:43], s[34:35], v[4:5] op_sel:[0,0,1] op_sel_hi:[1,1,0] neg_lo:[0,0,1] neg_hi:[0,0,1]
	v_pk_fma_f32 v[4:5], v[42:43], s[34:35], v[4:5] op_sel:[0,0,1] op_sel_hi:[0,1,0]
	v_mov_b32_e32 v7, v5
	s_waitcnt vmcnt(0)
	v_pk_add_f32 v[2:3], v[2:3], v[6:7]
	global_store_dwordx2 v[0:1], v[2:3], off
	s_branch .LBB78_3
.LBB78_63:
	s_endpgm
	.section	.rodata,"a",@progbits
	.p2align	6, 0x0
	.amdhsa_kernel _ZL30rocblas_trmm_outofplace_kernelI19rocblas_complex_numIfELi32ELi2ELb1ELb1ELb1ELb0EPKS1_S2_S1_Ev17rocblas_diagonal_iiT6_lPT7_lllS7_lllPT8_llli
		.amdhsa_group_segment_fixed_size 16384
		.amdhsa_private_segment_fixed_size 0
		.amdhsa_kernarg_size 392
		.amdhsa_user_sgpr_count 6
		.amdhsa_user_sgpr_private_segment_buffer 1
		.amdhsa_user_sgpr_dispatch_ptr 0
		.amdhsa_user_sgpr_queue_ptr 0
		.amdhsa_user_sgpr_kernarg_segment_ptr 1
		.amdhsa_user_sgpr_dispatch_id 0
		.amdhsa_user_sgpr_flat_scratch_init 0
		.amdhsa_user_sgpr_kernarg_preload_length 0
		.amdhsa_user_sgpr_kernarg_preload_offset 0
		.amdhsa_user_sgpr_private_segment_size 0
		.amdhsa_uses_dynamic_stack 0
		.amdhsa_system_sgpr_private_segment_wavefront_offset 0
		.amdhsa_system_sgpr_workgroup_id_x 1
		.amdhsa_system_sgpr_workgroup_id_y 1
		.amdhsa_system_sgpr_workgroup_id_z 1
		.amdhsa_system_sgpr_workgroup_info 0
		.amdhsa_system_vgpr_workitem_id 1
		.amdhsa_next_free_vgpr 76
		.amdhsa_next_free_sgpr 54
		.amdhsa_accum_offset 76
		.amdhsa_reserve_vcc 1
		.amdhsa_reserve_flat_scratch 0
		.amdhsa_float_round_mode_32 0
		.amdhsa_float_round_mode_16_64 0
		.amdhsa_float_denorm_mode_32 3
		.amdhsa_float_denorm_mode_16_64 3
		.amdhsa_dx10_clamp 1
		.amdhsa_ieee_mode 1
		.amdhsa_fp16_overflow 0
		.amdhsa_tg_split 0
		.amdhsa_exception_fp_ieee_invalid_op 0
		.amdhsa_exception_fp_denorm_src 0
		.amdhsa_exception_fp_ieee_div_zero 0
		.amdhsa_exception_fp_ieee_overflow 0
		.amdhsa_exception_fp_ieee_underflow 0
		.amdhsa_exception_fp_ieee_inexact 0
		.amdhsa_exception_int_div_zero 0
	.end_amdhsa_kernel
	.section	.text._ZL30rocblas_trmm_outofplace_kernelI19rocblas_complex_numIfELi32ELi2ELb1ELb1ELb1ELb0EPKS1_S2_S1_Ev17rocblas_diagonal_iiT6_lPT7_lllS7_lllPT8_llli,"axG",@progbits,_ZL30rocblas_trmm_outofplace_kernelI19rocblas_complex_numIfELi32ELi2ELb1ELb1ELb1ELb0EPKS1_S2_S1_Ev17rocblas_diagonal_iiT6_lPT7_lllS7_lllPT8_llli,comdat
.Lfunc_end78:
	.size	_ZL30rocblas_trmm_outofplace_kernelI19rocblas_complex_numIfELi32ELi2ELb1ELb1ELb1ELb0EPKS1_S2_S1_Ev17rocblas_diagonal_iiT6_lPT7_lllS7_lllPT8_llli, .Lfunc_end78-_ZL30rocblas_trmm_outofplace_kernelI19rocblas_complex_numIfELi32ELi2ELb1ELb1ELb1ELb0EPKS1_S2_S1_Ev17rocblas_diagonal_iiT6_lPT7_lllS7_lllPT8_llli
                                        ; -- End function
	.section	.AMDGPU.csdata,"",@progbits
; Kernel info:
; codeLenInByte = 6672
; NumSgprs: 58
; NumVgprs: 76
; NumAgprs: 0
; TotalNumVgprs: 76
; ScratchSize: 0
; MemoryBound: 1
; FloatMode: 240
; IeeeMode: 1
; LDSByteSize: 16384 bytes/workgroup (compile time only)
; SGPRBlocks: 7
; VGPRBlocks: 9
; NumSGPRsForWavesPerEU: 58
; NumVGPRsForWavesPerEU: 76
; AccumOffset: 76
; Occupancy: 6
; WaveLimiterHint : 0
; COMPUTE_PGM_RSRC2:SCRATCH_EN: 0
; COMPUTE_PGM_RSRC2:USER_SGPR: 6
; COMPUTE_PGM_RSRC2:TRAP_HANDLER: 0
; COMPUTE_PGM_RSRC2:TGID_X_EN: 1
; COMPUTE_PGM_RSRC2:TGID_Y_EN: 1
; COMPUTE_PGM_RSRC2:TGID_Z_EN: 1
; COMPUTE_PGM_RSRC2:TIDIG_COMP_CNT: 1
; COMPUTE_PGM_RSRC3_GFX90A:ACCUM_OFFSET: 18
; COMPUTE_PGM_RSRC3_GFX90A:TG_SPLIT: 0
	.section	.text._ZL30rocblas_trmm_outofplace_kernelI19rocblas_complex_numIfELi32ELi2ELb1ELb1ELb1ELb0ES1_KS1_S1_Ev17rocblas_diagonal_iiT6_lPT7_lllS6_lllPT8_llli,"axG",@progbits,_ZL30rocblas_trmm_outofplace_kernelI19rocblas_complex_numIfELi32ELi2ELb1ELb1ELb1ELb0ES1_KS1_S1_Ev17rocblas_diagonal_iiT6_lPT7_lllS6_lllPT8_llli,comdat
	.globl	_ZL30rocblas_trmm_outofplace_kernelI19rocblas_complex_numIfELi32ELi2ELb1ELb1ELb1ELb0ES1_KS1_S1_Ev17rocblas_diagonal_iiT6_lPT7_lllS6_lllPT8_llli ; -- Begin function _ZL30rocblas_trmm_outofplace_kernelI19rocblas_complex_numIfELi32ELi2ELb1ELb1ELb1ELb0ES1_KS1_S1_Ev17rocblas_diagonal_iiT6_lPT7_lllS6_lllPT8_llli
	.p2align	8
	.type	_ZL30rocblas_trmm_outofplace_kernelI19rocblas_complex_numIfELi32ELi2ELb1ELb1ELb1ELb0ES1_KS1_S1_Ev17rocblas_diagonal_iiT6_lPT7_lllS6_lllPT8_llli,@function
_ZL30rocblas_trmm_outofplace_kernelI19rocblas_complex_numIfELi32ELi2ELb1ELb1ELb1ELb0ES1_KS1_S1_Ev17rocblas_diagonal_iiT6_lPT7_lllS6_lllPT8_llli: ; @_ZL30rocblas_trmm_outofplace_kernelI19rocblas_complex_numIfELi32ELi2ELb1ELb1ELb1ELb0ES1_KS1_S1_Ev17rocblas_diagonal_iiT6_lPT7_lllS6_lllPT8_llli
; %bb.0:
	s_load_dwordx4 s[28:31], s[4:5], 0x0
	s_load_dword s35, s[4:5], 0x10
	s_waitcnt lgkmcnt(0)
	s_or_b32 s0, s31, s35
	s_bitset0_b32 s0, 31
	s_cmp_eq_u32 s0, 0
	s_cbranch_scc1 .LBB79_63
; %bb.1:
	s_add_i32 s0, s30, -1
	s_ashr_i32 s1, s0, 31
	s_lshr_b32 s1, s1, 27
	s_add_i32 s0, s0, s1
	s_ashr_i32 s33, s0, 5
	s_cmp_gt_i32 s7, s33
	s_cbranch_scc1 .LBB79_63
; %bb.2:
	s_load_dwordx16 s[12:27], s[4:5], 0x20
	s_load_dwordx8 s[36:43], s[4:5], 0x60
	s_mov_b32 s34, s31
	v_and_b32_e32 v16, 0x3ff, v0
	v_bfe_u32 v12, v0, 10, 10
	s_waitcnt lgkmcnt(0)
	s_mul_i32 s0, s8, s19
	s_mul_hi_u32 s1, s8, s18
	s_add_i32 s1, s1, s0
	s_mul_i32 s0, s8, s18
	s_lshl_b64 s[10:11], s[0:1], 3
	s_add_u32 s0, s12, s10
	s_addc_u32 s1, s13, s11
	s_lshl_b64 s[44:45], s[14:15], 3
	s_add_u32 s2, s0, s44
	s_addc_u32 s3, s1, s45
	s_mul_i32 s0, s8, s43
	s_mul_hi_u32 s1, s8, s42
	s_add_i32 s1, s1, s0
	s_mul_i32 s0, s8, s42
	s_lshl_b64 s[0:1], s[0:1], 3
	s_add_u32 s9, s36, s0
	s_addc_u32 s14, s37, s1
	s_lshl_b64 s[0:1], s[38:39], 3
	s_add_u32 s31, s9, s0
	s_addc_u32 s48, s14, s1
	s_lshl_b32 s49, s6, 5
	v_add_u32_e32 v18, s49, v16
	v_ashrrev_i32_e32 v19, 31, v18
	v_mul_lo_u32 v2, v19, s16
	v_mul_lo_u32 v3, v18, s17
	v_mad_u64_u32 v[0:1], s[0:1], v18, s16, 0
	v_add3_u32 v1, v1, v3, v2
	v_lshlrev_b64 v[0:1], 3, v[0:1]
	v_mov_b32_e32 v2, s3
	v_add_co_u32_e32 v0, vcc, s2, v0
	v_addc_co_u32_e32 v1, vcc, v2, v1, vcc
	v_lshlrev_b32_e32 v2, 3, v12
	v_add_co_u32_e32 v13, vcc, v0, v2
	s_cmp_gt_i32 s6, -1
	v_addc_co_u32_e32 v17, vcc, 0, v1, vcc
	s_cselect_b64 s[18:19], -1, 0
	s_cmpk_eq_i32 s28, 0x84
	s_cselect_b64 s[36:37], -1, 0
	s_ashr_i32 s39, s29, 31
	s_ashr_i32 s6, s30, 31
	v_add_co_u32_e32 v20, vcc, 16, v18
	v_addc_co_u32_e32 v21, vcc, 0, v19, vcc
	s_add_u32 s42, s29, -16
	s_mul_i32 s9, s27, s8
	s_mul_hi_u32 s27, s26, s8
	s_addc_u32 s43, s39, -1
	v_sub_co_u32_e32 v24, vcc, v18, v12
	s_add_i32 s9, s27, s9
	s_mul_i32 s8, s26, s8
	v_subbrev_co_u32_e32 v25, vcc, 0, v19, vcc
	s_lshl_b64 s[8:9], s[8:9], 3
	s_lshl_b64 s[22:23], s[22:23], 3
	v_add_co_u32_e32 v26, vcc, 16, v24
	s_add_u32 s8, s8, s22
	v_addc_co_u32_e32 v27, vcc, 0, v25, vcc
	s_addc_u32 s9, s9, s23
	s_load_dword s50, s[4:5], 0x8c
	v_add_co_u32_e32 v28, vcc, -16, v24
	s_add_u32 s8, s20, s8
	v_lshlrev_b32_e32 v0, 8, v12
	v_lshlrev_b32_e32 v41, 3, v16
	v_addc_co_u32_e32 v29, vcc, -1, v25, vcc
	s_addc_u32 s9, s21, s9
	v_add_u32_e32 v43, v41, v0
	v_add_u32_e32 v45, 0x2000, v0
	v_mov_b32_e32 v0, s9
	v_add_co_u32_e32 v1, vcc, s8, v41
	v_addc_co_u32_e32 v0, vcc, 0, v0, vcc
	s_movk_i32 s8, 0x80
	v_add_co_u32_e32 v30, vcc, s8, v1
	v_addc_co_u32_e32 v31, vcc, 0, v0, vcc
	s_lshl_b64 s[20:21], s[24:25], 3
	s_waitcnt lgkmcnt(0)
	s_lshl_b32 s51, s50, 5
	v_lshlrev_b64 v[34:35], 3, v[18:19]
	v_add_co_u32_e32 v3, vcc, s8, v34
	s_add_u32 s8, s44, s10
	v_addc_co_u32_e32 v0, vcc, 0, v35, vcc
	s_addc_u32 s9, s45, s11
	v_mul_lo_u32 v4, s16, v0
	v_pk_mov_b32 v[0:1], s[8:9], s[8:9] op_sel:[0,1]
	v_mul_lo_u32 v5, s17, v3
	v_mad_u64_u32 v[0:1], s[8:9], s16, v3, v[0:1]
	v_add3_u32 v1, v5, v1, v4
	v_add_co_u32_e32 v0, vcc, v0, v2
	v_addc_co_u32_e32 v1, vcc, 0, v1, vcc
	s_mov_b32 s38, s29
	v_add_u32_e32 v22, 16, v18
	v_mov_b32_e32 v2, s13
	v_add_co_u32_e32 v49, vcc, s12, v0
	v_mov_b32_e32 v15, 0
	v_cmp_le_i32_e64 s[0:1], s29, v18
	v_cmp_le_i64_e64 s[2:3], s[38:39], v[20:21]
	v_add_u32_e32 v47, v45, v41
	v_cmp_gt_i32_e64 s[4:5], s29, v18
	v_cmp_gt_i32_e64 s[14:15], s29, v22
	v_ashrrev_i32_e32 v23, 31, v22
	v_lshl_add_u32 v32, s7, 5, v12
	v_addc_co_u32_e32 v51, vcc, v2, v1, vcc
	v_mov_b32_e32 v14, 1.0
	s_branch .LBB79_4
.LBB79_3:                               ;   in Loop: Header=BB79_4 Depth=1
	s_or_b64 exec, exec, s[8:9]
	s_add_i32 s7, s50, s7
	s_cmp_le_i32 s7, s33
	v_add_u32_e32 v32, s51, v32
	s_cbranch_scc0 .LBB79_63
.LBB79_4:                               ; =>This Loop Header: Depth=1
                                        ;     Child Loop BB79_7 Depth 2
	v_lshl_add_u32 v53, s7, 5, v12
	v_ashrrev_i32_e32 v55, 31, v53
	s_andn2_b64 vcc, exec, s[18:19]
	v_mov_b32_e32 v52, v15
	v_mov_b32_e32 v54, v15
	;; [unrolled: 1-line block ×8, first 2 shown]
	s_cbranch_vccnz .LBB79_55
; %bb.5:                                ;   in Loop: Header=BB79_4 Depth=1
	v_ashrrev_i32_e32 v33, 31, v32
	v_mad_u64_u32 v[36:37], s[8:9], s20, v32, v[30:31]
	v_mul_lo_u32 v0, s21, v32
	v_mul_lo_u32 v1, s20, v33
	v_add3_u32 v37, v0, v37, v1
	v_lshlrev_b64 v[0:1], 3, v[32:33]
	v_add_co_u32_e32 v0, vcc, 0x80, v0
	v_addc_co_u32_e32 v1, vcc, 0, v1, vcc
	v_mul_lo_u32 v1, s24, v1
	v_mul_lo_u32 v2, s25, v0
	v_mad_u64_u32 v[38:39], s[8:9], s24, v0, v[30:31]
	v_add3_u32 v39, v2, v39, v1
	v_mov_b32_e32 v1, s6
	v_sub_co_u32_e32 v0, vcc, s30, v53
	v_subb_co_u32_e32 v1, vcc, v1, v55, vcc
	s_mov_b64 s[22:23], 0
	v_cmp_lt_i64_e32 vcc, 0, v[0:1]
	v_cmp_lt_i64_e64 s[8:9], 16, v[0:1]
	v_mov_b32_e32 v40, 0
	s_mov_b64 s[26:27], 0
	v_mov_b32_e32 v42, 0
	v_mov_b32_e32 v46, 0
	;; [unrolled: 1-line block ×7, first 2 shown]
	s_branch .LBB79_7
.LBB79_6:                               ;   in Loop: Header=BB79_7 Depth=2
	s_or_b64 exec, exec, s[12:13]
	s_waitcnt lgkmcnt(0)
	s_barrier
	ds_read2_b64 v[56:59], v41 offset1:16
	ds_read_b128 v[60:63], v45
	ds_read_b128 v[8:11], v45 offset:16
	ds_read_b128 v[4:7], v45 offset:32
	;; [unrolled: 1-line block ×3, first 2 shown]
	ds_read2_b64 v[72:75], v41 offset0:32 offset1:48
	s_waitcnt lgkmcnt(4)
	v_mul_f32_e32 v33, v61, v57
	v_mul_f32_e32 v64, v60, v57
	v_fma_f32 v33, v60, v56, -v33
	v_fmac_f32_e32 v64, v61, v56
	v_add_f32_e32 v33, v52, v33
	v_add_f32_e32 v52, v54, v64
	ds_read_b128 v[64:67], v45 offset:4096
	ds_read_b128 v[68:71], v45 offset:4112
	v_mul_f32_e32 v54, v61, v59
	v_fma_f32 v54, v60, v58, -v54
	v_add_f32_e32 v48, v48, v54
	s_waitcnt lgkmcnt(1)
	v_mul_f32_e32 v54, v65, v57
	v_mul_f32_e32 v57, v64, v57
	v_fma_f32 v54, v64, v56, -v54
	v_fmac_f32_e32 v57, v65, v56
	v_mul_f32_e32 v56, v64, v59
	v_fmac_f32_e32 v56, v65, v58
	v_add_f32_e32 v40, v40, v56
	v_mul_f32_e32 v56, v62, v73
	v_mul_f32_e32 v60, v60, v59
	v_add_f32_e32 v44, v44, v54
	v_mul_f32_e32 v54, v65, v59
	v_fmac_f32_e32 v56, v63, v72
	v_fmac_f32_e32 v60, v61, v58
	v_fma_f32 v54, v64, v58, -v54
	v_add_f32_e32 v52, v52, v56
	v_mul_f32_e32 v56, v62, v75
	v_add_f32_e32 v50, v50, v60
	v_add_f32_e32 v42, v42, v54
	v_mul_f32_e32 v54, v63, v73
	v_fmac_f32_e32 v56, v63, v74
	v_fma_f32 v54, v62, v72, -v54
	v_add_f32_e32 v50, v50, v56
	v_mul_f32_e32 v56, v66, v73
	v_add_f32_e32 v46, v46, v57
	v_add_f32_e32 v33, v33, v54
	v_mul_f32_e32 v54, v63, v75
	v_fmac_f32_e32 v56, v67, v72
	v_fma_f32 v54, v62, v74, -v54
	v_add_f32_e32 v46, v46, v56
	ds_read2_b64 v[56:59], v41 offset0:64 offset1:80
	v_add_f32_e32 v48, v48, v54
	v_mul_f32_e32 v54, v67, v73
	v_fma_f32 v54, v66, v72, -v54
	v_add_f32_e32 v44, v44, v54
	v_mul_f32_e32 v54, v67, v75
	v_fma_f32 v54, v66, v74, -v54
	v_mul_f32_e32 v60, v66, v75
	v_add_f32_e32 v42, v42, v54
	s_waitcnt lgkmcnt(0)
	v_mul_f32_e32 v54, v9, v57
	v_fmac_f32_e32 v60, v67, v74
	v_fma_f32 v54, v8, v56, -v54
	v_add_f32_e32 v40, v40, v60
	v_mul_f32_e32 v60, v8, v57
	v_add_f32_e32 v33, v33, v54
	v_mul_f32_e32 v54, v9, v59
	v_fmac_f32_e32 v60, v9, v56
	v_fma_f32 v54, v8, v58, -v54
	v_mul_f32_e32 v8, v8, v59
	v_add_f32_e32 v52, v52, v60
	v_fmac_f32_e32 v8, v9, v58
	ds_read2_b64 v[60:63], v41 offset0:96 offset1:112
	v_add_f32_e32 v9, v48, v54
	v_add_f32_e32 v8, v50, v8
	v_mul_f32_e32 v48, v69, v57
	v_mul_f32_e32 v50, v68, v57
	v_fma_f32 v48, v68, v56, -v48
	v_fmac_f32_e32 v50, v69, v56
	v_add_f32_e32 v44, v44, v48
	v_add_f32_e32 v46, v46, v50
	v_mul_f32_e32 v48, v69, v59
	v_mul_f32_e32 v50, v68, v59
	v_fma_f32 v48, v68, v58, -v48
	v_fmac_f32_e32 v50, v69, v58
	v_add_f32_e32 v42, v42, v48
	v_add_f32_e32 v40, v40, v50
	s_waitcnt lgkmcnt(0)
	v_mul_f32_e32 v48, v11, v61
	v_mul_f32_e32 v50, v10, v61
	v_fma_f32 v48, v10, v60, -v48
	v_fmac_f32_e32 v50, v11, v60
	v_add_f32_e32 v33, v33, v48
	v_add_f32_e32 v48, v52, v50
	v_mul_f32_e32 v50, v11, v63
	v_fma_f32 v50, v10, v62, -v50
	v_mul_f32_e32 v10, v10, v63
	v_fmac_f32_e32 v10, v11, v62
	v_add_f32_e32 v52, v8, v10
	v_mul_f32_e32 v8, v71, v61
	v_add_f32_e32 v50, v9, v50
	v_fma_f32 v8, v70, v60, -v8
	v_mul_f32_e32 v9, v70, v61
	v_fmac_f32_e32 v9, v71, v60
	v_add_f32_e32 v44, v44, v8
	v_mul_f32_e32 v8, v71, v63
	v_add_f32_e32 v46, v46, v9
	v_fma_f32 v54, v70, v62, -v8
	ds_read2_b64 v[8:11], v41 offset0:128 offset1:144
	v_mul_f32_e32 v56, v70, v63
	v_fmac_f32_e32 v56, v71, v62
	v_add_f32_e32 v40, v40, v56
	v_add_f32_e32 v42, v42, v54
	s_waitcnt lgkmcnt(0)
	v_mul_f32_e32 v56, v4, v9
	v_fmac_f32_e32 v56, v5, v8
	v_add_f32_e32 v48, v48, v56
	ds_read_b128 v[56:59], v45 offset:4128
	ds_read_b128 v[60:63], v45 offset:4144
	v_mul_f32_e32 v54, v5, v9
	v_fma_f32 v54, v4, v8, -v54
	v_add_f32_e32 v33, v33, v54
	v_mul_f32_e32 v54, v5, v11
	v_fma_f32 v54, v4, v10, -v54
	v_mul_f32_e32 v4, v4, v11
	ds_read2_b64 v[64:67], v41 offset0:160 offset1:176
	v_fmac_f32_e32 v4, v5, v10
	v_add_f32_e32 v5, v50, v54
	s_waitcnt lgkmcnt(2)
	v_mul_f32_e32 v50, v57, v9
	v_fma_f32 v50, v56, v8, -v50
	v_mul_f32_e32 v9, v56, v9
	v_fmac_f32_e32 v9, v57, v8
	v_add_f32_e32 v8, v44, v50
	v_mul_f32_e32 v44, v57, v11
	v_mul_f32_e32 v11, v56, v11
	v_fma_f32 v44, v56, v10, -v44
	v_fmac_f32_e32 v11, v57, v10
	v_add_f32_e32 v10, v42, v44
	v_add_f32_e32 v11, v40, v11
	s_waitcnt lgkmcnt(0)
	v_mul_f32_e32 v40, v7, v65
	v_mul_f32_e32 v42, v6, v65
	v_fma_f32 v40, v6, v64, -v40
	v_fmac_f32_e32 v42, v7, v64
	v_add_f32_e32 v33, v33, v40
	v_add_f32_e32 v40, v48, v42
	v_mul_f32_e32 v42, v7, v67
	v_fma_f32 v42, v6, v66, -v42
	v_mul_f32_e32 v6, v6, v67
	v_add_f32_e32 v4, v52, v4
	v_fmac_f32_e32 v6, v7, v66
	v_add_f32_e32 v44, v4, v6
	v_mul_f32_e32 v4, v59, v65
	v_add_f32_e32 v42, v5, v42
	v_fma_f32 v4, v58, v64, -v4
	v_mul_f32_e32 v5, v58, v65
	v_add_f32_e32 v9, v46, v9
	v_fmac_f32_e32 v5, v59, v64
	v_add_f32_e32 v8, v8, v4
	v_mul_f32_e32 v4, v59, v67
	v_add_f32_e32 v9, v9, v5
	v_fma_f32 v46, v58, v66, -v4
	ds_read2_b64 v[4:7], v41 offset0:192 offset1:208
	v_add_f32_e32 v46, v10, v46
	v_mul_f32_e32 v48, v58, v67
	v_fmac_f32_e32 v48, v59, v66
	v_add_f32_e32 v48, v11, v48
	s_waitcnt lgkmcnt(0)
	v_mul_f32_e32 v10, v1, v5
	v_fma_f32 v10, v0, v4, -v10
	v_add_f32_e32 v33, v33, v10
	v_mul_f32_e32 v10, v1, v7
	v_mul_f32_e32 v11, v0, v5
	v_fma_f32 v10, v0, v6, -v10
	v_mul_f32_e32 v0, v0, v7
	v_fmac_f32_e32 v11, v1, v4
	v_fmac_f32_e32 v0, v1, v6
	v_add_f32_e32 v1, v42, v10
	v_mul_f32_e32 v10, v61, v5
	v_fma_f32 v10, v60, v4, -v10
	v_mul_f32_e32 v5, v60, v5
	v_fmac_f32_e32 v5, v61, v4
	v_add_f32_e32 v4, v8, v10
	v_mul_f32_e32 v8, v61, v7
	v_add_f32_e32 v40, v40, v11
	v_add_f32_e32 v5, v9, v5
	v_fma_f32 v42, v60, v6, -v8
	ds_read2_b64 v[8:11], v41 offset0:224 offset1:240
	v_mul_f32_e32 v7, v60, v7
	v_fmac_f32_e32 v7, v61, v6
	v_add_f32_e32 v0, v44, v0
	v_add_f32_e32 v44, v48, v7
	s_waitcnt lgkmcnt(0)
	v_mul_f32_e32 v6, v3, v9
	v_fma_f32 v6, v2, v8, -v6
	v_add_f32_e32 v33, v33, v6
	v_mul_f32_e32 v6, v3, v11
	v_mul_f32_e32 v7, v2, v9
	v_fma_f32 v6, v2, v10, -v6
	v_mul_f32_e32 v2, v2, v11
	v_fmac_f32_e32 v2, v3, v10
	v_add_f32_e32 v42, v46, v42
	v_add_f32_e32 v46, v0, v2
	v_mul_f32_e32 v0, v63, v9
	v_fma_f32 v0, v62, v8, -v0
	v_mul_f32_e32 v2, v62, v9
	v_add_f32_e32 v48, v4, v0
	v_mul_f32_e32 v0, v63, v11
	v_fmac_f32_e32 v7, v3, v8
	v_fmac_f32_e32 v2, v63, v8
	v_fma_f32 v52, v62, v10, -v0
	v_add_u32_e32 v0, 0x800, v41
	v_add_f32_e32 v40, v40, v7
	v_add_f32_e32 v1, v1, v6
	v_add_f32_e32 v50, v5, v2
	ds_read2_b64 v[2:5], v0 offset1:16
	ds_read_b128 v[6:9], v45 offset:64
	v_mul_f32_e32 v11, v62, v11
	v_fmac_f32_e32 v11, v63, v10
	ds_read_b128 v[56:59], v45 offset:80
	ds_read_b128 v[60:63], v45 offset:4160
	v_add_f32_e32 v10, v42, v52
	s_waitcnt lgkmcnt(2)
	v_mul_f32_e32 v42, v7, v3
	v_fma_f32 v42, v6, v2, -v42
	v_add_f32_e32 v33, v33, v42
	v_mul_f32_e32 v42, v7, v5
	ds_read2_b64 v[68:71], v0 offset0:32 offset1:48
	v_add_f32_e32 v11, v44, v11
	v_mul_f32_e32 v44, v6, v3
	v_fma_f32 v42, v6, v4, -v42
	v_mul_f32_e32 v6, v6, v5
	v_fmac_f32_e32 v44, v7, v2
	v_fmac_f32_e32 v6, v7, v4
	s_waitcnt lgkmcnt(1)
	v_mul_f32_e32 v7, v61, v3
	v_fma_f32 v7, v60, v2, -v7
	v_mul_f32_e32 v3, v60, v3
	v_fmac_f32_e32 v3, v61, v2
	v_add_f32_e32 v2, v48, v7
	v_mul_f32_e32 v7, v61, v5
	v_mul_f32_e32 v5, v60, v5
	v_fma_f32 v7, v60, v4, -v7
	v_fmac_f32_e32 v5, v61, v4
	s_waitcnt lgkmcnt(0)
	v_mul_f32_e32 v4, v9, v69
	v_add_f32_e32 v7, v10, v7
	v_add_f32_e32 v10, v11, v5
	v_fma_f32 v4, v8, v68, -v4
	v_mul_f32_e32 v5, v8, v69
	v_add_f32_e32 v40, v40, v44
	v_fmac_f32_e32 v5, v9, v68
	v_add_f32_e32 v11, v33, v4
	v_mul_f32_e32 v4, v9, v71
	v_add_f32_e32 v1, v1, v42
	v_add_f32_e32 v33, v40, v5
	v_fma_f32 v4, v8, v70, -v4
	v_mul_f32_e32 v5, v8, v71
	v_add_f32_e32 v6, v46, v6
	v_fmac_f32_e32 v5, v9, v70
	v_add_f32_e32 v1, v1, v4
	v_mul_f32_e32 v4, v63, v69
	v_add_f32_e32 v6, v6, v5
	v_fma_f32 v4, v62, v68, -v4
	v_mul_f32_e32 v5, v62, v69
	v_add_f32_e32 v3, v50, v3
	v_fmac_f32_e32 v5, v63, v68
	v_add_f32_e32 v8, v2, v4
	v_mul_f32_e32 v2, v63, v71
	v_add_f32_e32 v9, v3, v5
	v_fma_f32 v40, v62, v70, -v2
	ds_read2_b64 v[2:5], v0 offset0:64 offset1:80
	v_mul_f32_e32 v42, v62, v71
	ds_read_b128 v[64:67], v45 offset:4176
	v_fmac_f32_e32 v42, v63, v70
	v_add_f32_e32 v10, v10, v42
	s_waitcnt lgkmcnt(1)
	v_mul_f32_e32 v42, v56, v3
	v_fmac_f32_e32 v42, v57, v2
	v_add_f32_e32 v33, v33, v42
	v_mul_f32_e32 v42, v56, v5
	v_add_f32_e32 v40, v7, v40
	v_mul_f32_e32 v7, v57, v3
	v_fmac_f32_e32 v42, v57, v4
	v_fma_f32 v7, v56, v2, -v7
	v_add_f32_e32 v42, v6, v42
	s_waitcnt lgkmcnt(0)
	v_mul_f32_e32 v6, v65, v3
	v_add_f32_e32 v11, v11, v7
	v_mul_f32_e32 v7, v57, v5
	v_fma_f32 v6, v64, v2, -v6
	v_mul_f32_e32 v3, v64, v3
	v_fma_f32 v7, v56, v4, -v7
	v_fmac_f32_e32 v3, v65, v2
	v_add_f32_e32 v2, v8, v6
	v_mul_f32_e32 v6, v65, v5
	v_add_f32_e32 v1, v1, v7
	v_add_f32_e32 v3, v9, v3
	v_fma_f32 v44, v64, v4, -v6
	ds_read2_b64 v[6:9], v0 offset0:96 offset1:112
	v_mul_f32_e32 v5, v64, v5
	v_fmac_f32_e32 v5, v65, v4
	v_add_f32_e32 v10, v10, v5
	v_add_f32_e32 v40, v40, v44
	s_waitcnt lgkmcnt(0)
	v_mul_f32_e32 v4, v59, v7
	v_fma_f32 v4, v58, v6, -v4
	v_mul_f32_e32 v5, v58, v7
	v_fmac_f32_e32 v5, v59, v6
	v_add_f32_e32 v11, v11, v4
	v_mul_f32_e32 v4, v59, v9
	v_add_f32_e32 v33, v33, v5
	v_fma_f32 v4, v58, v8, -v4
	v_mul_f32_e32 v5, v58, v9
	v_fmac_f32_e32 v5, v59, v8
	v_add_f32_e32 v1, v1, v4
	v_mul_f32_e32 v4, v67, v7
	v_add_f32_e32 v42, v42, v5
	;; [unrolled: 6-line block ×3, first 2 shown]
	v_fma_f32 v6, v66, v8, -v2
	ds_read2_b64 v[2:5], v0 offset0:128 offset1:144
	ds_read_b128 v[56:59], v45 offset:96
	v_mul_f32_e32 v7, v66, v9
	v_fmac_f32_e32 v7, v67, v8
	v_add_f32_e32 v40, v40, v6
	v_add_f32_e32 v10, v10, v7
	ds_read_b128 v[6:9], v45 offset:112
	ds_read_b128 v[60:63], v45 offset:4192
	s_waitcnt lgkmcnt(2)
	v_mul_f32_e32 v48, v57, v3
	v_fma_f32 v48, v56, v2, -v48
	v_add_f32_e32 v11, v11, v48
	v_mul_f32_e32 v48, v57, v5
	ds_read2_b64 v[68:71], v0 offset0:160 offset1:176
	v_fma_f32 v48, v56, v4, -v48
	v_mul_f32_e32 v50, v56, v3
	v_add_f32_e32 v1, v1, v48
	s_waitcnt lgkmcnt(1)
	v_mul_f32_e32 v48, v61, v3
	v_fmac_f32_e32 v50, v57, v2
	v_fma_f32 v48, v60, v2, -v48
	v_mul_f32_e32 v3, v60, v3
	v_add_f32_e32 v33, v33, v50
	v_mul_f32_e32 v50, v56, v5
	v_fmac_f32_e32 v3, v61, v2
	v_add_f32_e32 v2, v44, v48
	v_mul_f32_e32 v44, v61, v5
	v_mul_f32_e32 v5, v60, v5
	v_fmac_f32_e32 v50, v57, v4
	v_fma_f32 v44, v60, v4, -v44
	v_fmac_f32_e32 v5, v61, v4
	s_waitcnt lgkmcnt(0)
	v_mul_f32_e32 v4, v59, v69
	v_add_f32_e32 v10, v10, v5
	v_fma_f32 v4, v58, v68, -v4
	v_mul_f32_e32 v5, v58, v69
	v_fmac_f32_e32 v5, v59, v68
	v_add_f32_e32 v11, v11, v4
	v_mul_f32_e32 v4, v59, v71
	v_add_f32_e32 v33, v33, v5
	v_fma_f32 v4, v58, v70, -v4
	v_mul_f32_e32 v5, v58, v71
	v_add_f32_e32 v42, v42, v50
	v_fmac_f32_e32 v5, v59, v70
	v_add_f32_e32 v1, v1, v4
	v_mul_f32_e32 v4, v63, v69
	v_add_f32_e32 v42, v42, v5
	v_fma_f32 v4, v62, v68, -v4
	v_mul_f32_e32 v5, v62, v69
	v_add_f32_e32 v3, v46, v3
	v_add_f32_e32 v40, v40, v44
	v_fmac_f32_e32 v5, v63, v68
	v_add_f32_e32 v44, v2, v4
	v_mul_f32_e32 v2, v63, v71
	v_add_f32_e32 v46, v3, v5
	v_fma_f32 v48, v62, v70, -v2
	ds_read2_b64 v[2:5], v0 offset0:192 offset1:208
	ds_read_b128 v[64:67], v45 offset:4208
	v_add_f32_e32 v40, v40, v48
	v_mul_f32_e32 v50, v62, v71
	v_fmac_f32_e32 v50, v63, v70
	s_waitcnt lgkmcnt(1)
	v_mul_f32_e32 v48, v7, v3
	v_fma_f32 v48, v6, v2, -v48
	v_add_f32_e32 v11, v11, v48
	v_mul_f32_e32 v48, v7, v5
	v_add_f32_e32 v10, v10, v50
	v_mul_f32_e32 v50, v6, v3
	v_fma_f32 v48, v6, v4, -v48
	v_mul_f32_e32 v6, v6, v5
	v_fmac_f32_e32 v50, v7, v2
	v_fmac_f32_e32 v6, v7, v4
	v_add_f32_e32 v7, v1, v48
	s_waitcnt lgkmcnt(0)
	v_mul_f32_e32 v1, v65, v3
	v_fma_f32 v1, v64, v2, -v1
	v_mul_f32_e32 v3, v64, v3
	v_add_f32_e32 v6, v42, v6
	v_fmac_f32_e32 v3, v65, v2
	v_add_f32_e32 v42, v44, v1
	v_mul_f32_e32 v1, v65, v5
	v_add_f32_e32 v44, v46, v3
	v_fma_f32 v46, v64, v4, -v1
	ds_read2_b64 v[0:3], v0 offset0:224 offset1:240
	v_mul_f32_e32 v5, v64, v5
	v_fmac_f32_e32 v5, v65, v4
	v_add_f32_e32 v40, v40, v46
	v_add_f32_e32 v46, v10, v5
	s_waitcnt lgkmcnt(0)
	v_mul_f32_e32 v4, v9, v1
	v_fma_f32 v4, v8, v0, -v4
	v_add_f32_e32 v48, v11, v4
	v_mul_f32_e32 v4, v9, v3
	v_mul_f32_e32 v5, v8, v1
	v_fma_f32 v4, v8, v2, -v4
	v_add_f32_e32 v33, v33, v50
	v_fmac_f32_e32 v5, v9, v0
	v_add_f32_e32 v50, v7, v4
	v_mul_f32_e32 v4, v67, v1
	v_mul_f32_e32 v1, v66, v1
	v_add_f32_e32 v33, v33, v5
	v_mul_f32_e32 v5, v8, v3
	v_fma_f32 v4, v66, v0, -v4
	v_fmac_f32_e32 v1, v67, v0
	v_mul_f32_e32 v0, v67, v3
	v_fmac_f32_e32 v5, v9, v2
	v_add_f32_e32 v1, v44, v1
	v_fma_f32 v44, v66, v2, -v0
	v_add_u32_e32 v0, 0x1000, v41
	v_add_f32_e32 v52, v6, v5
	v_add_f32_e32 v42, v42, v4
	ds_read2_b64 v[4:7], v0 offset1:16
	ds_read_b128 v[8:11], v45 offset:128
	v_mul_f32_e32 v3, v66, v3
	ds_read_b128 v[56:59], v45 offset:144
	ds_read_b128 v[60:63], v45 offset:4224
	v_fmac_f32_e32 v3, v67, v2
	s_waitcnt lgkmcnt(2)
	v_mul_f32_e32 v2, v9, v5
	v_add_f32_e32 v40, v40, v44
	v_add_f32_e32 v44, v46, v3
	v_fma_f32 v2, v8, v4, -v2
	v_mul_f32_e32 v3, v8, v5
	v_fmac_f32_e32 v3, v9, v4
	v_add_f32_e32 v46, v48, v2
	v_mul_f32_e32 v2, v9, v7
	v_add_f32_e32 v33, v33, v3
	v_fma_f32 v2, v8, v6, -v2
	v_mul_f32_e32 v3, v8, v7
	v_fmac_f32_e32 v3, v9, v6
	v_add_f32_e32 v8, v50, v2
	s_waitcnt lgkmcnt(0)
	v_mul_f32_e32 v2, v61, v5
	v_add_f32_e32 v9, v52, v3
	v_fma_f32 v2, v60, v4, -v2
	v_mul_f32_e32 v3, v60, v5
	v_fmac_f32_e32 v3, v61, v4
	v_add_f32_e32 v42, v42, v2
	v_mul_f32_e32 v2, v61, v7
	v_add_f32_e32 v1, v1, v3
	v_fma_f32 v48, v60, v6, -v2
	ds_read2_b64 v[2:5], v0 offset0:32 offset1:48
	v_mul_f32_e32 v7, v60, v7
	v_fmac_f32_e32 v7, v61, v6
	v_add_f32_e32 v44, v44, v7
	ds_read_b128 v[64:67], v45 offset:4240
	s_waitcnt lgkmcnt(1)
	v_mul_f32_e32 v6, v11, v3
	v_fma_f32 v6, v10, v2, -v6
	v_mul_f32_e32 v7, v10, v3
	v_add_f32_e32 v46, v46, v6
	v_mul_f32_e32 v6, v11, v5
	v_fmac_f32_e32 v7, v11, v2
	v_fma_f32 v6, v10, v4, -v6
	v_add_f32_e32 v33, v33, v7
	v_mul_f32_e32 v7, v10, v5
	v_add_f32_e32 v10, v8, v6
	v_mul_f32_e32 v6, v63, v3
	v_fmac_f32_e32 v7, v11, v4
	v_fma_f32 v6, v62, v2, -v6
	v_mul_f32_e32 v3, v62, v3
	v_add_f32_e32 v11, v9, v7
	v_fmac_f32_e32 v3, v63, v2
	v_add_f32_e32 v2, v42, v6
	ds_read2_b64 v[6:9], v0 offset0:64 offset1:80
	v_add_f32_e32 v1, v1, v3
	v_mul_f32_e32 v3, v63, v5
	v_add_f32_e32 v40, v40, v48
	v_fma_f32 v3, v62, v4, -v3
	v_mul_f32_e32 v5, v62, v5
	v_add_f32_e32 v40, v40, v3
	s_waitcnt lgkmcnt(0)
	v_mul_f32_e32 v3, v57, v7
	v_fmac_f32_e32 v5, v63, v4
	v_fma_f32 v3, v56, v6, -v3
	v_mul_f32_e32 v4, v56, v7
	v_add_f32_e32 v42, v44, v5
	v_fmac_f32_e32 v4, v57, v6
	v_add_f32_e32 v44, v46, v3
	v_mul_f32_e32 v3, v57, v9
	v_add_f32_e32 v33, v33, v4
	v_fma_f32 v3, v56, v8, -v3
	v_mul_f32_e32 v4, v56, v9
	v_fmac_f32_e32 v4, v57, v8
	v_add_f32_e32 v10, v10, v3
	v_mul_f32_e32 v3, v65, v7
	v_add_f32_e32 v11, v11, v4
	v_fma_f32 v3, v64, v6, -v3
	v_mul_f32_e32 v4, v64, v7
	v_fmac_f32_e32 v4, v65, v6
	v_add_f32_e32 v6, v2, v3
	v_mul_f32_e32 v2, v65, v9
	v_add_f32_e32 v1, v1, v4
	v_fma_f32 v7, v64, v8, -v2
	ds_read2_b64 v[2:5], v0 offset0:96 offset1:112
	v_add_f32_e32 v40, v40, v7
	v_mul_f32_e32 v9, v64, v9
	v_fmac_f32_e32 v9, v65, v8
	v_add_f32_e32 v42, v42, v9
	s_waitcnt lgkmcnt(0)
	v_mul_f32_e32 v7, v59, v3
	v_fma_f32 v7, v58, v2, -v7
	v_mul_f32_e32 v8, v58, v3
	v_add_f32_e32 v44, v44, v7
	v_mul_f32_e32 v7, v59, v5
	v_fmac_f32_e32 v8, v59, v2
	v_fma_f32 v7, v58, v4, -v7
	v_add_f32_e32 v33, v33, v8
	v_mul_f32_e32 v8, v58, v5
	v_add_f32_e32 v10, v10, v7
	v_mul_f32_e32 v7, v67, v3
	v_fmac_f32_e32 v8, v59, v4
	v_fma_f32 v7, v66, v2, -v7
	v_add_f32_e32 v11, v11, v8
	v_mul_f32_e32 v3, v66, v3
	v_add_f32_e32 v46, v6, v7
	ds_read2_b64 v[6:9], v0 offset0:128 offset1:144
	ds_read_b128 v[56:59], v45 offset:160
	v_fmac_f32_e32 v3, v67, v2
	v_add_f32_e32 v1, v1, v3
	v_mul_f32_e32 v2, v67, v5
	v_mul_f32_e32 v3, v66, v5
	v_fma_f32 v2, v66, v4, -v2
	v_fmac_f32_e32 v3, v67, v4
	v_add_f32_e32 v40, v40, v2
	v_add_f32_e32 v42, v42, v3
	ds_read_b128 v[2:5], v45 offset:176
	ds_read_b128 v[60:63], v45 offset:4256
	s_waitcnt lgkmcnt(2)
	v_mul_f32_e32 v48, v57, v7
	v_fma_f32 v48, v56, v6, -v48
	v_add_f32_e32 v44, v44, v48
	v_mul_f32_e32 v48, v57, v9
	v_fma_f32 v48, v56, v8, -v48
	ds_read2_b64 v[68:71], v0 offset0:160 offset1:176
	v_mul_f32_e32 v50, v56, v7
	v_add_f32_e32 v10, v10, v48
	s_waitcnt lgkmcnt(1)
	v_mul_f32_e32 v48, v61, v7
	v_mul_f32_e32 v7, v60, v7
	v_fmac_f32_e32 v7, v61, v6
	v_add_f32_e32 v1, v1, v7
	v_mul_f32_e32 v7, v61, v9
	v_fmac_f32_e32 v50, v57, v6
	v_fma_f32 v7, v60, v8, -v7
	v_add_f32_e32 v33, v33, v50
	v_mul_f32_e32 v50, v56, v9
	v_mul_f32_e32 v9, v60, v9
	v_add_f32_e32 v40, v40, v7
	s_waitcnt lgkmcnt(0)
	v_mul_f32_e32 v7, v59, v69
	v_fmac_f32_e32 v50, v57, v8
	v_fmac_f32_e32 v9, v61, v8
	v_fma_f32 v7, v58, v68, -v7
	v_mul_f32_e32 v8, v58, v69
	v_fmac_f32_e32 v8, v59, v68
	v_add_f32_e32 v44, v44, v7
	v_mul_f32_e32 v7, v59, v71
	v_add_f32_e32 v33, v33, v8
	v_fma_f32 v7, v58, v70, -v7
	v_mul_f32_e32 v8, v58, v71
	v_add_f32_e32 v11, v11, v50
	v_fma_f32 v48, v60, v6, -v48
	v_fmac_f32_e32 v8, v59, v70
	v_add_f32_e32 v10, v10, v7
	v_mul_f32_e32 v7, v63, v69
	v_add_f32_e32 v6, v46, v48
	v_add_f32_e32 v11, v11, v8
	v_fma_f32 v7, v62, v68, -v7
	v_mul_f32_e32 v8, v62, v69
	v_fmac_f32_e32 v8, v63, v68
	v_add_f32_e32 v46, v6, v7
	v_mul_f32_e32 v6, v63, v71
	v_add_f32_e32 v42, v42, v9
	v_add_f32_e32 v1, v1, v8
	v_fma_f32 v48, v62, v70, -v6
	ds_read2_b64 v[6:9], v0 offset0:192 offset1:208
	ds_read_b128 v[64:67], v45 offset:4272
	v_add_f32_e32 v40, v40, v48
	v_mul_f32_e32 v50, v62, v71
	v_fmac_f32_e32 v50, v63, v70
	s_waitcnt lgkmcnt(1)
	v_mul_f32_e32 v48, v3, v7
	v_fma_f32 v48, v2, v6, -v48
	v_add_f32_e32 v44, v44, v48
	v_mul_f32_e32 v48, v3, v9
	v_add_f32_e32 v42, v42, v50
	v_mul_f32_e32 v50, v2, v7
	v_fma_f32 v48, v2, v8, -v48
	v_mul_f32_e32 v2, v2, v9
	v_fmac_f32_e32 v50, v3, v6
	v_fmac_f32_e32 v2, v3, v8
	s_waitcnt lgkmcnt(0)
	v_mul_f32_e32 v3, v64, v7
	v_add_f32_e32 v11, v11, v2
	v_mul_f32_e32 v2, v65, v7
	v_fmac_f32_e32 v3, v65, v6
	v_fma_f32 v2, v64, v6, -v2
	v_add_f32_e32 v7, v1, v3
	v_mul_f32_e32 v1, v65, v9
	v_add_f32_e32 v6, v46, v2
	v_fma_f32 v46, v64, v8, -v1
	ds_read2_b64 v[0:3], v0 offset0:224 offset1:240
	v_mul_f32_e32 v9, v64, v9
	v_fmac_f32_e32 v9, v65, v8
	v_add_f32_e32 v42, v42, v9
	v_add_f32_e32 v10, v10, v48
	s_waitcnt lgkmcnt(0)
	v_mul_f32_e32 v8, v5, v1
	v_fma_f32 v8, v4, v0, -v8
	v_add_f32_e32 v44, v44, v8
	v_mul_f32_e32 v8, v5, v3
	v_mul_f32_e32 v9, v4, v1
	v_fma_f32 v8, v4, v2, -v8
	v_mul_f32_e32 v4, v4, v3
	v_fmac_f32_e32 v4, v5, v2
	v_add_f32_e32 v48, v11, v4
	v_mul_f32_e32 v4, v67, v1
	v_mul_f32_e32 v1, v66, v1
	v_fmac_f32_e32 v9, v5, v0
	v_fma_f32 v4, v66, v0, -v4
	v_fmac_f32_e32 v1, v67, v0
	v_mul_f32_e32 v0, v67, v3
	v_add_f32_e32 v33, v33, v50
	v_fma_f32 v52, v66, v2, -v0
	v_add_u32_e32 v0, 0x1800, v41
	v_add_f32_e32 v40, v40, v46
	v_add_f32_e32 v33, v33, v9
	;; [unrolled: 1-line block ×5, first 2 shown]
	ds_read2_b64 v[4:7], v0 offset1:16
	ds_read_b128 v[8:11], v45 offset:192
	v_mul_f32_e32 v3, v66, v3
	ds_read_b128 v[56:59], v45 offset:208
	ds_read_b128 v[60:63], v45 offset:4288
	v_fmac_f32_e32 v3, v67, v2
	s_waitcnt lgkmcnt(2)
	v_mul_f32_e32 v2, v9, v5
	v_add_f32_e32 v42, v42, v3
	v_fma_f32 v2, v8, v4, -v2
	v_mul_f32_e32 v3, v8, v5
	v_fmac_f32_e32 v3, v9, v4
	v_add_f32_e32 v44, v44, v2
	v_mul_f32_e32 v2, v9, v7
	v_add_f32_e32 v33, v33, v3
	v_fma_f32 v2, v8, v6, -v2
	v_mul_f32_e32 v3, v8, v7
	v_fmac_f32_e32 v3, v9, v6
	v_add_f32_e32 v8, v46, v2
	s_waitcnt lgkmcnt(0)
	v_mul_f32_e32 v2, v61, v5
	v_add_f32_e32 v9, v48, v3
	v_fma_f32 v2, v60, v4, -v2
	v_mul_f32_e32 v3, v60, v5
	v_fmac_f32_e32 v3, v61, v4
	v_add_f32_e32 v46, v50, v2
	v_mul_f32_e32 v2, v61, v7
	v_add_f32_e32 v1, v1, v3
	v_fma_f32 v48, v60, v6, -v2
	ds_read2_b64 v[2:5], v0 offset0:32 offset1:48
	v_mul_f32_e32 v7, v60, v7
	v_fmac_f32_e32 v7, v61, v6
	v_add_f32_e32 v42, v42, v7
	v_add_f32_e32 v40, v40, v52
	s_waitcnt lgkmcnt(0)
	v_mul_f32_e32 v6, v11, v3
	v_fma_f32 v6, v10, v2, -v6
	v_mul_f32_e32 v7, v10, v3
	v_add_f32_e32 v44, v44, v6
	v_mul_f32_e32 v6, v11, v5
	v_fmac_f32_e32 v7, v11, v2
	v_fma_f32 v6, v10, v4, -v6
	v_add_f32_e32 v33, v33, v7
	v_mul_f32_e32 v7, v10, v5
	v_add_f32_e32 v10, v8, v6
	v_mul_f32_e32 v6, v63, v3
	v_fmac_f32_e32 v7, v11, v4
	v_fma_f32 v6, v62, v2, -v6
	v_mul_f32_e32 v3, v62, v3
	v_add_f32_e32 v11, v9, v7
	v_fmac_f32_e32 v3, v63, v2
	v_add_f32_e32 v2, v46, v6
	ds_read2_b64 v[6:9], v0 offset0:64 offset1:80
	v_add_f32_e32 v1, v1, v3
	v_mul_f32_e32 v3, v63, v5
	ds_read_b128 v[64:67], v45 offset:4304
	v_add_f32_e32 v40, v40, v48
	v_fma_f32 v3, v62, v4, -v3
	v_mul_f32_e32 v5, v62, v5
	v_add_f32_e32 v40, v40, v3
	s_waitcnt lgkmcnt(1)
	v_mul_f32_e32 v3, v57, v7
	v_fmac_f32_e32 v5, v63, v4
	v_fma_f32 v3, v56, v6, -v3
	v_mul_f32_e32 v4, v56, v7
	v_fmac_f32_e32 v4, v57, v6
	v_add_f32_e32 v44, v44, v3
	v_mul_f32_e32 v3, v57, v9
	v_add_f32_e32 v33, v33, v4
	v_fma_f32 v3, v56, v8, -v3
	v_mul_f32_e32 v4, v56, v9
	v_fmac_f32_e32 v4, v57, v8
	v_add_f32_e32 v10, v10, v3
	s_waitcnt lgkmcnt(0)
	v_mul_f32_e32 v3, v65, v7
	v_add_f32_e32 v11, v11, v4
	v_fma_f32 v3, v64, v6, -v3
	v_mul_f32_e32 v4, v64, v7
	v_fmac_f32_e32 v4, v65, v6
	v_add_f32_e32 v6, v2, v3
	v_mul_f32_e32 v2, v65, v9
	v_add_f32_e32 v42, v42, v5
	v_add_f32_e32 v1, v1, v4
	v_fma_f32 v7, v64, v8, -v2
	ds_read2_b64 v[2:5], v0 offset0:96 offset1:112
	v_add_f32_e32 v40, v40, v7
	v_mul_f32_e32 v9, v64, v9
	v_fmac_f32_e32 v9, v65, v8
	v_add_f32_e32 v42, v42, v9
	s_waitcnt lgkmcnt(0)
	v_mul_f32_e32 v7, v59, v3
	v_fma_f32 v7, v58, v2, -v7
	v_mul_f32_e32 v8, v58, v3
	v_add_f32_e32 v44, v44, v7
	v_mul_f32_e32 v7, v59, v5
	v_fmac_f32_e32 v8, v59, v2
	v_fma_f32 v7, v58, v4, -v7
	v_add_f32_e32 v33, v33, v8
	v_mul_f32_e32 v8, v58, v5
	v_add_f32_e32 v10, v10, v7
	v_mul_f32_e32 v7, v67, v3
	v_fmac_f32_e32 v8, v59, v4
	v_fma_f32 v7, v66, v2, -v7
	v_add_f32_e32 v11, v11, v8
	v_mul_f32_e32 v3, v66, v3
	v_add_f32_e32 v46, v6, v7
	ds_read2_b64 v[6:9], v0 offset0:128 offset1:144
	ds_read_b128 v[56:59], v45 offset:224
	v_fmac_f32_e32 v3, v67, v2
	v_add_f32_e32 v1, v1, v3
	v_mul_f32_e32 v2, v67, v5
	v_mul_f32_e32 v3, v66, v5
	v_fma_f32 v2, v66, v4, -v2
	v_fmac_f32_e32 v3, v67, v4
	v_add_f32_e32 v40, v40, v2
	v_add_f32_e32 v42, v42, v3
	ds_read_b128 v[2:5], v45 offset:240
	ds_read_b128 v[60:63], v45 offset:4320
	s_waitcnt lgkmcnt(2)
	v_mul_f32_e32 v48, v57, v7
	v_fma_f32 v48, v56, v6, -v48
	v_add_f32_e32 v44, v44, v48
	v_mul_f32_e32 v48, v57, v9
	v_fma_f32 v48, v56, v8, -v48
	ds_read2_b64 v[68:71], v0 offset0:160 offset1:176
	v_mul_f32_e32 v50, v56, v7
	v_add_f32_e32 v10, v10, v48
	s_waitcnt lgkmcnt(1)
	v_mul_f32_e32 v48, v61, v7
	v_mul_f32_e32 v7, v60, v7
	v_fmac_f32_e32 v7, v61, v6
	v_add_f32_e32 v1, v1, v7
	v_mul_f32_e32 v7, v61, v9
	v_fmac_f32_e32 v50, v57, v6
	v_fma_f32 v7, v60, v8, -v7
	v_add_f32_e32 v33, v33, v50
	v_mul_f32_e32 v50, v56, v9
	v_mul_f32_e32 v9, v60, v9
	v_add_f32_e32 v40, v40, v7
	s_waitcnt lgkmcnt(0)
	v_mul_f32_e32 v7, v59, v69
	v_fmac_f32_e32 v50, v57, v8
	v_fmac_f32_e32 v9, v61, v8
	v_fma_f32 v7, v58, v68, -v7
	v_mul_f32_e32 v8, v58, v69
	v_fmac_f32_e32 v8, v59, v68
	v_add_f32_e32 v44, v44, v7
	v_mul_f32_e32 v7, v59, v71
	v_add_f32_e32 v33, v33, v8
	v_fma_f32 v7, v58, v70, -v7
	v_mul_f32_e32 v8, v58, v71
	v_add_f32_e32 v11, v11, v50
	v_fma_f32 v48, v60, v6, -v48
	v_fmac_f32_e32 v8, v59, v70
	v_add_f32_e32 v10, v10, v7
	v_mul_f32_e32 v7, v63, v69
	v_add_f32_e32 v6, v46, v48
	v_add_f32_e32 v11, v11, v8
	v_fma_f32 v7, v62, v68, -v7
	v_mul_f32_e32 v8, v62, v69
	v_fmac_f32_e32 v8, v63, v68
	v_add_f32_e32 v46, v6, v7
	v_mul_f32_e32 v6, v63, v71
	v_add_f32_e32 v42, v42, v9
	v_add_f32_e32 v1, v1, v8
	v_fma_f32 v48, v62, v70, -v6
	ds_read2_b64 v[6:9], v0 offset0:192 offset1:208
	ds_read_b128 v[64:67], v45 offset:4336
	v_add_f32_e32 v40, v40, v48
	v_mul_f32_e32 v50, v62, v71
	v_fmac_f32_e32 v50, v63, v70
	s_waitcnt lgkmcnt(1)
	v_mul_f32_e32 v48, v3, v7
	v_fma_f32 v48, v2, v6, -v48
	v_add_f32_e32 v44, v44, v48
	v_mul_f32_e32 v48, v3, v9
	v_add_f32_e32 v42, v42, v50
	v_mul_f32_e32 v50, v2, v7
	v_fma_f32 v48, v2, v8, -v48
	v_mul_f32_e32 v2, v2, v9
	v_fmac_f32_e32 v50, v3, v6
	v_fmac_f32_e32 v2, v3, v8
	s_waitcnt lgkmcnt(0)
	v_mul_f32_e32 v3, v64, v7
	v_add_f32_e32 v11, v11, v2
	v_mul_f32_e32 v2, v65, v7
	v_fmac_f32_e32 v3, v65, v6
	v_fma_f32 v2, v64, v6, -v2
	v_add_f32_e32 v7, v1, v3
	v_mul_f32_e32 v1, v65, v9
	v_add_f32_e32 v6, v46, v2
	v_fma_f32 v46, v64, v8, -v1
	ds_read2_b64 v[0:3], v0 offset0:224 offset1:240
	v_mul_f32_e32 v9, v64, v9
	v_fmac_f32_e32 v9, v65, v8
	v_add_f32_e32 v9, v42, v9
	v_add_f32_e32 v33, v33, v50
	s_waitcnt lgkmcnt(0)
	v_mul_f32_e32 v42, v4, v1
	v_fmac_f32_e32 v42, v5, v0
	v_add_f32_e32 v8, v40, v46
	v_mul_f32_e32 v40, v5, v1
	v_add_f32_e32 v54, v33, v42
	v_mul_f32_e32 v33, v5, v3
	v_fma_f32 v40, v4, v0, -v40
	v_fma_f32 v33, v4, v2, -v33
	v_mul_f32_e32 v4, v4, v3
	v_fmac_f32_e32 v4, v5, v2
	v_add_f32_e32 v50, v11, v4
	v_mul_f32_e32 v4, v67, v1
	v_mul_f32_e32 v1, v66, v1
	s_add_u32 s26, s26, 32
	v_fmac_f32_e32 v1, v67, v0
	s_addc_u32 s27, s27, 0
	s_sub_i32 s10, s26, 32
	v_fma_f32 v4, v66, v0, -v4
	v_add_f32_e32 v46, v7, v1
	v_mul_f32_e32 v0, v67, v3
	v_mul_f32_e32 v1, v66, v3
	s_add_u32 s22, s22, 0x100
	v_add_f32_e32 v10, v10, v48
	v_fma_f32 v0, v66, v2, -v0
	v_fmac_f32_e32 v1, v67, v2
	s_addc_u32 s23, s23, 0
	v_add_f32_e32 v52, v44, v40
	v_add_f32_e32 v48, v10, v33
	;; [unrolled: 1-line block ×5, first 2 shown]
	s_cmp_ge_i32 s10, s49
	s_barrier
	s_cbranch_scc1 .LBB79_55
.LBB79_7:                               ;   Parent Loop BB79_4 Depth=1
                                        ; =>  This Inner Loop Header: Depth=2
	v_mov_b32_e32 v0, s27
	v_add_co_u32_e64 v2, s[10:11], s26, v12
	v_addc_co_u32_e64 v3, s[10:11], 0, v0, s[10:11]
	v_mov_b32_e32 v1, s23
	v_add_co_u32_e64 v0, s[10:11], s22, v13
	v_addc_co_u32_e64 v1, s[10:11], v17, v1, s[10:11]
	v_cmp_eq_u64_e64 s[10:11], s[26:27], v[24:25]
	v_cmp_le_i64_e64 s[12:13], s[38:39], v[2:3]
	s_and_b64 s[44:45], s[36:37], s[10:11]
	v_cmp_gt_i64_e64 s[10:11], v[2:3], v[18:19]
	s_or_b64 s[16:17], s[12:13], s[10:11]
	s_or_b64 s[16:17], s[16:17], s[44:45]
	;; [unrolled: 1-line block ×3, first 2 shown]
	s_xor_b64 s[16:17], s[16:17], -1
	s_and_saveexec_b64 s[28:29], s[16:17]
	s_xor_b64 s[16:17], exec, s[28:29]
	s_cbranch_execz .LBB79_9
; %bb.8:                                ;   in Loop: Header=BB79_7 Depth=2
	global_load_dwordx2 v[4:5], v[0:1], off
	s_waitcnt vmcnt(0)
	ds_write_b64 v43, v[4:5]
.LBB79_9:                               ;   in Loop: Header=BB79_7 Depth=2
	s_or_saveexec_b64 s[16:17], s[16:17]
	s_xor_b64 s[28:29], s[44:45], -1
	s_xor_b64 exec, exec, s[16:17]
	s_cbranch_execz .LBB79_15
; %bb.10:                               ;   in Loop: Header=BB79_7 Depth=2
	s_and_saveexec_b64 s[46:47], s[28:29]
	s_xor_b64 s[46:47], exec, s[46:47]
	s_cbranch_execz .LBB79_12
; %bb.11:                               ;   in Loop: Header=BB79_7 Depth=2
	v_mov_b32_e32 v4, v15
	v_mov_b32_e32 v5, v15
	ds_write_b64 v43, v[4:5]
.LBB79_12:                              ;   in Loop: Header=BB79_7 Depth=2
	s_andn2_saveexec_b64 s[46:47], s[46:47]
	s_cbranch_execz .LBB79_14
; %bb.13:                               ;   in Loop: Header=BB79_7 Depth=2
	ds_write_b64 v43, v[14:15]
.LBB79_14:                              ;   in Loop: Header=BB79_7 Depth=2
	s_or_b64 exec, exec, s[46:47]
.LBB79_15:                              ;   in Loop: Header=BB79_7 Depth=2
	s_or_b64 exec, exec, s[16:17]
	v_cmp_eq_u64_e64 s[16:17], s[26:27], v[26:27]
	s_and_b64 s[46:47], s[36:37], s[16:17]
	v_cmp_lt_i64_e64 s[16:17], v[20:21], v[2:3]
	s_or_b64 s[12:13], s[12:13], s[16:17]
	s_or_b64 s[12:13], s[12:13], s[46:47]
	;; [unrolled: 1-line block ×3, first 2 shown]
	s_xor_b64 s[12:13], s[12:13], -1
	s_and_saveexec_b64 s[16:17], s[12:13]
	s_xor_b64 s[16:17], exec, s[16:17]
	s_cbranch_execz .LBB79_17
; %bb.16:                               ;   in Loop: Header=BB79_7 Depth=2
	v_mov_b32_e32 v5, s23
	v_add_co_u32_e64 v4, s[12:13], s22, v49
	v_addc_co_u32_e64 v5, s[12:13], v51, v5, s[12:13]
	global_load_dwordx2 v[4:5], v[4:5], off
	s_waitcnt vmcnt(0)
	ds_write_b64 v43, v[4:5] offset:128
.LBB79_17:                              ;   in Loop: Header=BB79_7 Depth=2
	s_andn2_saveexec_b64 s[12:13], s[16:17]
	s_cbranch_execz .LBB79_23
; %bb.18:                               ;   in Loop: Header=BB79_7 Depth=2
	s_xor_b64 s[16:17], s[46:47], -1
	s_and_saveexec_b64 s[46:47], s[16:17]
	s_xor_b64 s[16:17], exec, s[46:47]
	s_cbranch_execz .LBB79_20
; %bb.19:                               ;   in Loop: Header=BB79_7 Depth=2
	v_mov_b32_e32 v4, v15
	v_mov_b32_e32 v5, v15
	ds_write_b64 v43, v[4:5] offset:128
.LBB79_20:                              ;   in Loop: Header=BB79_7 Depth=2
	s_andn2_saveexec_b64 s[16:17], s[16:17]
	s_cbranch_execz .LBB79_22
; %bb.21:                               ;   in Loop: Header=BB79_7 Depth=2
	ds_write_b64 v43, v[14:15] offset:128
.LBB79_22:                              ;   in Loop: Header=BB79_7 Depth=2
	s_or_b64 exec, exec, s[16:17]
.LBB79_23:                              ;   in Loop: Header=BB79_7 Depth=2
	s_or_b64 exec, exec, s[12:13]
	v_add_co_u32_e64 v2, s[12:13], 16, v2
	v_addc_co_u32_e64 v3, s[12:13], 0, v3, s[12:13]
	v_cmp_eq_u64_e64 s[16:17], s[26:27], v[28:29]
	v_cmp_le_i64_e64 s[12:13], s[38:39], v[2:3]
	s_and_b64 s[46:47], s[36:37], s[16:17]
	v_cmp_gt_i64_e64 s[16:17], v[2:3], v[18:19]
	s_or_b64 s[16:17], s[12:13], s[16:17]
	s_or_b64 s[16:17], s[16:17], s[46:47]
	;; [unrolled: 1-line block ×3, first 2 shown]
	s_xor_b64 s[16:17], s[16:17], -1
	s_and_saveexec_b64 s[52:53], s[16:17]
	s_xor_b64 s[16:17], exec, s[52:53]
	s_cbranch_execz .LBB79_25
; %bb.24:                               ;   in Loop: Header=BB79_7 Depth=2
	global_load_dwordx2 v[0:1], v[0:1], off offset:128
	s_waitcnt vmcnt(0)
	ds_write_b64 v43, v[0:1] offset:4096
.LBB79_25:                              ;   in Loop: Header=BB79_7 Depth=2
	s_andn2_saveexec_b64 s[16:17], s[16:17]
	s_cbranch_execz .LBB79_31
; %bb.26:                               ;   in Loop: Header=BB79_7 Depth=2
	s_xor_b64 s[46:47], s[46:47], -1
	s_and_saveexec_b64 s[52:53], s[46:47]
	s_xor_b64 s[46:47], exec, s[52:53]
	s_cbranch_execz .LBB79_28
; %bb.27:                               ;   in Loop: Header=BB79_7 Depth=2
	v_mov_b32_e32 v0, v15
	v_mov_b32_e32 v1, v15
	ds_write_b64 v43, v[0:1] offset:4096
.LBB79_28:                              ;   in Loop: Header=BB79_7 Depth=2
	s_andn2_saveexec_b64 s[46:47], s[46:47]
	s_cbranch_execz .LBB79_30
; %bb.29:                               ;   in Loop: Header=BB79_7 Depth=2
	ds_write_b64 v43, v[14:15] offset:4096
.LBB79_30:                              ;   in Loop: Header=BB79_7 Depth=2
	s_or_b64 exec, exec, s[46:47]
.LBB79_31:                              ;   in Loop: Header=BB79_7 Depth=2
	s_or_b64 exec, exec, s[16:17]
	s_or_b64 s[10:11], s[12:13], s[10:11]
	s_or_b64 s[10:11], s[10:11], s[44:45]
	s_or_b64 s[10:11], s[2:3], s[10:11]
	s_xor_b64 s[10:11], s[10:11], -1
	s_and_saveexec_b64 s[12:13], s[10:11]
	s_xor_b64 s[12:13], exec, s[12:13]
	s_cbranch_execz .LBB79_33
; %bb.32:                               ;   in Loop: Header=BB79_7 Depth=2
	v_mov_b32_e32 v1, s23
	v_add_co_u32_e64 v0, s[10:11], s22, v49
	v_addc_co_u32_e64 v1, s[10:11], v51, v1, s[10:11]
	global_load_dwordx2 v[0:1], v[0:1], off offset:128
	s_waitcnt vmcnt(0)
	ds_write_b64 v43, v[0:1] offset:4224
.LBB79_33:                              ;   in Loop: Header=BB79_7 Depth=2
	s_andn2_saveexec_b64 s[10:11], s[12:13]
	s_cbranch_execz .LBB79_39
; %bb.34:                               ;   in Loop: Header=BB79_7 Depth=2
	s_and_saveexec_b64 s[12:13], s[28:29]
	s_xor_b64 s[12:13], exec, s[12:13]
	s_cbranch_execz .LBB79_36
; %bb.35:                               ;   in Loop: Header=BB79_7 Depth=2
	v_mov_b32_e32 v0, v15
	v_mov_b32_e32 v1, v15
	ds_write_b64 v43, v[0:1] offset:4224
.LBB79_36:                              ;   in Loop: Header=BB79_7 Depth=2
	s_andn2_saveexec_b64 s[12:13], s[12:13]
	s_cbranch_execz .LBB79_38
; %bb.37:                               ;   in Loop: Header=BB79_7 Depth=2
	ds_write_b64 v43, v[14:15] offset:4224
.LBB79_38:                              ;   in Loop: Header=BB79_7 Depth=2
	s_or_b64 exec, exec, s[12:13]
.LBB79_39:                              ;   in Loop: Header=BB79_7 Depth=2
	s_or_b64 exec, exec, s[10:11]
	v_mov_b32_e32 v1, s27
	v_add_co_u32_e64 v0, s[10:11], s26, v16
	v_addc_co_u32_e64 v1, s[10:11], 0, v1, s[10:11]
	v_cmp_gt_i64_e64 s[10:11], s[38:39], v[0:1]
	s_and_b64 s[12:13], vcc, s[10:11]
	s_xor_b64 s[12:13], s[12:13], -1
	s_and_saveexec_b64 s[16:17], s[12:13]
	s_xor_b64 s[12:13], exec, s[16:17]
	s_cbranch_execz .LBB79_41
; %bb.40:                               ;   in Loop: Header=BB79_7 Depth=2
	v_mov_b32_e32 v2, v15
	v_mov_b32_e32 v3, v15
	ds_write_b64 v47, v[2:3]
.LBB79_41:                              ;   in Loop: Header=BB79_7 Depth=2
	s_or_saveexec_b64 s[16:17], s[12:13]
	v_mov_b32_e32 v3, s23
	v_add_co_u32_e64 v2, s[12:13], s22, v36
	v_addc_co_u32_e64 v3, s[12:13], v37, v3, s[12:13]
	s_xor_b64 exec, exec, s[16:17]
	s_cbranch_execz .LBB79_43
; %bb.42:                               ;   in Loop: Header=BB79_7 Depth=2
	global_load_dwordx2 v[4:5], v[2:3], off offset:-128
	s_waitcnt vmcnt(0)
	ds_write_b64 v47, v[4:5]
.LBB79_43:                              ;   in Loop: Header=BB79_7 Depth=2
	s_or_b64 exec, exec, s[16:17]
	v_cmp_gt_i64_e64 s[12:13], s[42:43], v[0:1]
	s_and_b64 s[16:17], vcc, s[12:13]
	s_xor_b64 s[16:17], s[16:17], -1
	s_and_saveexec_b64 s[28:29], s[16:17]
	s_xor_b64 s[16:17], exec, s[28:29]
	s_cbranch_execz .LBB79_45
; %bb.44:                               ;   in Loop: Header=BB79_7 Depth=2
	v_mov_b32_e32 v0, v15
	v_mov_b32_e32 v1, v15
	ds_write_b64 v47, v[0:1] offset:128
                                        ; implicit-def: $vgpr2_vgpr3
.LBB79_45:                              ;   in Loop: Header=BB79_7 Depth=2
	s_andn2_saveexec_b64 s[16:17], s[16:17]
	s_cbranch_execz .LBB79_47
; %bb.46:                               ;   in Loop: Header=BB79_7 Depth=2
	global_load_dwordx2 v[0:1], v[2:3], off
	s_waitcnt vmcnt(0)
	ds_write_b64 v47, v[0:1] offset:128
.LBB79_47:                              ;   in Loop: Header=BB79_7 Depth=2
	s_or_b64 exec, exec, s[16:17]
	s_and_b64 s[10:11], s[8:9], s[10:11]
	s_xor_b64 s[10:11], s[10:11], -1
	s_and_saveexec_b64 s[16:17], s[10:11]
	s_xor_b64 s[10:11], exec, s[16:17]
	s_cbranch_execz .LBB79_49
; %bb.48:                               ;   in Loop: Header=BB79_7 Depth=2
	v_mov_b32_e32 v0, v15
	v_mov_b32_e32 v1, v15
	ds_write_b64 v47, v[0:1] offset:4096
.LBB79_49:                              ;   in Loop: Header=BB79_7 Depth=2
	s_andn2_saveexec_b64 s[16:17], s[10:11]
	s_cbranch_execz .LBB79_51
; %bb.50:                               ;   in Loop: Header=BB79_7 Depth=2
	v_mov_b32_e32 v1, s23
	v_add_co_u32_e64 v0, s[10:11], s22, v38
	v_addc_co_u32_e64 v1, s[10:11], v39, v1, s[10:11]
	global_load_dwordx2 v[0:1], v[0:1], off offset:-128
	s_waitcnt vmcnt(0)
	ds_write_b64 v47, v[0:1] offset:4096
.LBB79_51:                              ;   in Loop: Header=BB79_7 Depth=2
	s_or_b64 exec, exec, s[16:17]
	s_and_b64 s[10:11], s[8:9], s[12:13]
	s_xor_b64 s[10:11], s[10:11], -1
	s_and_saveexec_b64 s[12:13], s[10:11]
	s_xor_b64 s[10:11], exec, s[12:13]
	s_cbranch_execz .LBB79_53
; %bb.52:                               ;   in Loop: Header=BB79_7 Depth=2
	v_mov_b32_e32 v0, v15
	v_mov_b32_e32 v1, v15
	ds_write_b64 v47, v[0:1] offset:4224
.LBB79_53:                              ;   in Loop: Header=BB79_7 Depth=2
	s_andn2_saveexec_b64 s[12:13], s[10:11]
	s_cbranch_execz .LBB79_6
; %bb.54:                               ;   in Loop: Header=BB79_7 Depth=2
	v_mov_b32_e32 v1, s23
	v_add_co_u32_e64 v0, s[10:11], s22, v38
	v_addc_co_u32_e64 v1, s[10:11], v39, v1, s[10:11]
	global_load_dwordx2 v[0:1], v[0:1], off
	s_waitcnt vmcnt(0)
	ds_write_b64 v47, v[0:1] offset:4224
	s_branch .LBB79_6
.LBB79_55:                              ;   in Loop: Header=BB79_4 Depth=1
	v_mul_lo_u32 v2, v55, s40
	v_mul_lo_u32 v3, v53, s41
	v_mad_u64_u32 v[0:1], s[8:9], v53, s40, 0
	v_add3_u32 v1, v1, v3, v2
	v_lshlrev_b64 v[0:1], 3, v[0:1]
	v_mov_b32_e32 v2, s48
	v_add_co_u32_e64 v0, s[8:9], s31, v0
	v_cmp_gt_i32_e32 vcc, s30, v53
	v_addc_co_u32_e64 v1, s[8:9], v2, v1, s[8:9]
	s_and_b64 s[8:9], s[4:5], vcc
	s_and_saveexec_b64 s[10:11], s[8:9]
	s_cbranch_execz .LBB79_57
; %bb.56:                               ;   in Loop: Header=BB79_4 Depth=1
	v_add_co_u32_e64 v2, s[8:9], v0, v34
	v_addc_co_u32_e64 v3, s[8:9], v1, v35, s[8:9]
	global_load_dwordx2 v[4:5], v[2:3], off
	v_pk_mul_f32 v[6:7], v[54:55], s[34:35] op_sel_hi:[0,1]
	v_pk_fma_f32 v[8:9], v[52:53], s[34:35], v[6:7] op_sel:[0,0,1] op_sel_hi:[1,1,0] neg_lo:[0,0,1] neg_hi:[0,0,1]
	v_pk_fma_f32 v[6:7], v[52:53], s[34:35], v[6:7] op_sel:[0,0,1] op_sel_hi:[0,1,0]
	v_mov_b32_e32 v9, v7
	s_waitcnt vmcnt(0)
	v_pk_add_f32 v[4:5], v[4:5], v[8:9]
	global_store_dwordx2 v[2:3], v[4:5], off
.LBB79_57:                              ;   in Loop: Header=BB79_4 Depth=1
	s_or_b64 exec, exec, s[10:11]
	s_and_b64 s[10:11], s[14:15], vcc
	s_and_saveexec_b64 s[8:9], s[10:11]
	s_cbranch_execz .LBB79_59
; %bb.58:                               ;   in Loop: Header=BB79_4 Depth=1
	v_lshlrev_b64 v[2:3], 3, v[22:23]
	v_add_co_u32_e32 v0, vcc, v0, v2
	v_addc_co_u32_e32 v1, vcc, v1, v3, vcc
	global_load_dwordx2 v[2:3], v[0:1], off
	v_pk_mul_f32 v[4:5], v[50:51], s[34:35] op_sel_hi:[0,1]
	v_pk_fma_f32 v[6:7], v[48:49], s[34:35], v[4:5] op_sel:[0,0,1] op_sel_hi:[1,1,0] neg_lo:[0,0,1] neg_hi:[0,0,1]
	v_pk_fma_f32 v[4:5], v[48:49], s[34:35], v[4:5] op_sel:[0,0,1] op_sel_hi:[0,1,0]
	v_mov_b32_e32 v7, v5
	s_waitcnt vmcnt(0)
	v_pk_add_f32 v[2:3], v[2:3], v[6:7]
	global_store_dwordx2 v[0:1], v[2:3], off
.LBB79_59:                              ;   in Loop: Header=BB79_4 Depth=1
	s_or_b64 exec, exec, s[8:9]
	v_add_u32_e32 v0, 16, v53
	v_ashrrev_i32_e32 v1, 31, v0
	v_cmp_gt_i32_e32 vcc, s30, v0
	v_mul_lo_u32 v2, v1, s40
	v_mul_lo_u32 v3, v0, s41
	v_mad_u64_u32 v[0:1], s[8:9], v0, s40, 0
	v_add3_u32 v1, v1, v3, v2
	v_lshlrev_b64 v[0:1], 3, v[0:1]
	v_mov_b32_e32 v2, s48
	v_add_co_u32_e64 v0, s[8:9], s31, v0
	v_addc_co_u32_e64 v1, s[8:9], v2, v1, s[8:9]
	s_and_b64 s[8:9], s[4:5], vcc
	s_and_saveexec_b64 s[10:11], s[8:9]
	s_cbranch_execz .LBB79_61
; %bb.60:                               ;   in Loop: Header=BB79_4 Depth=1
	v_add_co_u32_e64 v2, s[8:9], v0, v34
	v_addc_co_u32_e64 v3, s[8:9], v1, v35, s[8:9]
	global_load_dwordx2 v[4:5], v[2:3], off
	v_pk_mul_f32 v[6:7], v[46:47], s[34:35] op_sel_hi:[0,1]
	v_pk_fma_f32 v[8:9], v[44:45], s[34:35], v[6:7] op_sel:[0,0,1] op_sel_hi:[1,1,0] neg_lo:[0,0,1] neg_hi:[0,0,1]
	v_pk_fma_f32 v[6:7], v[44:45], s[34:35], v[6:7] op_sel:[0,0,1] op_sel_hi:[0,1,0]
	v_mov_b32_e32 v9, v7
	s_waitcnt vmcnt(0)
	v_pk_add_f32 v[4:5], v[4:5], v[8:9]
	global_store_dwordx2 v[2:3], v[4:5], off
.LBB79_61:                              ;   in Loop: Header=BB79_4 Depth=1
	s_or_b64 exec, exec, s[10:11]
	s_and_b64 s[10:11], s[14:15], vcc
	s_and_saveexec_b64 s[8:9], s[10:11]
	s_cbranch_execz .LBB79_3
; %bb.62:                               ;   in Loop: Header=BB79_4 Depth=1
	v_lshlrev_b64 v[2:3], 3, v[22:23]
	v_add_co_u32_e32 v0, vcc, v0, v2
	v_addc_co_u32_e32 v1, vcc, v1, v3, vcc
	global_load_dwordx2 v[2:3], v[0:1], off
	v_pk_mul_f32 v[4:5], v[40:41], s[34:35] op_sel_hi:[0,1]
	v_pk_fma_f32 v[6:7], v[42:43], s[34:35], v[4:5] op_sel:[0,0,1] op_sel_hi:[1,1,0] neg_lo:[0,0,1] neg_hi:[0,0,1]
	v_pk_fma_f32 v[4:5], v[42:43], s[34:35], v[4:5] op_sel:[0,0,1] op_sel_hi:[0,1,0]
	v_mov_b32_e32 v7, v5
	s_waitcnt vmcnt(0)
	v_pk_add_f32 v[2:3], v[2:3], v[6:7]
	global_store_dwordx2 v[0:1], v[2:3], off
	s_branch .LBB79_3
.LBB79_63:
	s_endpgm
	.section	.rodata,"a",@progbits
	.p2align	6, 0x0
	.amdhsa_kernel _ZL30rocblas_trmm_outofplace_kernelI19rocblas_complex_numIfELi32ELi2ELb1ELb1ELb1ELb0ES1_KS1_S1_Ev17rocblas_diagonal_iiT6_lPT7_lllS6_lllPT8_llli
		.amdhsa_group_segment_fixed_size 16384
		.amdhsa_private_segment_fixed_size 0
		.amdhsa_kernarg_size 392
		.amdhsa_user_sgpr_count 6
		.amdhsa_user_sgpr_private_segment_buffer 1
		.amdhsa_user_sgpr_dispatch_ptr 0
		.amdhsa_user_sgpr_queue_ptr 0
		.amdhsa_user_sgpr_kernarg_segment_ptr 1
		.amdhsa_user_sgpr_dispatch_id 0
		.amdhsa_user_sgpr_flat_scratch_init 0
		.amdhsa_user_sgpr_kernarg_preload_length 0
		.amdhsa_user_sgpr_kernarg_preload_offset 0
		.amdhsa_user_sgpr_private_segment_size 0
		.amdhsa_uses_dynamic_stack 0
		.amdhsa_system_sgpr_private_segment_wavefront_offset 0
		.amdhsa_system_sgpr_workgroup_id_x 1
		.amdhsa_system_sgpr_workgroup_id_y 1
		.amdhsa_system_sgpr_workgroup_id_z 1
		.amdhsa_system_sgpr_workgroup_info 0
		.amdhsa_system_vgpr_workitem_id 1
		.amdhsa_next_free_vgpr 76
		.amdhsa_next_free_sgpr 54
		.amdhsa_accum_offset 76
		.amdhsa_reserve_vcc 1
		.amdhsa_reserve_flat_scratch 0
		.amdhsa_float_round_mode_32 0
		.amdhsa_float_round_mode_16_64 0
		.amdhsa_float_denorm_mode_32 3
		.amdhsa_float_denorm_mode_16_64 3
		.amdhsa_dx10_clamp 1
		.amdhsa_ieee_mode 1
		.amdhsa_fp16_overflow 0
		.amdhsa_tg_split 0
		.amdhsa_exception_fp_ieee_invalid_op 0
		.amdhsa_exception_fp_denorm_src 0
		.amdhsa_exception_fp_ieee_div_zero 0
		.amdhsa_exception_fp_ieee_overflow 0
		.amdhsa_exception_fp_ieee_underflow 0
		.amdhsa_exception_fp_ieee_inexact 0
		.amdhsa_exception_int_div_zero 0
	.end_amdhsa_kernel
	.section	.text._ZL30rocblas_trmm_outofplace_kernelI19rocblas_complex_numIfELi32ELi2ELb1ELb1ELb1ELb0ES1_KS1_S1_Ev17rocblas_diagonal_iiT6_lPT7_lllS6_lllPT8_llli,"axG",@progbits,_ZL30rocblas_trmm_outofplace_kernelI19rocblas_complex_numIfELi32ELi2ELb1ELb1ELb1ELb0ES1_KS1_S1_Ev17rocblas_diagonal_iiT6_lPT7_lllS6_lllPT8_llli,comdat
.Lfunc_end79:
	.size	_ZL30rocblas_trmm_outofplace_kernelI19rocblas_complex_numIfELi32ELi2ELb1ELb1ELb1ELb0ES1_KS1_S1_Ev17rocblas_diagonal_iiT6_lPT7_lllS6_lllPT8_llli, .Lfunc_end79-_ZL30rocblas_trmm_outofplace_kernelI19rocblas_complex_numIfELi32ELi2ELb1ELb1ELb1ELb0ES1_KS1_S1_Ev17rocblas_diagonal_iiT6_lPT7_lllS6_lllPT8_llli
                                        ; -- End function
	.section	.AMDGPU.csdata,"",@progbits
; Kernel info:
; codeLenInByte = 6636
; NumSgprs: 58
; NumVgprs: 76
; NumAgprs: 0
; TotalNumVgprs: 76
; ScratchSize: 0
; MemoryBound: 1
; FloatMode: 240
; IeeeMode: 1
; LDSByteSize: 16384 bytes/workgroup (compile time only)
; SGPRBlocks: 7
; VGPRBlocks: 9
; NumSGPRsForWavesPerEU: 58
; NumVGPRsForWavesPerEU: 76
; AccumOffset: 76
; Occupancy: 6
; WaveLimiterHint : 0
; COMPUTE_PGM_RSRC2:SCRATCH_EN: 0
; COMPUTE_PGM_RSRC2:USER_SGPR: 6
; COMPUTE_PGM_RSRC2:TRAP_HANDLER: 0
; COMPUTE_PGM_RSRC2:TGID_X_EN: 1
; COMPUTE_PGM_RSRC2:TGID_Y_EN: 1
; COMPUTE_PGM_RSRC2:TGID_Z_EN: 1
; COMPUTE_PGM_RSRC2:TIDIG_COMP_CNT: 1
; COMPUTE_PGM_RSRC3_GFX90A:ACCUM_OFFSET: 18
; COMPUTE_PGM_RSRC3_GFX90A:TG_SPLIT: 0
	.section	.text._ZL30rocblas_trmm_outofplace_kernelI19rocblas_complex_numIfELi32ELi2ELb1ELb0ELb1ELb1EPKS1_S2_S1_Ev17rocblas_diagonal_iiT6_lPT7_lllS7_lllPT8_llli,"axG",@progbits,_ZL30rocblas_trmm_outofplace_kernelI19rocblas_complex_numIfELi32ELi2ELb1ELb0ELb1ELb1EPKS1_S2_S1_Ev17rocblas_diagonal_iiT6_lPT7_lllS7_lllPT8_llli,comdat
	.globl	_ZL30rocblas_trmm_outofplace_kernelI19rocblas_complex_numIfELi32ELi2ELb1ELb0ELb1ELb1EPKS1_S2_S1_Ev17rocblas_diagonal_iiT6_lPT7_lllS7_lllPT8_llli ; -- Begin function _ZL30rocblas_trmm_outofplace_kernelI19rocblas_complex_numIfELi32ELi2ELb1ELb0ELb1ELb1EPKS1_S2_S1_Ev17rocblas_diagonal_iiT6_lPT7_lllS7_lllPT8_llli
	.p2align	8
	.type	_ZL30rocblas_trmm_outofplace_kernelI19rocblas_complex_numIfELi32ELi2ELb1ELb0ELb1ELb1EPKS1_S2_S1_Ev17rocblas_diagonal_iiT6_lPT7_lllS7_lllPT8_llli,@function
_ZL30rocblas_trmm_outofplace_kernelI19rocblas_complex_numIfELi32ELi2ELb1ELb0ELb1ELb1EPKS1_S2_S1_Ev17rocblas_diagonal_iiT6_lPT7_lllS7_lllPT8_llli: ; @_ZL30rocblas_trmm_outofplace_kernelI19rocblas_complex_numIfELi32ELi2ELb1ELb0ELb1ELb1EPKS1_S2_S1_Ev17rocblas_diagonal_iiT6_lPT7_lllS7_lllPT8_llli
; %bb.0:
	s_load_dwordx16 s[12:27], s[4:5], 0x10
	s_waitcnt lgkmcnt(0)
	s_mul_i32 s0, s8, s15
	s_mul_hi_u32 s1, s8, s14
	s_add_i32 s1, s1, s0
	s_mul_i32 s0, s8, s14
	s_lshl_b64 s[0:1], s[0:1], 3
	s_add_u32 s0, s12, s0
	s_addc_u32 s1, s13, s1
	s_load_dwordx2 s[34:35], s[0:1], 0x0
	s_waitcnt lgkmcnt(0)
	s_or_b32 s0, s34, s35
	s_bitset0_b32 s0, 31
	s_cmp_eq_u32 s0, 0
	s_cbranch_scc1 .LBB80_63
; %bb.1:
	s_load_dwordx4 s[28:31], s[4:5], 0x0
	s_waitcnt lgkmcnt(0)
	s_add_i32 s0, s30, -1
	s_ashr_i32 s1, s0, 31
	s_lshr_b32 s1, s1, 27
	s_add_i32 s0, s0, s1
	s_ashr_i32 s31, s0, 5
	s_cmp_gt_i32 s7, s31
	s_cbranch_scc1 .LBB80_63
; %bb.2:
	s_mul_i32 s0, s8, s23
	s_mul_hi_u32 s1, s8, s22
	s_add_i32 s1, s1, s0
	s_mul_i32 s0, s8, s22
	s_load_dwordx4 s[44:47], s[4:5], 0x70
	s_load_dword s33, s[4:5], 0x8c
	s_lshl_b64 s[10:11], s[0:1], 3
	s_add_u32 s0, s16, s10
	s_load_dwordx8 s[36:43], s[4:5], 0x50
	s_addc_u32 s1, s17, s11
	s_lshl_b64 s[12:13], s[18:19], 3
	s_add_u32 s2, s0, s12
	s_addc_u32 s3, s1, s13
	s_waitcnt lgkmcnt(0)
	s_mul_i32 s0, s8, s47
	s_mul_hi_u32 s1, s8, s46
	s_add_i32 s1, s1, s0
	s_mul_i32 s0, s8, s46
	s_lshl_b64 s[0:1], s[0:1], 3
	s_add_u32 s4, s40, s0
	s_addc_u32 s5, s41, s1
	s_lshl_b64 s[0:1], s[42:43], 3
	s_add_u32 s48, s4, s0
	s_addc_u32 s49, s5, s1
	s_lshl_b32 s4, s6, 5
	v_and_b32_e32 v2, 0x3ff, v0
	v_add_u32_e32 v18, s4, v2
	v_ashrrev_i32_e32 v19, 31, v18
	v_bfe_u32 v43, v0, 10, 10
	v_mul_lo_u32 v3, v19, s20
	v_mul_lo_u32 v4, v18, s21
	v_mad_u64_u32 v[0:1], s[0:1], v18, s20, 0
	v_add3_u32 v1, v1, v4, v3
	v_add_u32_e32 v16, s4, v43
	v_lshlrev_b64 v[0:1], 3, v[0:1]
	v_ashrrev_i32_e32 v17, 31, v16
	v_mov_b32_e32 v3, s3
	v_add_co_u32_e32 v4, vcc, s2, v0
	v_addc_co_u32_e32 v3, vcc, v3, v1, vcc
	v_lshlrev_b64 v[0:1], 3, v[16:17]
	v_add_co_u32_e32 v45, vcc, v4, v0
	v_addc_co_u32_e32 v47, vcc, v3, v1, vcc
	s_sub_i32 s6, s29, s4
	v_add_co_u32_e32 v20, vcc, 16, v18
	s_cmp_gt_i32 s6, 0
	v_addc_co_u32_e32 v21, vcc, 0, v19, vcc
	s_cselect_b64 s[18:19], -1, 0
	s_cmpk_eq_i32 s28, 0x84
	v_sub_co_u32_e32 v24, vcc, v18, v16
	s_cselect_b64 s[22:23], -1, 0
	s_ashr_i32 s41, s29, 31
	s_ashr_i32 s50, s30, 31
	v_subb_co_u32_e32 v25, vcc, v19, v17, vcc
	s_add_u32 s42, s29, -16
	v_add_co_u32_e32 v26, vcc, 16, v24
	s_addc_u32 s43, s41, -1
	v_addc_co_u32_e32 v27, vcc, 0, v25, vcc
	v_add_co_u32_e32 v28, vcc, -16, v24
	s_add_u32 s10, s12, s10
	v_lshlrev_b32_e32 v3, 8, v43
	v_lshlrev_b32_e32 v49, 3, v2
	v_addc_co_u32_e32 v29, vcc, -1, v25, vcc
	v_lshlrev_b64 v[30:31], 3, v[18:19]
	s_movk_i32 s9, 0x80
	s_addc_u32 s11, s13, s11
	v_add_u32_e32 v51, v49, v3
	v_add_u32_e32 v53, 0x2000, v3
	v_add_co_u32_e32 v4, vcc, s9, v30
	v_pk_mov_b32 v[2:3], s[10:11], s[10:11] op_sel:[0,1]
	v_mad_u64_u32 v[2:3], s[10:11], s20, v4, v[2:3]
	s_mul_i32 s9, s39, s8
	s_mul_hi_u32 s10, s38, s8
	v_addc_co_u32_e32 v5, vcc, 0, v31, vcc
	s_add_i32 s9, s10, s9
	s_mul_i32 s8, s38, s8
	v_mul_lo_u32 v6, s20, v5
	v_mul_lo_u32 v7, s21, v4
	s_lshl_b64 s[8:9], s[8:9], 3
	s_lshl_b64 s[10:11], s[26:27], 3
	v_add3_u32 v3, v7, v3, v6
	v_add_co_u32_e32 v0, vcc, v2, v0
	s_add_u32 s8, s8, s10
	v_addc_co_u32_e32 v1, vcc, v3, v1, vcc
	s_addc_u32 s9, s9, s11
	v_mov_b32_e32 v2, s17
	v_add_co_u32_e32 v55, vcc, s16, v0
	s_add_u32 s8, s24, s8
	v_addc_co_u32_e32 v56, vcc, v2, v1, vcc
	s_addc_u32 s9, s25, s9
	s_mov_b32 s40, s29
	v_add_u32_e32 v22, 16, v18
	v_mov_b32_e32 v0, s9
	v_add_co_u32_e32 v32, vcc, s8, v4
	v_cmp_le_i32_e64 s[0:1], s29, v18
	v_cmp_le_i64_e64 s[2:3], s[40:41], v[20:21]
	v_add_u32_e32 v54, v53, v49
	v_cmp_gt_i32_e64 s[4:5], s29, v18
	v_cmp_gt_i32_e64 s[14:15], s29, v22
	v_ashrrev_i32_e32 v23, 31, v22
	v_addc_co_u32_e32 v33, vcc, v5, v0, vcc
	s_lshl_b64 s[20:21], s[36:37], 3
	v_lshl_add_u32 v34, s7, 5, v43
	s_lshl_b32 s51, s33, 5
	v_mov_b32_e32 v37, 0
	v_mov_b32_e32 v36, 1.0
	s_branch .LBB80_4
.LBB80_3:                               ;   in Loop: Header=BB80_4 Depth=1
	s_or_b64 exec, exec, s[8:9]
	s_add_i32 s7, s33, s7
	s_cmp_le_i32 s7, s31
	v_add_u32_e32 v34, s51, v34
	s_cbranch_scc0 .LBB80_63
.LBB80_4:                               ; =>This Loop Header: Depth=1
                                        ;     Child Loop BB80_7 Depth 2
	v_lshl_add_u32 v57, s7, 5, v43
	v_ashrrev_i32_e32 v58, 31, v57
	s_andn2_b64 vcc, exec, s[18:19]
	v_mov_b32_e32 v50, v37
	v_mov_b32_e32 v52, v37
	v_mov_b32_e32 v46, v37
	v_mov_b32_e32 v48, v37
	v_mov_b32_e32 v42, v37
	v_mov_b32_e32 v44, v37
	v_mov_b32_e32 v14, v37
	v_mov_b32_e32 v12, v37
	s_cbranch_vccnz .LBB80_55
; %bb.5:                                ;   in Loop: Header=BB80_4 Depth=1
	v_ashrrev_i32_e32 v35, 31, v34
	v_mad_u64_u32 v[38:39], s[8:9], s20, v34, v[32:33]
	v_mul_lo_u32 v0, s21, v34
	v_mul_lo_u32 v1, s20, v35
	v_add3_u32 v39, v0, v39, v1
	v_lshlrev_b64 v[0:1], 3, v[34:35]
	v_add_co_u32_e32 v0, vcc, 0x80, v0
	v_addc_co_u32_e32 v1, vcc, 0, v1, vcc
	v_mul_lo_u32 v1, s36, v1
	v_mul_lo_u32 v2, s37, v0
	v_mad_u64_u32 v[40:41], s[8:9], s36, v0, v[32:33]
	v_add3_u32 v41, v2, v41, v1
	v_mov_b32_e32 v1, s50
	v_sub_co_u32_e32 v0, vcc, s30, v57
	v_subb_co_u32_e32 v1, vcc, v1, v58, vcc
	s_mov_b64 s[24:25], 0
	v_cmp_lt_i64_e32 vcc, 0, v[0:1]
	v_cmp_lt_i64_e64 s[8:9], 16, v[0:1]
	v_mov_b32_e32 v12, 0
	s_mov_b64 s[26:27], 0
	v_mov_b32_e32 v14, 0
	v_mov_b32_e32 v44, 0
	;; [unrolled: 1-line block ×7, first 2 shown]
	s_branch .LBB80_7
.LBB80_6:                               ;   in Loop: Header=BB80_7 Depth=2
	s_or_b64 exec, exec, s[12:13]
	s_waitcnt lgkmcnt(0)
	s_barrier
	ds_read_b128 v[60:63], v53
	ds_read_b128 v[8:11], v53 offset:16
	ds_read_b128 v[4:7], v53 offset:32
	;; [unrolled: 1-line block ×3, first 2 shown]
	ds_read2_b64 v[64:67], v49 offset1:16
	ds_read_b128 v[68:71], v53 offset:4096
	s_add_u32 s26, s26, 32
	s_addc_u32 s27, s27, 0
	s_add_u32 s24, s24, 0x100
	s_waitcnt lgkmcnt(1)
	v_mul_f32_e32 v13, v61, v65
	v_mul_f32_e32 v15, v60, v65
	v_fma_f32 v13, v60, v64, -v13
	v_fmac_f32_e32 v15, v61, v64
	v_add_f32_e32 v35, v50, v13
	v_add_f32_e32 v50, v52, v15
	v_mul_f32_e32 v13, v61, v67
	v_mul_f32_e32 v15, v60, v67
	v_fma_f32 v13, v60, v66, -v13
	v_fmac_f32_e32 v15, v61, v66
	v_add_f32_e32 v46, v46, v13
	v_add_f32_e32 v48, v48, v15
	s_waitcnt lgkmcnt(0)
	v_mul_f32_e32 v13, v69, v65
	v_mul_f32_e32 v15, v68, v65
	v_fma_f32 v13, v68, v64, -v13
	v_fmac_f32_e32 v15, v69, v64
	v_add_f32_e32 v42, v42, v13
	v_add_f32_e32 v44, v44, v15
	v_mul_f32_e32 v13, v69, v67
	v_mul_f32_e32 v15, v68, v67
	v_fma_f32 v13, v68, v66, -v13
	v_fmac_f32_e32 v15, v69, v66
	v_add_f32_e32 v52, v14, v13
	v_add_f32_e32 v59, v12, v15
	ds_read2_b64 v[12:15], v49 offset0:32 offset1:48
	s_addc_u32 s25, s25, 0
	s_cmp_ge_i32 s26, s6
	s_waitcnt lgkmcnt(0)
	v_mul_f32_e32 v60, v63, v13
	v_fma_f32 v60, v62, v12, -v60
	v_add_f32_e32 v35, v35, v60
	v_mul_f32_e32 v60, v63, v15
	v_fma_f32 v60, v62, v14, -v60
	v_mul_f32_e32 v61, v62, v13
	v_add_f32_e32 v46, v46, v60
	v_mul_f32_e32 v60, v71, v13
	v_mul_f32_e32 v13, v70, v13
	v_fmac_f32_e32 v13, v71, v12
	v_fmac_f32_e32 v61, v63, v12
	v_fma_f32 v60, v70, v12, -v60
	v_add_f32_e32 v44, v44, v13
	v_mul_f32_e32 v12, v71, v15
	v_mul_f32_e32 v13, v70, v15
	v_add_f32_e32 v50, v50, v61
	v_mul_f32_e32 v61, v62, v15
	v_fma_f32 v12, v70, v14, -v12
	v_fmac_f32_e32 v13, v71, v14
	v_fmac_f32_e32 v61, v63, v14
	v_add_f32_e32 v52, v52, v12
	v_add_f32_e32 v59, v59, v13
	ds_read2_b64 v[12:15], v49 offset0:64 offset1:80
	v_add_f32_e32 v42, v42, v60
	v_add_f32_e32 v48, v48, v61
	s_waitcnt lgkmcnt(0)
	v_mul_f32_e32 v60, v9, v13
	v_fma_f32 v60, v8, v12, -v60
	v_mul_f32_e32 v61, v8, v13
	v_add_f32_e32 v35, v35, v60
	v_mul_f32_e32 v60, v9, v15
	v_fmac_f32_e32 v61, v9, v12
	v_fma_f32 v60, v8, v14, -v60
	v_mul_f32_e32 v8, v8, v15
	v_add_f32_e32 v50, v50, v61
	v_fmac_f32_e32 v8, v9, v14
	v_add_f32_e32 v9, v46, v60
	ds_read_b128 v[60:63], v53 offset:4112
	v_add_f32_e32 v8, v48, v8
	s_waitcnt lgkmcnt(0)
	v_mul_f32_e32 v46, v61, v13
	v_mul_f32_e32 v13, v60, v13
	v_fmac_f32_e32 v13, v61, v12
	v_fma_f32 v46, v60, v12, -v46
	v_add_f32_e32 v44, v44, v13
	v_mul_f32_e32 v12, v61, v15
	v_mul_f32_e32 v13, v60, v15
	v_fma_f32 v12, v60, v14, -v12
	v_fmac_f32_e32 v13, v61, v14
	v_add_f32_e32 v42, v42, v46
	v_add_f32_e32 v46, v52, v12
	v_add_f32_e32 v48, v59, v13
	ds_read2_b64 v[12:15], v49 offset0:96 offset1:112
	s_waitcnt lgkmcnt(0)
	v_mul_f32_e32 v52, v11, v13
	v_fma_f32 v52, v10, v12, -v52
	v_add_f32_e32 v35, v35, v52
	v_mul_f32_e32 v52, v11, v15
	v_mul_f32_e32 v59, v10, v13
	v_fma_f32 v52, v10, v14, -v52
	v_mul_f32_e32 v10, v10, v15
	v_fmac_f32_e32 v59, v11, v12
	v_fmac_f32_e32 v10, v11, v14
	v_add_f32_e32 v50, v50, v59
	v_add_f32_e32 v52, v9, v52
	;; [unrolled: 1-line block ×3, first 2 shown]
	v_mul_f32_e32 v8, v63, v13
	v_mul_f32_e32 v9, v62, v13
	v_fma_f32 v8, v62, v12, -v8
	v_fmac_f32_e32 v9, v63, v12
	v_add_f32_e32 v42, v42, v8
	v_add_f32_e32 v44, v44, v9
	v_mul_f32_e32 v8, v63, v15
	v_mul_f32_e32 v9, v62, v15
	v_fma_f32 v8, v62, v14, -v8
	v_fmac_f32_e32 v9, v63, v14
	v_add_f32_e32 v46, v46, v8
	v_add_f32_e32 v48, v48, v9
	ds_read2_b64 v[8:11], v49 offset0:128 offset1:144
	s_waitcnt lgkmcnt(0)
	v_mul_f32_e32 v12, v5, v9
	v_fma_f32 v12, v4, v8, -v12
	v_mul_f32_e32 v13, v4, v9
	v_add_f32_e32 v35, v35, v12
	v_mul_f32_e32 v12, v5, v11
	v_fmac_f32_e32 v13, v5, v8
	v_fma_f32 v12, v4, v10, -v12
	v_mul_f32_e32 v4, v4, v11
	v_add_f32_e32 v50, v50, v13
	v_fmac_f32_e32 v4, v5, v10
	v_add_f32_e32 v5, v52, v12
	ds_read_b128 v[12:15], v53 offset:4128
	v_add_f32_e32 v4, v59, v4
	s_waitcnt lgkmcnt(0)
	v_mul_f32_e32 v52, v13, v9
	v_mul_f32_e32 v9, v12, v9
	v_fmac_f32_e32 v9, v13, v8
	v_fma_f32 v52, v12, v8, -v52
	v_add_f32_e32 v44, v44, v9
	v_mul_f32_e32 v8, v13, v11
	v_mul_f32_e32 v9, v12, v11
	v_fma_f32 v8, v12, v10, -v8
	v_fmac_f32_e32 v9, v13, v10
	v_add_f32_e32 v12, v46, v8
	v_add_f32_e32 v13, v48, v9
	ds_read2_b64 v[8:11], v49 offset0:160 offset1:176
	v_add_f32_e32 v42, v42, v52
	s_waitcnt lgkmcnt(0)
	v_mul_f32_e32 v46, v7, v9
	v_mul_f32_e32 v48, v6, v9
	v_fma_f32 v46, v6, v8, -v46
	v_fmac_f32_e32 v48, v7, v8
	v_add_f32_e32 v35, v35, v46
	v_add_f32_e32 v46, v50, v48
	v_mul_f32_e32 v48, v7, v11
	v_fma_f32 v48, v6, v10, -v48
	v_mul_f32_e32 v6, v6, v11
	v_fmac_f32_e32 v6, v7, v10
	v_add_f32_e32 v48, v5, v48
	v_add_f32_e32 v50, v4, v6
	v_mul_f32_e32 v4, v15, v9
	v_mul_f32_e32 v5, v14, v9
	v_fma_f32 v4, v14, v8, -v4
	v_fmac_f32_e32 v5, v15, v8
	v_add_f32_e32 v42, v42, v4
	v_add_f32_e32 v44, v44, v5
	v_mul_f32_e32 v4, v15, v11
	v_mul_f32_e32 v5, v14, v11
	v_fma_f32 v4, v14, v10, -v4
	v_fmac_f32_e32 v5, v15, v10
	v_add_f32_e32 v12, v12, v4
	v_add_f32_e32 v13, v13, v5
	ds_read2_b64 v[4:7], v49 offset0:192 offset1:208
	s_waitcnt lgkmcnt(0)
	v_mul_f32_e32 v8, v1, v5
	v_fma_f32 v8, v0, v4, -v8
	v_mul_f32_e32 v9, v0, v5
	v_add_f32_e32 v14, v35, v8
	v_mul_f32_e32 v8, v1, v7
	v_fmac_f32_e32 v9, v1, v4
	v_fma_f32 v8, v0, v6, -v8
	v_mul_f32_e32 v0, v0, v7
	v_add_f32_e32 v15, v46, v9
	v_fmac_f32_e32 v0, v1, v6
	v_add_f32_e32 v1, v48, v8
	ds_read_b128 v[8:11], v53 offset:4144
	v_add_f32_e32 v0, v50, v0
	s_waitcnt lgkmcnt(0)
	v_mul_f32_e32 v35, v9, v5
	v_mul_f32_e32 v5, v8, v5
	v_fma_f32 v35, v8, v4, -v35
	v_fmac_f32_e32 v5, v9, v4
	v_add_f32_e32 v35, v42, v35
	v_add_f32_e32 v42, v44, v5
	v_mul_f32_e32 v4, v9, v7
	v_mul_f32_e32 v5, v8, v7
	v_fma_f32 v4, v8, v6, -v4
	v_fmac_f32_e32 v5, v9, v6
	v_add_f32_e32 v8, v12, v4
	v_add_f32_e32 v9, v13, v5
	ds_read2_b64 v[4:7], v49 offset0:224 offset1:240
	s_waitcnt lgkmcnt(0)
	v_mul_f32_e32 v12, v3, v5
	v_fma_f32 v12, v2, v4, -v12
	v_add_f32_e32 v12, v14, v12
	v_mul_f32_e32 v14, v3, v7
	v_mul_f32_e32 v13, v2, v5
	v_fma_f32 v14, v2, v6, -v14
	v_mul_f32_e32 v2, v2, v7
	v_fmac_f32_e32 v13, v3, v4
	v_fmac_f32_e32 v2, v3, v6
	v_add_f32_e32 v13, v15, v13
	v_add_f32_e32 v14, v1, v14
	;; [unrolled: 1-line block ×3, first 2 shown]
	v_mul_f32_e32 v0, v11, v5
	v_mul_f32_e32 v1, v10, v5
	v_fma_f32 v0, v10, v4, -v0
	v_fmac_f32_e32 v1, v11, v4
	v_add_f32_e32 v5, v35, v0
	v_add_f32_e32 v35, v42, v1
	v_mul_f32_e32 v0, v11, v7
	v_mul_f32_e32 v1, v10, v7
	v_fma_f32 v0, v10, v6, -v0
	v_fmac_f32_e32 v1, v11, v6
	v_add_u32_e32 v4, 0x800, v49
	v_add_f32_e32 v42, v8, v0
	v_add_f32_e32 v44, v9, v1
	ds_read_b128 v[0:3], v53 offset:64
	ds_read2_b64 v[6:9], v4 offset1:16
	s_waitcnt lgkmcnt(0)
	v_mul_f32_e32 v10, v1, v7
	v_fma_f32 v10, v0, v6, -v10
	v_mul_f32_e32 v11, v0, v7
	v_add_f32_e32 v46, v12, v10
	v_mul_f32_e32 v10, v1, v9
	v_fmac_f32_e32 v11, v1, v6
	v_fma_f32 v10, v0, v8, -v10
	v_mul_f32_e32 v0, v0, v9
	v_add_f32_e32 v48, v13, v11
	v_fmac_f32_e32 v0, v1, v8
	v_add_f32_e32 v1, v14, v10
	ds_read_b128 v[10:13], v53 offset:4160
	v_add_f32_e32 v0, v15, v0
	s_waitcnt lgkmcnt(0)
	v_mul_f32_e32 v14, v11, v7
	v_mul_f32_e32 v7, v10, v7
	v_fma_f32 v14, v10, v6, -v14
	v_fmac_f32_e32 v7, v11, v6
	v_add_f32_e32 v5, v5, v14
	v_add_f32_e32 v14, v35, v7
	v_mul_f32_e32 v6, v11, v9
	v_mul_f32_e32 v7, v10, v9
	v_fma_f32 v6, v10, v8, -v6
	v_fmac_f32_e32 v7, v11, v8
	v_add_f32_e32 v10, v42, v6
	v_add_f32_e32 v11, v44, v7
	ds_read2_b64 v[6:9], v4 offset0:32 offset1:48
	s_waitcnt lgkmcnt(0)
	v_mul_f32_e32 v15, v3, v7
	v_mul_f32_e32 v42, v3, v9
	v_fma_f32 v15, v2, v6, -v15
	v_mul_f32_e32 v35, v2, v7
	v_fma_f32 v42, v2, v8, -v42
	v_mul_f32_e32 v2, v2, v9
	v_fmac_f32_e32 v2, v3, v8
	v_add_f32_e32 v42, v1, v42
	v_add_f32_e32 v44, v0, v2
	v_mul_f32_e32 v0, v13, v7
	v_mul_f32_e32 v1, v12, v7
	v_fma_f32 v0, v12, v6, -v0
	v_fmac_f32_e32 v1, v13, v6
	v_add_f32_e32 v5, v5, v0
	v_add_f32_e32 v14, v14, v1
	v_mul_f32_e32 v0, v13, v9
	v_mul_f32_e32 v1, v12, v9
	v_fmac_f32_e32 v35, v3, v6
	v_fma_f32 v0, v12, v8, -v0
	v_fmac_f32_e32 v1, v13, v8
	v_add_f32_e32 v15, v46, v15
	v_add_f32_e32 v35, v48, v35
	;; [unrolled: 1-line block ×4, first 2 shown]
	ds_read_b128 v[0:3], v53 offset:80
	ds_read2_b64 v[6:9], v4 offset0:64 offset1:80
	s_waitcnt lgkmcnt(0)
	v_mul_f32_e32 v10, v1, v7
	v_fma_f32 v10, v0, v6, -v10
	v_mul_f32_e32 v11, v0, v7
	v_add_f32_e32 v15, v15, v10
	v_mul_f32_e32 v10, v1, v9
	v_fmac_f32_e32 v11, v1, v6
	v_fma_f32 v10, v0, v8, -v10
	v_mul_f32_e32 v0, v0, v9
	v_add_f32_e32 v35, v35, v11
	v_fmac_f32_e32 v0, v1, v8
	v_add_f32_e32 v1, v42, v10
	ds_read_b128 v[10:13], v53 offset:4176
	v_add_f32_e32 v0, v44, v0
	s_waitcnt lgkmcnt(0)
	v_mul_f32_e32 v42, v11, v7
	v_mul_f32_e32 v7, v10, v7
	v_fmac_f32_e32 v7, v11, v6
	v_fma_f32 v42, v10, v6, -v42
	v_add_f32_e32 v14, v14, v7
	v_mul_f32_e32 v6, v11, v9
	v_mul_f32_e32 v7, v10, v9
	v_fma_f32 v6, v10, v8, -v6
	v_fmac_f32_e32 v7, v11, v8
	v_add_f32_e32 v10, v46, v6
	v_add_f32_e32 v11, v48, v7
	ds_read2_b64 v[6:9], v4 offset0:96 offset1:112
	v_add_f32_e32 v5, v5, v42
	s_waitcnt lgkmcnt(0)
	v_mul_f32_e32 v42, v3, v7
	v_fma_f32 v42, v2, v6, -v42
	v_add_f32_e32 v15, v15, v42
	v_mul_f32_e32 v42, v3, v9
	v_mul_f32_e32 v44, v2, v7
	v_fma_f32 v42, v2, v8, -v42
	v_mul_f32_e32 v2, v2, v9
	v_fmac_f32_e32 v44, v3, v6
	v_fmac_f32_e32 v2, v3, v8
	v_add_f32_e32 v35, v35, v44
	v_add_f32_e32 v42, v1, v42
	;; [unrolled: 1-line block ×3, first 2 shown]
	v_mul_f32_e32 v0, v13, v7
	v_mul_f32_e32 v1, v12, v7
	v_fma_f32 v0, v12, v6, -v0
	v_fmac_f32_e32 v1, v13, v6
	v_add_f32_e32 v5, v5, v0
	v_add_f32_e32 v14, v14, v1
	v_mul_f32_e32 v0, v13, v9
	v_mul_f32_e32 v1, v12, v9
	v_fma_f32 v0, v12, v8, -v0
	v_fmac_f32_e32 v1, v13, v8
	v_add_f32_e32 v46, v10, v0
	v_add_f32_e32 v48, v11, v1
	ds_read_b128 v[0:3], v53 offset:96
	ds_read2_b64 v[6:9], v4 offset0:128 offset1:144
	s_waitcnt lgkmcnt(0)
	v_mul_f32_e32 v10, v1, v7
	v_fma_f32 v10, v0, v6, -v10
	v_mul_f32_e32 v11, v0, v7
	v_add_f32_e32 v15, v15, v10
	v_mul_f32_e32 v10, v1, v9
	v_fmac_f32_e32 v11, v1, v6
	v_fma_f32 v10, v0, v8, -v10
	v_mul_f32_e32 v0, v0, v9
	v_add_f32_e32 v35, v35, v11
	v_fmac_f32_e32 v0, v1, v8
	v_add_f32_e32 v1, v42, v10
	ds_read_b128 v[10:13], v53 offset:4192
	v_add_f32_e32 v0, v44, v0
	s_waitcnt lgkmcnt(0)
	v_mul_f32_e32 v42, v11, v7
	v_mul_f32_e32 v7, v10, v7
	v_fmac_f32_e32 v7, v11, v6
	v_fma_f32 v42, v10, v6, -v42
	v_add_f32_e32 v14, v14, v7
	v_mul_f32_e32 v6, v11, v9
	v_mul_f32_e32 v7, v10, v9
	v_fma_f32 v6, v10, v8, -v6
	v_fmac_f32_e32 v7, v11, v8
	v_add_f32_e32 v10, v46, v6
	v_add_f32_e32 v11, v48, v7
	ds_read2_b64 v[6:9], v4 offset0:160 offset1:176
	v_add_f32_e32 v5, v5, v42
	s_waitcnt lgkmcnt(0)
	v_mul_f32_e32 v42, v3, v7
	v_fma_f32 v42, v2, v6, -v42
	v_add_f32_e32 v15, v15, v42
	v_mul_f32_e32 v42, v3, v9
	v_mul_f32_e32 v44, v2, v7
	v_fma_f32 v42, v2, v8, -v42
	v_mul_f32_e32 v2, v2, v9
	v_fmac_f32_e32 v44, v3, v6
	v_fmac_f32_e32 v2, v3, v8
	v_add_f32_e32 v35, v35, v44
	v_add_f32_e32 v42, v1, v42
	;; [unrolled: 1-line block ×3, first 2 shown]
	v_mul_f32_e32 v0, v13, v7
	v_mul_f32_e32 v1, v12, v7
	v_fma_f32 v0, v12, v6, -v0
	v_fmac_f32_e32 v1, v13, v6
	v_add_f32_e32 v5, v5, v0
	v_add_f32_e32 v14, v14, v1
	v_mul_f32_e32 v0, v13, v9
	v_mul_f32_e32 v1, v12, v9
	v_fma_f32 v0, v12, v8, -v0
	v_fmac_f32_e32 v1, v13, v8
	v_add_f32_e32 v46, v10, v0
	v_add_f32_e32 v48, v11, v1
	ds_read_b128 v[0:3], v53 offset:112
	ds_read2_b64 v[6:9], v4 offset0:192 offset1:208
	s_waitcnt lgkmcnt(0)
	v_mul_f32_e32 v10, v1, v7
	v_fma_f32 v10, v0, v6, -v10
	v_mul_f32_e32 v11, v0, v7
	v_add_f32_e32 v15, v15, v10
	v_mul_f32_e32 v10, v1, v9
	v_fmac_f32_e32 v11, v1, v6
	v_fma_f32 v10, v0, v8, -v10
	v_mul_f32_e32 v0, v0, v9
	v_add_f32_e32 v35, v35, v11
	v_fmac_f32_e32 v0, v1, v8
	v_add_f32_e32 v1, v42, v10
	ds_read_b128 v[10:13], v53 offset:4208
	v_add_f32_e32 v0, v44, v0
	s_waitcnt lgkmcnt(0)
	v_mul_f32_e32 v42, v11, v7
	v_fma_f32 v42, v10, v6, -v42
	v_mul_f32_e32 v7, v10, v7
	v_fmac_f32_e32 v7, v11, v6
	v_add_f32_e32 v42, v5, v42
	v_mul_f32_e32 v5, v11, v9
	v_mul_f32_e32 v6, v10, v9
	v_fma_f32 v5, v10, v8, -v5
	v_fmac_f32_e32 v6, v11, v8
	v_add_f32_e32 v14, v14, v7
	v_add_f32_e32 v8, v46, v5
	;; [unrolled: 1-line block ×3, first 2 shown]
	ds_read2_b64 v[4:7], v4 offset0:224 offset1:240
	s_waitcnt lgkmcnt(0)
	v_mul_f32_e32 v10, v3, v5
	v_fma_f32 v10, v2, v4, -v10
	v_add_f32_e32 v10, v15, v10
	v_mul_f32_e32 v15, v3, v7
	v_mul_f32_e32 v11, v2, v5
	v_fma_f32 v15, v2, v6, -v15
	v_mul_f32_e32 v2, v2, v7
	v_fmac_f32_e32 v11, v3, v4
	v_fmac_f32_e32 v2, v3, v6
	v_add_f32_e32 v11, v35, v11
	v_add_f32_e32 v15, v1, v15
	;; [unrolled: 1-line block ×3, first 2 shown]
	v_mul_f32_e32 v0, v13, v5
	v_mul_f32_e32 v1, v12, v5
	v_fma_f32 v0, v12, v4, -v0
	v_fmac_f32_e32 v1, v13, v4
	v_add_f32_e32 v5, v42, v0
	v_add_f32_e32 v14, v14, v1
	v_mul_f32_e32 v0, v13, v7
	v_mul_f32_e32 v1, v12, v7
	v_fma_f32 v0, v12, v6, -v0
	v_fmac_f32_e32 v1, v13, v6
	v_add_u32_e32 v4, 0x1000, v49
	v_add_f32_e32 v42, v8, v0
	v_add_f32_e32 v44, v9, v1
	ds_read_b128 v[0:3], v53 offset:128
	ds_read2_b64 v[6:9], v4 offset1:16
	s_waitcnt lgkmcnt(0)
	v_mul_f32_e32 v12, v1, v7
	v_fma_f32 v12, v0, v6, -v12
	v_mul_f32_e32 v13, v0, v7
	v_add_f32_e32 v46, v10, v12
	v_mul_f32_e32 v10, v1, v9
	v_fmac_f32_e32 v13, v1, v6
	v_fma_f32 v10, v0, v8, -v10
	v_mul_f32_e32 v0, v0, v9
	v_add_f32_e32 v48, v11, v13
	v_fmac_f32_e32 v0, v1, v8
	v_add_f32_e32 v1, v15, v10
	ds_read_b128 v[10:13], v53 offset:4224
	v_add_f32_e32 v0, v35, v0
	s_waitcnt lgkmcnt(0)
	v_mul_f32_e32 v15, v11, v7
	v_mul_f32_e32 v7, v10, v7
	v_fmac_f32_e32 v7, v11, v6
	v_fma_f32 v15, v10, v6, -v15
	v_add_f32_e32 v14, v14, v7
	v_mul_f32_e32 v6, v11, v9
	v_mul_f32_e32 v7, v10, v9
	v_fma_f32 v6, v10, v8, -v6
	v_fmac_f32_e32 v7, v11, v8
	v_add_f32_e32 v10, v42, v6
	v_add_f32_e32 v11, v44, v7
	ds_read2_b64 v[6:9], v4 offset0:32 offset1:48
	v_add_f32_e32 v5, v5, v15
	s_waitcnt lgkmcnt(0)
	v_mul_f32_e32 v15, v3, v7
	v_mul_f32_e32 v42, v3, v9
	v_fma_f32 v15, v2, v6, -v15
	v_mul_f32_e32 v35, v2, v7
	v_fma_f32 v42, v2, v8, -v42
	v_mul_f32_e32 v2, v2, v9
	v_fmac_f32_e32 v2, v3, v8
	v_add_f32_e32 v42, v1, v42
	v_add_f32_e32 v44, v0, v2
	v_mul_f32_e32 v0, v13, v7
	v_mul_f32_e32 v1, v12, v7
	v_fma_f32 v0, v12, v6, -v0
	v_fmac_f32_e32 v1, v13, v6
	v_add_f32_e32 v5, v5, v0
	v_add_f32_e32 v14, v14, v1
	v_mul_f32_e32 v0, v13, v9
	v_mul_f32_e32 v1, v12, v9
	v_fmac_f32_e32 v35, v3, v6
	v_fma_f32 v0, v12, v8, -v0
	v_fmac_f32_e32 v1, v13, v8
	v_add_f32_e32 v15, v46, v15
	v_add_f32_e32 v35, v48, v35
	;; [unrolled: 1-line block ×4, first 2 shown]
	ds_read_b128 v[0:3], v53 offset:144
	ds_read2_b64 v[6:9], v4 offset0:64 offset1:80
	s_waitcnt lgkmcnt(0)
	v_mul_f32_e32 v10, v1, v7
	v_fma_f32 v10, v0, v6, -v10
	v_mul_f32_e32 v11, v0, v7
	v_add_f32_e32 v15, v15, v10
	v_mul_f32_e32 v10, v1, v9
	v_fmac_f32_e32 v11, v1, v6
	v_fma_f32 v10, v0, v8, -v10
	v_mul_f32_e32 v0, v0, v9
	v_add_f32_e32 v35, v35, v11
	v_fmac_f32_e32 v0, v1, v8
	v_add_f32_e32 v1, v42, v10
	ds_read_b128 v[10:13], v53 offset:4240
	v_add_f32_e32 v0, v44, v0
	s_waitcnt lgkmcnt(0)
	v_mul_f32_e32 v42, v11, v7
	v_mul_f32_e32 v7, v10, v7
	v_fmac_f32_e32 v7, v11, v6
	v_fma_f32 v42, v10, v6, -v42
	v_add_f32_e32 v14, v14, v7
	v_mul_f32_e32 v6, v11, v9
	v_mul_f32_e32 v7, v10, v9
	v_fma_f32 v6, v10, v8, -v6
	v_fmac_f32_e32 v7, v11, v8
	v_add_f32_e32 v10, v46, v6
	v_add_f32_e32 v11, v48, v7
	ds_read2_b64 v[6:9], v4 offset0:96 offset1:112
	v_add_f32_e32 v5, v5, v42
	s_waitcnt lgkmcnt(0)
	v_mul_f32_e32 v42, v3, v7
	v_fma_f32 v42, v2, v6, -v42
	v_add_f32_e32 v15, v15, v42
	v_mul_f32_e32 v42, v3, v9
	v_mul_f32_e32 v44, v2, v7
	v_fma_f32 v42, v2, v8, -v42
	v_mul_f32_e32 v2, v2, v9
	v_fmac_f32_e32 v44, v3, v6
	v_fmac_f32_e32 v2, v3, v8
	v_add_f32_e32 v35, v35, v44
	v_add_f32_e32 v42, v1, v42
	;; [unrolled: 1-line block ×3, first 2 shown]
	v_mul_f32_e32 v0, v13, v7
	v_mul_f32_e32 v1, v12, v7
	v_fma_f32 v0, v12, v6, -v0
	v_fmac_f32_e32 v1, v13, v6
	v_add_f32_e32 v5, v5, v0
	v_add_f32_e32 v14, v14, v1
	v_mul_f32_e32 v0, v13, v9
	v_mul_f32_e32 v1, v12, v9
	v_fma_f32 v0, v12, v8, -v0
	v_fmac_f32_e32 v1, v13, v8
	v_add_f32_e32 v46, v10, v0
	v_add_f32_e32 v48, v11, v1
	ds_read_b128 v[0:3], v53 offset:160
	ds_read2_b64 v[6:9], v4 offset0:128 offset1:144
	s_waitcnt lgkmcnt(0)
	v_mul_f32_e32 v10, v1, v7
	v_fma_f32 v10, v0, v6, -v10
	v_mul_f32_e32 v11, v0, v7
	v_add_f32_e32 v15, v15, v10
	v_mul_f32_e32 v10, v1, v9
	v_fmac_f32_e32 v11, v1, v6
	v_fma_f32 v10, v0, v8, -v10
	v_mul_f32_e32 v0, v0, v9
	v_add_f32_e32 v35, v35, v11
	v_fmac_f32_e32 v0, v1, v8
	v_add_f32_e32 v1, v42, v10
	ds_read_b128 v[10:13], v53 offset:4256
	v_add_f32_e32 v0, v44, v0
	s_waitcnt lgkmcnt(0)
	v_mul_f32_e32 v42, v11, v7
	v_mul_f32_e32 v7, v10, v7
	v_fmac_f32_e32 v7, v11, v6
	v_fma_f32 v42, v10, v6, -v42
	v_add_f32_e32 v14, v14, v7
	v_mul_f32_e32 v6, v11, v9
	v_mul_f32_e32 v7, v10, v9
	v_fma_f32 v6, v10, v8, -v6
	v_fmac_f32_e32 v7, v11, v8
	v_add_f32_e32 v10, v46, v6
	v_add_f32_e32 v11, v48, v7
	ds_read2_b64 v[6:9], v4 offset0:160 offset1:176
	v_add_f32_e32 v5, v5, v42
	s_waitcnt lgkmcnt(0)
	v_mul_f32_e32 v42, v3, v7
	v_fma_f32 v42, v2, v6, -v42
	v_add_f32_e32 v15, v15, v42
	v_mul_f32_e32 v42, v3, v9
	v_mul_f32_e32 v44, v2, v7
	v_fma_f32 v42, v2, v8, -v42
	v_mul_f32_e32 v2, v2, v9
	v_fmac_f32_e32 v44, v3, v6
	v_fmac_f32_e32 v2, v3, v8
	v_add_f32_e32 v35, v35, v44
	v_add_f32_e32 v42, v1, v42
	v_add_f32_e32 v44, v0, v2
	v_mul_f32_e32 v0, v13, v7
	v_mul_f32_e32 v1, v12, v7
	v_fma_f32 v0, v12, v6, -v0
	v_fmac_f32_e32 v1, v13, v6
	v_add_f32_e32 v5, v5, v0
	v_add_f32_e32 v14, v14, v1
	v_mul_f32_e32 v0, v13, v9
	v_mul_f32_e32 v1, v12, v9
	v_fma_f32 v0, v12, v8, -v0
	v_fmac_f32_e32 v1, v13, v8
	v_add_f32_e32 v46, v10, v0
	v_add_f32_e32 v48, v11, v1
	ds_read_b128 v[0:3], v53 offset:176
	ds_read2_b64 v[6:9], v4 offset0:192 offset1:208
	s_waitcnt lgkmcnt(0)
	v_mul_f32_e32 v10, v1, v7
	v_fma_f32 v10, v0, v6, -v10
	v_mul_f32_e32 v11, v0, v7
	v_add_f32_e32 v15, v15, v10
	v_mul_f32_e32 v10, v1, v9
	v_fmac_f32_e32 v11, v1, v6
	v_fma_f32 v10, v0, v8, -v10
	v_mul_f32_e32 v0, v0, v9
	v_add_f32_e32 v35, v35, v11
	v_fmac_f32_e32 v0, v1, v8
	v_add_f32_e32 v1, v42, v10
	ds_read_b128 v[10:13], v53 offset:4272
	v_add_f32_e32 v0, v44, v0
	s_waitcnt lgkmcnt(0)
	v_mul_f32_e32 v42, v11, v7
	v_fma_f32 v42, v10, v6, -v42
	v_mul_f32_e32 v7, v10, v7
	v_fmac_f32_e32 v7, v11, v6
	v_add_f32_e32 v42, v5, v42
	v_mul_f32_e32 v5, v11, v9
	v_mul_f32_e32 v6, v10, v9
	v_fma_f32 v5, v10, v8, -v5
	v_fmac_f32_e32 v6, v11, v8
	v_add_f32_e32 v14, v14, v7
	v_add_f32_e32 v8, v46, v5
	;; [unrolled: 1-line block ×3, first 2 shown]
	ds_read2_b64 v[4:7], v4 offset0:224 offset1:240
	s_waitcnt lgkmcnt(0)
	v_mul_f32_e32 v10, v3, v5
	v_fma_f32 v10, v2, v4, -v10
	v_add_f32_e32 v10, v15, v10
	v_mul_f32_e32 v15, v3, v7
	v_mul_f32_e32 v11, v2, v5
	v_fma_f32 v15, v2, v6, -v15
	v_mul_f32_e32 v2, v2, v7
	v_fmac_f32_e32 v11, v3, v4
	v_fmac_f32_e32 v2, v3, v6
	v_add_f32_e32 v11, v35, v11
	v_add_f32_e32 v15, v1, v15
	v_add_f32_e32 v35, v0, v2
	v_mul_f32_e32 v0, v13, v5
	v_mul_f32_e32 v1, v12, v5
	v_fma_f32 v0, v12, v4, -v0
	v_fmac_f32_e32 v1, v13, v4
	v_add_f32_e32 v5, v42, v0
	v_add_f32_e32 v14, v14, v1
	v_mul_f32_e32 v0, v13, v7
	v_mul_f32_e32 v1, v12, v7
	v_fma_f32 v0, v12, v6, -v0
	v_fmac_f32_e32 v1, v13, v6
	v_add_u32_e32 v4, 0x1800, v49
	v_add_f32_e32 v42, v8, v0
	v_add_f32_e32 v44, v9, v1
	ds_read_b128 v[0:3], v53 offset:192
	ds_read2_b64 v[6:9], v4 offset1:16
	s_waitcnt lgkmcnt(0)
	v_mul_f32_e32 v12, v1, v7
	v_fma_f32 v12, v0, v6, -v12
	v_mul_f32_e32 v13, v0, v7
	v_add_f32_e32 v46, v10, v12
	v_mul_f32_e32 v10, v1, v9
	v_fmac_f32_e32 v13, v1, v6
	v_fma_f32 v10, v0, v8, -v10
	v_mul_f32_e32 v0, v0, v9
	v_add_f32_e32 v48, v11, v13
	v_fmac_f32_e32 v0, v1, v8
	v_add_f32_e32 v1, v15, v10
	ds_read_b128 v[10:13], v53 offset:4288
	v_add_f32_e32 v0, v35, v0
	s_waitcnt lgkmcnt(0)
	v_mul_f32_e32 v15, v11, v7
	v_mul_f32_e32 v7, v10, v7
	v_fmac_f32_e32 v7, v11, v6
	v_fma_f32 v15, v10, v6, -v15
	v_add_f32_e32 v14, v14, v7
	v_mul_f32_e32 v6, v11, v9
	v_mul_f32_e32 v7, v10, v9
	v_fma_f32 v6, v10, v8, -v6
	v_fmac_f32_e32 v7, v11, v8
	v_add_f32_e32 v10, v42, v6
	v_add_f32_e32 v11, v44, v7
	ds_read2_b64 v[6:9], v4 offset0:32 offset1:48
	v_add_f32_e32 v5, v5, v15
	s_waitcnt lgkmcnt(0)
	v_mul_f32_e32 v15, v3, v7
	v_mul_f32_e32 v42, v3, v9
	v_fma_f32 v15, v2, v6, -v15
	v_mul_f32_e32 v35, v2, v7
	v_fma_f32 v42, v2, v8, -v42
	v_mul_f32_e32 v2, v2, v9
	v_fmac_f32_e32 v2, v3, v8
	v_add_f32_e32 v42, v1, v42
	v_add_f32_e32 v44, v0, v2
	v_mul_f32_e32 v0, v13, v7
	v_mul_f32_e32 v1, v12, v7
	v_fma_f32 v0, v12, v6, -v0
	v_fmac_f32_e32 v1, v13, v6
	v_add_f32_e32 v5, v5, v0
	v_add_f32_e32 v14, v14, v1
	v_mul_f32_e32 v0, v13, v9
	v_mul_f32_e32 v1, v12, v9
	v_fmac_f32_e32 v35, v3, v6
	v_fma_f32 v0, v12, v8, -v0
	v_fmac_f32_e32 v1, v13, v8
	v_add_f32_e32 v15, v46, v15
	v_add_f32_e32 v35, v48, v35
	;; [unrolled: 1-line block ×4, first 2 shown]
	ds_read_b128 v[0:3], v53 offset:208
	ds_read2_b64 v[6:9], v4 offset0:64 offset1:80
	s_waitcnt lgkmcnt(0)
	v_mul_f32_e32 v10, v1, v7
	v_fma_f32 v10, v0, v6, -v10
	v_mul_f32_e32 v11, v0, v7
	v_add_f32_e32 v15, v15, v10
	v_mul_f32_e32 v10, v1, v9
	v_fmac_f32_e32 v11, v1, v6
	v_fma_f32 v10, v0, v8, -v10
	v_mul_f32_e32 v0, v0, v9
	v_add_f32_e32 v35, v35, v11
	v_fmac_f32_e32 v0, v1, v8
	v_add_f32_e32 v1, v42, v10
	ds_read_b128 v[10:13], v53 offset:4304
	v_add_f32_e32 v0, v44, v0
	s_waitcnt lgkmcnt(0)
	v_mul_f32_e32 v42, v11, v7
	v_mul_f32_e32 v7, v10, v7
	v_fmac_f32_e32 v7, v11, v6
	v_fma_f32 v42, v10, v6, -v42
	v_add_f32_e32 v14, v14, v7
	v_mul_f32_e32 v6, v11, v9
	v_mul_f32_e32 v7, v10, v9
	v_fma_f32 v6, v10, v8, -v6
	v_fmac_f32_e32 v7, v11, v8
	v_add_f32_e32 v10, v46, v6
	v_add_f32_e32 v11, v48, v7
	ds_read2_b64 v[6:9], v4 offset0:96 offset1:112
	v_add_f32_e32 v5, v5, v42
	s_waitcnt lgkmcnt(0)
	v_mul_f32_e32 v42, v3, v7
	v_fma_f32 v42, v2, v6, -v42
	v_add_f32_e32 v15, v15, v42
	v_mul_f32_e32 v42, v3, v9
	v_mul_f32_e32 v44, v2, v7
	v_fma_f32 v42, v2, v8, -v42
	v_mul_f32_e32 v2, v2, v9
	v_fmac_f32_e32 v44, v3, v6
	v_fmac_f32_e32 v2, v3, v8
	v_add_f32_e32 v35, v35, v44
	v_add_f32_e32 v42, v1, v42
	;; [unrolled: 1-line block ×3, first 2 shown]
	v_mul_f32_e32 v0, v13, v7
	v_mul_f32_e32 v1, v12, v7
	v_fma_f32 v0, v12, v6, -v0
	v_fmac_f32_e32 v1, v13, v6
	v_add_f32_e32 v5, v5, v0
	v_add_f32_e32 v14, v14, v1
	v_mul_f32_e32 v0, v13, v9
	v_mul_f32_e32 v1, v12, v9
	v_fma_f32 v0, v12, v8, -v0
	v_fmac_f32_e32 v1, v13, v8
	v_add_f32_e32 v46, v10, v0
	v_add_f32_e32 v48, v11, v1
	ds_read_b128 v[0:3], v53 offset:224
	ds_read2_b64 v[6:9], v4 offset0:128 offset1:144
	s_waitcnt lgkmcnt(0)
	v_mul_f32_e32 v10, v1, v7
	v_fma_f32 v10, v0, v6, -v10
	v_mul_f32_e32 v11, v0, v7
	v_add_f32_e32 v15, v15, v10
	v_mul_f32_e32 v10, v1, v9
	v_fmac_f32_e32 v11, v1, v6
	v_fma_f32 v10, v0, v8, -v10
	v_mul_f32_e32 v0, v0, v9
	v_add_f32_e32 v35, v35, v11
	v_fmac_f32_e32 v0, v1, v8
	v_add_f32_e32 v1, v42, v10
	ds_read_b128 v[10:13], v53 offset:4320
	v_add_f32_e32 v0, v44, v0
	s_waitcnt lgkmcnt(0)
	v_mul_f32_e32 v42, v11, v7
	v_mul_f32_e32 v7, v10, v7
	v_fmac_f32_e32 v7, v11, v6
	v_fma_f32 v42, v10, v6, -v42
	v_add_f32_e32 v14, v14, v7
	v_mul_f32_e32 v6, v11, v9
	v_mul_f32_e32 v7, v10, v9
	v_fma_f32 v6, v10, v8, -v6
	v_fmac_f32_e32 v7, v11, v8
	v_add_f32_e32 v10, v46, v6
	v_add_f32_e32 v11, v48, v7
	ds_read2_b64 v[6:9], v4 offset0:160 offset1:176
	v_add_f32_e32 v5, v5, v42
	s_waitcnt lgkmcnt(0)
	v_mul_f32_e32 v42, v3, v7
	v_fma_f32 v42, v2, v6, -v42
	v_add_f32_e32 v15, v15, v42
	v_mul_f32_e32 v42, v3, v9
	v_mul_f32_e32 v44, v2, v7
	v_fma_f32 v42, v2, v8, -v42
	v_mul_f32_e32 v2, v2, v9
	v_fmac_f32_e32 v44, v3, v6
	v_fmac_f32_e32 v2, v3, v8
	v_add_f32_e32 v35, v35, v44
	v_add_f32_e32 v42, v1, v42
	;; [unrolled: 1-line block ×3, first 2 shown]
	v_mul_f32_e32 v0, v13, v7
	v_mul_f32_e32 v1, v12, v7
	v_fma_f32 v0, v12, v6, -v0
	v_fmac_f32_e32 v1, v13, v6
	v_add_f32_e32 v5, v5, v0
	v_add_f32_e32 v14, v14, v1
	v_mul_f32_e32 v0, v13, v9
	v_mul_f32_e32 v1, v12, v9
	v_fma_f32 v0, v12, v8, -v0
	v_fmac_f32_e32 v1, v13, v8
	v_add_f32_e32 v46, v10, v0
	v_add_f32_e32 v48, v11, v1
	ds_read_b128 v[0:3], v53 offset:240
	ds_read2_b64 v[6:9], v4 offset0:192 offset1:208
	s_waitcnt lgkmcnt(0)
	v_mul_f32_e32 v10, v1, v7
	v_fma_f32 v10, v0, v6, -v10
	v_mul_f32_e32 v11, v0, v7
	v_add_f32_e32 v15, v15, v10
	v_mul_f32_e32 v10, v1, v9
	v_fmac_f32_e32 v11, v1, v6
	v_fma_f32 v10, v0, v8, -v10
	v_mul_f32_e32 v0, v0, v9
	v_add_f32_e32 v35, v35, v11
	v_fmac_f32_e32 v0, v1, v8
	v_add_f32_e32 v1, v42, v10
	ds_read_b128 v[10:13], v53 offset:4336
	v_add_f32_e32 v0, v44, v0
	s_waitcnt lgkmcnt(0)
	v_mul_f32_e32 v42, v11, v7
	v_fma_f32 v42, v10, v6, -v42
	v_mul_f32_e32 v7, v10, v7
	v_fmac_f32_e32 v7, v11, v6
	v_add_f32_e32 v42, v5, v42
	v_mul_f32_e32 v5, v11, v9
	v_mul_f32_e32 v6, v10, v9
	v_fma_f32 v5, v10, v8, -v5
	v_fmac_f32_e32 v6, v11, v8
	v_add_f32_e32 v14, v14, v7
	v_add_f32_e32 v8, v46, v5
	;; [unrolled: 1-line block ×3, first 2 shown]
	ds_read2_b64 v[4:7], v4 offset0:224 offset1:240
	s_waitcnt lgkmcnt(0)
	s_barrier
	v_mul_f32_e32 v10, v3, v5
	v_fma_f32 v10, v2, v4, -v10
	v_add_f32_e32 v50, v15, v10
	v_mul_f32_e32 v10, v3, v7
	v_mul_f32_e32 v11, v2, v5
	v_fma_f32 v10, v2, v6, -v10
	v_mul_f32_e32 v2, v2, v7
	v_fmac_f32_e32 v2, v3, v6
	v_add_f32_e32 v46, v1, v10
	v_add_f32_e32 v48, v0, v2
	v_mul_f32_e32 v0, v13, v5
	v_mul_f32_e32 v1, v12, v5
	v_fma_f32 v0, v12, v4, -v0
	v_fmac_f32_e32 v1, v13, v4
	v_add_f32_e32 v42, v42, v0
	v_add_f32_e32 v44, v14, v1
	v_mul_f32_e32 v0, v13, v7
	v_mul_f32_e32 v1, v12, v7
	v_fmac_f32_e32 v11, v3, v4
	v_fma_f32 v0, v12, v6, -v0
	v_fmac_f32_e32 v1, v13, v6
	v_add_f32_e32 v52, v35, v11
	v_add_f32_e32 v14, v8, v0
	v_add_f32_e32 v12, v9, v1
	s_cbranch_scc1 .LBB80_55
.LBB80_7:                               ;   Parent Loop BB80_4 Depth=1
                                        ; =>  This Inner Loop Header: Depth=2
	v_mov_b32_e32 v0, s27
	v_add_co_u32_e64 v2, s[10:11], s26, v16
	v_addc_co_u32_e64 v3, s[10:11], v17, v0, s[10:11]
	v_mov_b32_e32 v1, s25
	v_add_co_u32_e64 v0, s[10:11], s24, v45
	v_addc_co_u32_e64 v1, s[10:11], v47, v1, s[10:11]
	v_cmp_eq_u64_e64 s[10:11], s[26:27], v[24:25]
	v_cmp_le_i64_e64 s[12:13], s[40:41], v[2:3]
	s_and_b64 s[38:39], s[22:23], s[10:11]
	v_cmp_lt_i64_e64 s[10:11], v[2:3], v[18:19]
	s_or_b64 s[16:17], s[12:13], s[10:11]
	s_or_b64 s[16:17], s[16:17], s[38:39]
	;; [unrolled: 1-line block ×3, first 2 shown]
	s_xor_b64 s[16:17], s[16:17], -1
	s_and_saveexec_b64 s[28:29], s[16:17]
	s_xor_b64 s[16:17], exec, s[28:29]
	s_cbranch_execz .LBB80_9
; %bb.8:                                ;   in Loop: Header=BB80_7 Depth=2
	global_load_dwordx2 v[4:5], v[0:1], off
	s_waitcnt vmcnt(0)
	v_xor_b32_e32 v5, 0x80000000, v5
	ds_write_b64 v51, v[4:5]
.LBB80_9:                               ;   in Loop: Header=BB80_7 Depth=2
	s_or_saveexec_b64 s[16:17], s[16:17]
	s_xor_b64 s[28:29], s[38:39], -1
	s_xor_b64 exec, exec, s[16:17]
	s_cbranch_execz .LBB80_15
; %bb.10:                               ;   in Loop: Header=BB80_7 Depth=2
	s_and_saveexec_b64 s[46:47], s[28:29]
	s_xor_b64 s[46:47], exec, s[46:47]
	s_cbranch_execz .LBB80_12
; %bb.11:                               ;   in Loop: Header=BB80_7 Depth=2
	v_mov_b32_e32 v4, v37
	v_mov_b32_e32 v5, v37
	ds_write_b64 v51, v[4:5]
.LBB80_12:                              ;   in Loop: Header=BB80_7 Depth=2
	s_andn2_saveexec_b64 s[46:47], s[46:47]
	s_cbranch_execz .LBB80_14
; %bb.13:                               ;   in Loop: Header=BB80_7 Depth=2
	ds_write_b64 v51, v[36:37]
.LBB80_14:                              ;   in Loop: Header=BB80_7 Depth=2
	s_or_b64 exec, exec, s[46:47]
.LBB80_15:                              ;   in Loop: Header=BB80_7 Depth=2
	s_or_b64 exec, exec, s[16:17]
	v_cmp_eq_u64_e64 s[16:17], s[26:27], v[26:27]
	s_and_b64 s[46:47], s[22:23], s[16:17]
	v_cmp_gt_i64_e64 s[16:17], v[20:21], v[2:3]
	s_or_b64 s[12:13], s[12:13], s[16:17]
	s_or_b64 s[12:13], s[12:13], s[46:47]
	s_or_b64 s[12:13], s[2:3], s[12:13]
	s_xor_b64 s[12:13], s[12:13], -1
	s_and_saveexec_b64 s[16:17], s[12:13]
	s_xor_b64 s[16:17], exec, s[16:17]
	s_cbranch_execz .LBB80_17
; %bb.16:                               ;   in Loop: Header=BB80_7 Depth=2
	v_mov_b32_e32 v5, s25
	v_add_co_u32_e64 v4, s[12:13], s24, v55
	v_addc_co_u32_e64 v5, s[12:13], v56, v5, s[12:13]
	global_load_dwordx2 v[4:5], v[4:5], off
	s_waitcnt vmcnt(0)
	v_xor_b32_e32 v5, 0x80000000, v5
	ds_write_b64 v51, v[4:5] offset:128
.LBB80_17:                              ;   in Loop: Header=BB80_7 Depth=2
	s_andn2_saveexec_b64 s[12:13], s[16:17]
	s_cbranch_execz .LBB80_23
; %bb.18:                               ;   in Loop: Header=BB80_7 Depth=2
	s_xor_b64 s[16:17], s[46:47], -1
	s_and_saveexec_b64 s[46:47], s[16:17]
	s_xor_b64 s[16:17], exec, s[46:47]
	s_cbranch_execz .LBB80_20
; %bb.19:                               ;   in Loop: Header=BB80_7 Depth=2
	v_mov_b32_e32 v4, v37
	v_mov_b32_e32 v5, v37
	ds_write_b64 v51, v[4:5] offset:128
.LBB80_20:                              ;   in Loop: Header=BB80_7 Depth=2
	s_andn2_saveexec_b64 s[16:17], s[16:17]
	s_cbranch_execz .LBB80_22
; %bb.21:                               ;   in Loop: Header=BB80_7 Depth=2
	ds_write_b64 v51, v[36:37] offset:128
.LBB80_22:                              ;   in Loop: Header=BB80_7 Depth=2
	s_or_b64 exec, exec, s[16:17]
.LBB80_23:                              ;   in Loop: Header=BB80_7 Depth=2
	s_or_b64 exec, exec, s[12:13]
	v_add_co_u32_e64 v2, s[12:13], 16, v2
	v_addc_co_u32_e64 v3, s[12:13], 0, v3, s[12:13]
	v_cmp_eq_u64_e64 s[16:17], s[26:27], v[28:29]
	v_cmp_le_i64_e64 s[12:13], s[40:41], v[2:3]
	s_and_b64 s[46:47], s[22:23], s[16:17]
	v_cmp_lt_i64_e64 s[16:17], v[2:3], v[18:19]
	s_or_b64 s[16:17], s[12:13], s[16:17]
	s_or_b64 s[16:17], s[16:17], s[46:47]
	;; [unrolled: 1-line block ×3, first 2 shown]
	s_xor_b64 s[16:17], s[16:17], -1
	s_and_saveexec_b64 s[52:53], s[16:17]
	s_xor_b64 s[16:17], exec, s[52:53]
	s_cbranch_execz .LBB80_25
; %bb.24:                               ;   in Loop: Header=BB80_7 Depth=2
	global_load_dwordx2 v[0:1], v[0:1], off offset:128
	s_waitcnt vmcnt(0)
	v_xor_b32_e32 v1, 0x80000000, v1
	ds_write_b64 v51, v[0:1] offset:4096
.LBB80_25:                              ;   in Loop: Header=BB80_7 Depth=2
	s_andn2_saveexec_b64 s[16:17], s[16:17]
	s_cbranch_execz .LBB80_31
; %bb.26:                               ;   in Loop: Header=BB80_7 Depth=2
	s_xor_b64 s[46:47], s[46:47], -1
	s_and_saveexec_b64 s[52:53], s[46:47]
	s_xor_b64 s[46:47], exec, s[52:53]
	s_cbranch_execz .LBB80_28
; %bb.27:                               ;   in Loop: Header=BB80_7 Depth=2
	v_mov_b32_e32 v0, v37
	v_mov_b32_e32 v1, v37
	ds_write_b64 v51, v[0:1] offset:4096
.LBB80_28:                              ;   in Loop: Header=BB80_7 Depth=2
	s_andn2_saveexec_b64 s[46:47], s[46:47]
	s_cbranch_execz .LBB80_30
; %bb.29:                               ;   in Loop: Header=BB80_7 Depth=2
	ds_write_b64 v51, v[36:37] offset:4096
.LBB80_30:                              ;   in Loop: Header=BB80_7 Depth=2
	s_or_b64 exec, exec, s[46:47]
.LBB80_31:                              ;   in Loop: Header=BB80_7 Depth=2
	s_or_b64 exec, exec, s[16:17]
	s_or_b64 s[10:11], s[12:13], s[10:11]
	s_or_b64 s[10:11], s[10:11], s[38:39]
	;; [unrolled: 1-line block ×3, first 2 shown]
	s_xor_b64 s[10:11], s[10:11], -1
	s_and_saveexec_b64 s[12:13], s[10:11]
	s_xor_b64 s[12:13], exec, s[12:13]
	s_cbranch_execz .LBB80_33
; %bb.32:                               ;   in Loop: Header=BB80_7 Depth=2
	v_mov_b32_e32 v1, s25
	v_add_co_u32_e64 v0, s[10:11], s24, v55
	v_addc_co_u32_e64 v1, s[10:11], v56, v1, s[10:11]
	global_load_dwordx2 v[0:1], v[0:1], off offset:128
	s_waitcnt vmcnt(0)
	v_xor_b32_e32 v1, 0x80000000, v1
	ds_write_b64 v51, v[0:1] offset:4224
.LBB80_33:                              ;   in Loop: Header=BB80_7 Depth=2
	s_andn2_saveexec_b64 s[10:11], s[12:13]
	s_cbranch_execz .LBB80_39
; %bb.34:                               ;   in Loop: Header=BB80_7 Depth=2
	s_and_saveexec_b64 s[12:13], s[28:29]
	s_xor_b64 s[12:13], exec, s[12:13]
	s_cbranch_execz .LBB80_36
; %bb.35:                               ;   in Loop: Header=BB80_7 Depth=2
	v_mov_b32_e32 v0, v37
	v_mov_b32_e32 v1, v37
	ds_write_b64 v51, v[0:1] offset:4224
.LBB80_36:                              ;   in Loop: Header=BB80_7 Depth=2
	s_andn2_saveexec_b64 s[12:13], s[12:13]
	s_cbranch_execz .LBB80_38
; %bb.37:                               ;   in Loop: Header=BB80_7 Depth=2
	ds_write_b64 v51, v[36:37] offset:4224
.LBB80_38:                              ;   in Loop: Header=BB80_7 Depth=2
	s_or_b64 exec, exec, s[12:13]
.LBB80_39:                              ;   in Loop: Header=BB80_7 Depth=2
	s_or_b64 exec, exec, s[10:11]
	v_mov_b32_e32 v1, s27
	v_add_co_u32_e64 v0, s[10:11], s26, v18
	v_addc_co_u32_e64 v1, s[10:11], v19, v1, s[10:11]
	v_cmp_gt_i64_e64 s[10:11], s[40:41], v[0:1]
	s_and_b64 s[12:13], vcc, s[10:11]
	s_xor_b64 s[12:13], s[12:13], -1
	s_and_saveexec_b64 s[16:17], s[12:13]
	s_xor_b64 s[12:13], exec, s[16:17]
	s_cbranch_execz .LBB80_41
; %bb.40:                               ;   in Loop: Header=BB80_7 Depth=2
	v_mov_b32_e32 v2, v37
	v_mov_b32_e32 v3, v37
	ds_write_b64 v54, v[2:3]
.LBB80_41:                              ;   in Loop: Header=BB80_7 Depth=2
	s_or_saveexec_b64 s[16:17], s[12:13]
	v_mov_b32_e32 v3, s25
	v_add_co_u32_e64 v2, s[12:13], s24, v38
	v_addc_co_u32_e64 v3, s[12:13], v39, v3, s[12:13]
	s_xor_b64 exec, exec, s[16:17]
	s_cbranch_execz .LBB80_43
; %bb.42:                               ;   in Loop: Header=BB80_7 Depth=2
	global_load_dwordx2 v[4:5], v[2:3], off offset:-128
	s_waitcnt vmcnt(0)
	ds_write_b64 v54, v[4:5]
.LBB80_43:                              ;   in Loop: Header=BB80_7 Depth=2
	s_or_b64 exec, exec, s[16:17]
	v_cmp_gt_i64_e64 s[12:13], s[42:43], v[0:1]
	s_and_b64 s[16:17], vcc, s[12:13]
	s_xor_b64 s[16:17], s[16:17], -1
	s_and_saveexec_b64 s[28:29], s[16:17]
	s_xor_b64 s[16:17], exec, s[28:29]
	s_cbranch_execz .LBB80_45
; %bb.44:                               ;   in Loop: Header=BB80_7 Depth=2
	v_mov_b32_e32 v0, v37
	v_mov_b32_e32 v1, v37
	ds_write_b64 v54, v[0:1] offset:128
                                        ; implicit-def: $vgpr2_vgpr3
.LBB80_45:                              ;   in Loop: Header=BB80_7 Depth=2
	s_andn2_saveexec_b64 s[16:17], s[16:17]
	s_cbranch_execz .LBB80_47
; %bb.46:                               ;   in Loop: Header=BB80_7 Depth=2
	global_load_dwordx2 v[0:1], v[2:3], off
	s_waitcnt vmcnt(0)
	ds_write_b64 v54, v[0:1] offset:128
.LBB80_47:                              ;   in Loop: Header=BB80_7 Depth=2
	s_or_b64 exec, exec, s[16:17]
	s_and_b64 s[10:11], s[8:9], s[10:11]
	s_xor_b64 s[10:11], s[10:11], -1
	s_and_saveexec_b64 s[16:17], s[10:11]
	s_xor_b64 s[10:11], exec, s[16:17]
	s_cbranch_execz .LBB80_49
; %bb.48:                               ;   in Loop: Header=BB80_7 Depth=2
	v_mov_b32_e32 v0, v37
	v_mov_b32_e32 v1, v37
	ds_write_b64 v54, v[0:1] offset:4096
.LBB80_49:                              ;   in Loop: Header=BB80_7 Depth=2
	s_andn2_saveexec_b64 s[16:17], s[10:11]
	s_cbranch_execz .LBB80_51
; %bb.50:                               ;   in Loop: Header=BB80_7 Depth=2
	v_mov_b32_e32 v1, s25
	v_add_co_u32_e64 v0, s[10:11], s24, v40
	v_addc_co_u32_e64 v1, s[10:11], v41, v1, s[10:11]
	global_load_dwordx2 v[0:1], v[0:1], off offset:-128
	s_waitcnt vmcnt(0)
	ds_write_b64 v54, v[0:1] offset:4096
.LBB80_51:                              ;   in Loop: Header=BB80_7 Depth=2
	s_or_b64 exec, exec, s[16:17]
	s_and_b64 s[10:11], s[8:9], s[12:13]
	s_xor_b64 s[10:11], s[10:11], -1
	s_and_saveexec_b64 s[12:13], s[10:11]
	s_xor_b64 s[10:11], exec, s[12:13]
	s_cbranch_execz .LBB80_53
; %bb.52:                               ;   in Loop: Header=BB80_7 Depth=2
	v_mov_b32_e32 v0, v37
	v_mov_b32_e32 v1, v37
	ds_write_b64 v54, v[0:1] offset:4224
.LBB80_53:                              ;   in Loop: Header=BB80_7 Depth=2
	s_andn2_saveexec_b64 s[12:13], s[10:11]
	s_cbranch_execz .LBB80_6
; %bb.54:                               ;   in Loop: Header=BB80_7 Depth=2
	v_mov_b32_e32 v1, s25
	v_add_co_u32_e64 v0, s[10:11], s24, v40
	v_addc_co_u32_e64 v1, s[10:11], v41, v1, s[10:11]
	global_load_dwordx2 v[0:1], v[0:1], off
	s_waitcnt vmcnt(0)
	ds_write_b64 v54, v[0:1] offset:4224
	s_branch .LBB80_6
.LBB80_55:                              ;   in Loop: Header=BB80_4 Depth=1
	v_mul_lo_u32 v2, v58, s44
	v_mul_lo_u32 v3, v57, s45
	v_mad_u64_u32 v[0:1], s[8:9], v57, s44, 0
	v_add3_u32 v1, v1, v3, v2
	v_lshlrev_b64 v[0:1], 3, v[0:1]
	v_mov_b32_e32 v2, s49
	v_add_co_u32_e64 v0, s[8:9], s48, v0
	v_cmp_gt_i32_e32 vcc, s30, v57
	v_addc_co_u32_e64 v1, s[8:9], v2, v1, s[8:9]
	s_and_b64 s[8:9], s[4:5], vcc
	s_and_saveexec_b64 s[10:11], s[8:9]
	s_cbranch_execz .LBB80_57
; %bb.56:                               ;   in Loop: Header=BB80_4 Depth=1
	v_add_co_u32_e64 v2, s[8:9], v0, v30
	v_addc_co_u32_e64 v3, s[8:9], v1, v31, s[8:9]
	global_load_dwordx2 v[4:5], v[2:3], off
	v_pk_mul_f32 v[6:7], v[52:53], s[34:35] op_sel_hi:[0,1]
	v_pk_fma_f32 v[8:9], v[50:51], s[34:35], v[6:7] op_sel:[0,0,1] op_sel_hi:[1,1,0] neg_lo:[0,0,1] neg_hi:[0,0,1]
	v_pk_fma_f32 v[6:7], v[50:51], s[34:35], v[6:7] op_sel:[0,0,1] op_sel_hi:[0,1,0]
	v_mov_b32_e32 v9, v7
	s_waitcnt vmcnt(0)
	v_pk_add_f32 v[4:5], v[4:5], v[8:9]
	global_store_dwordx2 v[2:3], v[4:5], off
.LBB80_57:                              ;   in Loop: Header=BB80_4 Depth=1
	s_or_b64 exec, exec, s[10:11]
	s_and_b64 s[10:11], s[14:15], vcc
	s_and_saveexec_b64 s[8:9], s[10:11]
	s_cbranch_execz .LBB80_59
; %bb.58:                               ;   in Loop: Header=BB80_4 Depth=1
	v_lshlrev_b64 v[2:3], 3, v[22:23]
	v_add_co_u32_e32 v0, vcc, v0, v2
	v_addc_co_u32_e32 v1, vcc, v1, v3, vcc
	global_load_dwordx2 v[2:3], v[0:1], off
	v_pk_mul_f32 v[4:5], v[48:49], s[34:35] op_sel_hi:[0,1]
	v_pk_fma_f32 v[6:7], v[46:47], s[34:35], v[4:5] op_sel:[0,0,1] op_sel_hi:[1,1,0] neg_lo:[0,0,1] neg_hi:[0,0,1]
	v_pk_fma_f32 v[4:5], v[46:47], s[34:35], v[4:5] op_sel:[0,0,1] op_sel_hi:[0,1,0]
	v_mov_b32_e32 v7, v5
	s_waitcnt vmcnt(0)
	v_pk_add_f32 v[2:3], v[2:3], v[6:7]
	global_store_dwordx2 v[0:1], v[2:3], off
.LBB80_59:                              ;   in Loop: Header=BB80_4 Depth=1
	s_or_b64 exec, exec, s[8:9]
	v_add_u32_e32 v0, 16, v57
	v_ashrrev_i32_e32 v1, 31, v0
	v_cmp_gt_i32_e32 vcc, s30, v0
	v_mul_lo_u32 v2, v1, s44
	v_mul_lo_u32 v3, v0, s45
	v_mad_u64_u32 v[0:1], s[8:9], v0, s44, 0
	v_add3_u32 v1, v1, v3, v2
	v_lshlrev_b64 v[0:1], 3, v[0:1]
	v_mov_b32_e32 v2, s49
	v_add_co_u32_e64 v0, s[8:9], s48, v0
	v_addc_co_u32_e64 v1, s[8:9], v2, v1, s[8:9]
	s_and_b64 s[8:9], s[4:5], vcc
	s_and_saveexec_b64 s[10:11], s[8:9]
	s_cbranch_execz .LBB80_61
; %bb.60:                               ;   in Loop: Header=BB80_4 Depth=1
	v_add_co_u32_e64 v2, s[8:9], v0, v30
	v_addc_co_u32_e64 v3, s[8:9], v1, v31, s[8:9]
	global_load_dwordx2 v[4:5], v[2:3], off
	v_pk_mul_f32 v[6:7], v[44:45], s[34:35] op_sel_hi:[0,1]
	v_pk_fma_f32 v[8:9], v[42:43], s[34:35], v[6:7] op_sel:[0,0,1] op_sel_hi:[1,1,0] neg_lo:[0,0,1] neg_hi:[0,0,1]
	v_pk_fma_f32 v[6:7], v[42:43], s[34:35], v[6:7] op_sel:[0,0,1] op_sel_hi:[0,1,0]
	v_mov_b32_e32 v9, v7
	s_waitcnt vmcnt(0)
	v_pk_add_f32 v[4:5], v[4:5], v[8:9]
	global_store_dwordx2 v[2:3], v[4:5], off
.LBB80_61:                              ;   in Loop: Header=BB80_4 Depth=1
	s_or_b64 exec, exec, s[10:11]
	s_and_b64 s[10:11], s[14:15], vcc
	s_and_saveexec_b64 s[8:9], s[10:11]
	s_cbranch_execz .LBB80_3
; %bb.62:                               ;   in Loop: Header=BB80_4 Depth=1
	v_lshlrev_b64 v[2:3], 3, v[22:23]
	v_add_co_u32_e32 v0, vcc, v0, v2
	v_addc_co_u32_e32 v1, vcc, v1, v3, vcc
	global_load_dwordx2 v[2:3], v[0:1], off
	v_pk_mul_f32 v[4:5], v[12:13], s[34:35] op_sel_hi:[0,1]
	v_pk_fma_f32 v[6:7], v[14:15], s[34:35], v[4:5] op_sel:[0,0,1] op_sel_hi:[1,1,0] neg_lo:[0,0,1] neg_hi:[0,0,1]
	v_pk_fma_f32 v[4:5], v[14:15], s[34:35], v[4:5] op_sel:[0,0,1] op_sel_hi:[0,1,0]
	v_mov_b32_e32 v7, v5
	s_waitcnt vmcnt(0)
	v_pk_add_f32 v[2:3], v[2:3], v[6:7]
	global_store_dwordx2 v[0:1], v[2:3], off
	s_branch .LBB80_3
.LBB80_63:
	s_endpgm
	.section	.rodata,"a",@progbits
	.p2align	6, 0x0
	.amdhsa_kernel _ZL30rocblas_trmm_outofplace_kernelI19rocblas_complex_numIfELi32ELi2ELb1ELb0ELb1ELb1EPKS1_S2_S1_Ev17rocblas_diagonal_iiT6_lPT7_lllS7_lllPT8_llli
		.amdhsa_group_segment_fixed_size 16384
		.amdhsa_private_segment_fixed_size 0
		.amdhsa_kernarg_size 392
		.amdhsa_user_sgpr_count 6
		.amdhsa_user_sgpr_private_segment_buffer 1
		.amdhsa_user_sgpr_dispatch_ptr 0
		.amdhsa_user_sgpr_queue_ptr 0
		.amdhsa_user_sgpr_kernarg_segment_ptr 1
		.amdhsa_user_sgpr_dispatch_id 0
		.amdhsa_user_sgpr_flat_scratch_init 0
		.amdhsa_user_sgpr_kernarg_preload_length 0
		.amdhsa_user_sgpr_kernarg_preload_offset 0
		.amdhsa_user_sgpr_private_segment_size 0
		.amdhsa_uses_dynamic_stack 0
		.amdhsa_system_sgpr_private_segment_wavefront_offset 0
		.amdhsa_system_sgpr_workgroup_id_x 1
		.amdhsa_system_sgpr_workgroup_id_y 1
		.amdhsa_system_sgpr_workgroup_id_z 1
		.amdhsa_system_sgpr_workgroup_info 0
		.amdhsa_system_vgpr_workitem_id 1
		.amdhsa_next_free_vgpr 72
		.amdhsa_next_free_sgpr 54
		.amdhsa_accum_offset 72
		.amdhsa_reserve_vcc 1
		.amdhsa_reserve_flat_scratch 0
		.amdhsa_float_round_mode_32 0
		.amdhsa_float_round_mode_16_64 0
		.amdhsa_float_denorm_mode_32 3
		.amdhsa_float_denorm_mode_16_64 3
		.amdhsa_dx10_clamp 1
		.amdhsa_ieee_mode 1
		.amdhsa_fp16_overflow 0
		.amdhsa_tg_split 0
		.amdhsa_exception_fp_ieee_invalid_op 0
		.amdhsa_exception_fp_denorm_src 0
		.amdhsa_exception_fp_ieee_div_zero 0
		.amdhsa_exception_fp_ieee_overflow 0
		.amdhsa_exception_fp_ieee_underflow 0
		.amdhsa_exception_fp_ieee_inexact 0
		.amdhsa_exception_int_div_zero 0
	.end_amdhsa_kernel
	.section	.text._ZL30rocblas_trmm_outofplace_kernelI19rocblas_complex_numIfELi32ELi2ELb1ELb0ELb1ELb1EPKS1_S2_S1_Ev17rocblas_diagonal_iiT6_lPT7_lllS7_lllPT8_llli,"axG",@progbits,_ZL30rocblas_trmm_outofplace_kernelI19rocblas_complex_numIfELi32ELi2ELb1ELb0ELb1ELb1EPKS1_S2_S1_Ev17rocblas_diagonal_iiT6_lPT7_lllS7_lllPT8_llli,comdat
.Lfunc_end80:
	.size	_ZL30rocblas_trmm_outofplace_kernelI19rocblas_complex_numIfELi32ELi2ELb1ELb0ELb1ELb1EPKS1_S2_S1_Ev17rocblas_diagonal_iiT6_lPT7_lllS7_lllPT8_llli, .Lfunc_end80-_ZL30rocblas_trmm_outofplace_kernelI19rocblas_complex_numIfELi32ELi2ELb1ELb0ELb1ELb1EPKS1_S2_S1_Ev17rocblas_diagonal_iiT6_lPT7_lllS7_lllPT8_llli
                                        ; -- End function
	.section	.AMDGPU.csdata,"",@progbits
; Kernel info:
; codeLenInByte = 6724
; NumSgprs: 58
; NumVgprs: 72
; NumAgprs: 0
; TotalNumVgprs: 72
; ScratchSize: 0
; MemoryBound: 0
; FloatMode: 240
; IeeeMode: 1
; LDSByteSize: 16384 bytes/workgroup (compile time only)
; SGPRBlocks: 7
; VGPRBlocks: 8
; NumSGPRsForWavesPerEU: 58
; NumVGPRsForWavesPerEU: 72
; AccumOffset: 72
; Occupancy: 7
; WaveLimiterHint : 0
; COMPUTE_PGM_RSRC2:SCRATCH_EN: 0
; COMPUTE_PGM_RSRC2:USER_SGPR: 6
; COMPUTE_PGM_RSRC2:TRAP_HANDLER: 0
; COMPUTE_PGM_RSRC2:TGID_X_EN: 1
; COMPUTE_PGM_RSRC2:TGID_Y_EN: 1
; COMPUTE_PGM_RSRC2:TGID_Z_EN: 1
; COMPUTE_PGM_RSRC2:TIDIG_COMP_CNT: 1
; COMPUTE_PGM_RSRC3_GFX90A:ACCUM_OFFSET: 17
; COMPUTE_PGM_RSRC3_GFX90A:TG_SPLIT: 0
	.section	.text._ZL30rocblas_trmm_outofplace_kernelI19rocblas_complex_numIfELi32ELi2ELb1ELb0ELb1ELb1ES1_KS1_S1_Ev17rocblas_diagonal_iiT6_lPT7_lllS6_lllPT8_llli,"axG",@progbits,_ZL30rocblas_trmm_outofplace_kernelI19rocblas_complex_numIfELi32ELi2ELb1ELb0ELb1ELb1ES1_KS1_S1_Ev17rocblas_diagonal_iiT6_lPT7_lllS6_lllPT8_llli,comdat
	.globl	_ZL30rocblas_trmm_outofplace_kernelI19rocblas_complex_numIfELi32ELi2ELb1ELb0ELb1ELb1ES1_KS1_S1_Ev17rocblas_diagonal_iiT6_lPT7_lllS6_lllPT8_llli ; -- Begin function _ZL30rocblas_trmm_outofplace_kernelI19rocblas_complex_numIfELi32ELi2ELb1ELb0ELb1ELb1ES1_KS1_S1_Ev17rocblas_diagonal_iiT6_lPT7_lllS6_lllPT8_llli
	.p2align	8
	.type	_ZL30rocblas_trmm_outofplace_kernelI19rocblas_complex_numIfELi32ELi2ELb1ELb0ELb1ELb1ES1_KS1_S1_Ev17rocblas_diagonal_iiT6_lPT7_lllS6_lllPT8_llli,@function
_ZL30rocblas_trmm_outofplace_kernelI19rocblas_complex_numIfELi32ELi2ELb1ELb0ELb1ELb1ES1_KS1_S1_Ev17rocblas_diagonal_iiT6_lPT7_lllS6_lllPT8_llli: ; @_ZL30rocblas_trmm_outofplace_kernelI19rocblas_complex_numIfELi32ELi2ELb1ELb0ELb1ELb1ES1_KS1_S1_Ev17rocblas_diagonal_iiT6_lPT7_lllS6_lllPT8_llli
; %bb.0:
	s_load_dwordx4 s[28:31], s[4:5], 0x0
	s_load_dword s35, s[4:5], 0x10
	s_waitcnt lgkmcnt(0)
	s_or_b32 s0, s31, s35
	s_bitset0_b32 s0, 31
	s_cmp_eq_u32 s0, 0
	s_cbranch_scc1 .LBB81_63
; %bb.1:
	s_add_i32 s0, s30, -1
	s_ashr_i32 s1, s0, 31
	s_lshr_b32 s1, s1, 27
	s_add_i32 s0, s0, s1
	s_ashr_i32 s33, s0, 5
	s_cmp_gt_i32 s7, s33
	s_cbranch_scc1 .LBB81_63
; %bb.2:
	s_load_dwordx16 s[12:27], s[4:5], 0x20
	s_load_dwordx8 s[36:43], s[4:5], 0x60
	s_mov_b32 s34, s31
	v_and_b32_e32 v2, 0x3ff, v0
	v_bfe_u32 v43, v0, 10, 10
	s_waitcnt lgkmcnt(0)
	s_mul_i32 s0, s8, s19
	s_mul_hi_u32 s1, s8, s18
	s_add_i32 s1, s1, s0
	s_mul_i32 s0, s8, s18
	s_lshl_b64 s[10:11], s[0:1], 3
	s_add_u32 s0, s12, s10
	s_addc_u32 s1, s13, s11
	s_lshl_b64 s[44:45], s[14:15], 3
	s_add_u32 s2, s0, s44
	s_addc_u32 s3, s1, s45
	s_mul_i32 s0, s8, s43
	s_mul_hi_u32 s1, s8, s42
	s_add_i32 s1, s1, s0
	s_mul_i32 s0, s8, s42
	s_lshl_b64 s[0:1], s[0:1], 3
	s_add_u32 s9, s36, s0
	s_addc_u32 s14, s37, s1
	s_lshl_b64 s[0:1], s[38:39], 3
	s_add_u32 s31, s9, s0
	s_addc_u32 s48, s14, s1
	s_lshl_b32 s6, s6, 5
	v_add_u32_e32 v18, s6, v2
	v_ashrrev_i32_e32 v19, 31, v18
	v_mul_lo_u32 v3, v19, s16
	v_mul_lo_u32 v4, v18, s17
	v_mad_u64_u32 v[0:1], s[0:1], v18, s16, 0
	v_add3_u32 v1, v1, v4, v3
	v_add_u32_e32 v16, s6, v43
	v_lshlrev_b64 v[0:1], 3, v[0:1]
	v_ashrrev_i32_e32 v17, 31, v16
	v_mov_b32_e32 v3, s3
	v_add_co_u32_e32 v4, vcc, s2, v0
	v_addc_co_u32_e32 v3, vcc, v3, v1, vcc
	v_lshlrev_b64 v[0:1], 3, v[16:17]
	v_add_co_u32_e32 v45, vcc, v4, v0
	v_addc_co_u32_e32 v47, vcc, v3, v1, vcc
	s_sub_i32 s6, s29, s6
	v_add_co_u32_e32 v20, vcc, 16, v18
	s_cmp_gt_i32 s6, 0
	v_addc_co_u32_e32 v21, vcc, 0, v19, vcc
	s_cselect_b64 s[18:19], -1, 0
	s_cmpk_eq_i32 s28, 0x84
	v_sub_co_u32_e32 v24, vcc, v18, v16
	s_cselect_b64 s[36:37], -1, 0
	s_ashr_i32 s39, s29, 31
	s_ashr_i32 s49, s30, 31
	v_subb_co_u32_e32 v25, vcc, v19, v17, vcc
	s_add_u32 s42, s29, -16
	v_add_co_u32_e32 v26, vcc, 16, v24
	s_addc_u32 s43, s39, -1
	v_addc_co_u32_e32 v27, vcc, 0, v25, vcc
	v_add_co_u32_e32 v28, vcc, -16, v24
	s_add_u32 s10, s44, s10
	v_lshlrev_b32_e32 v3, 8, v43
	v_lshlrev_b32_e32 v49, 3, v2
	v_addc_co_u32_e32 v29, vcc, -1, v25, vcc
	v_lshlrev_b64 v[30:31], 3, v[18:19]
	s_movk_i32 s9, 0x80
	s_addc_u32 s11, s45, s11
	v_add_u32_e32 v51, v49, v3
	v_add_u32_e32 v53, 0x2000, v3
	v_add_co_u32_e32 v4, vcc, s9, v30
	v_pk_mov_b32 v[2:3], s[10:11], s[10:11] op_sel:[0,1]
	v_mad_u64_u32 v[2:3], s[10:11], s16, v4, v[2:3]
	s_mul_i32 s9, s27, s8
	s_mul_hi_u32 s10, s26, s8
	v_addc_co_u32_e32 v5, vcc, 0, v31, vcc
	s_add_i32 s9, s10, s9
	s_mul_i32 s8, s26, s8
	v_mul_lo_u32 v6, s16, v5
	v_mul_lo_u32 v7, s17, v4
	s_lshl_b64 s[8:9], s[8:9], 3
	s_lshl_b64 s[10:11], s[22:23], 3
	s_load_dword s50, s[4:5], 0x8c
	v_add3_u32 v3, v7, v3, v6
	v_add_co_u32_e32 v0, vcc, v2, v0
	s_add_u32 s8, s8, s10
	v_addc_co_u32_e32 v1, vcc, v3, v1, vcc
	s_addc_u32 s9, s9, s11
	v_mov_b32_e32 v2, s13
	v_add_co_u32_e32 v55, vcc, s12, v0
	s_add_u32 s8, s20, s8
	v_addc_co_u32_e32 v56, vcc, v2, v1, vcc
	s_addc_u32 s9, s21, s9
	s_mov_b32 s38, s29
	v_add_u32_e32 v22, 16, v18
	v_mov_b32_e32 v0, s9
	v_add_co_u32_e32 v32, vcc, s8, v4
	v_cmp_le_i32_e64 s[0:1], s29, v18
	v_cmp_le_i64_e64 s[2:3], s[38:39], v[20:21]
	v_add_u32_e32 v54, v53, v49
	v_cmp_gt_i32_e64 s[4:5], s29, v18
	v_cmp_gt_i32_e64 s[14:15], s29, v22
	v_ashrrev_i32_e32 v23, 31, v22
	v_addc_co_u32_e32 v33, vcc, v5, v0, vcc
	s_lshl_b64 s[20:21], s[24:25], 3
	v_lshl_add_u32 v34, s7, 5, v43
	s_waitcnt lgkmcnt(0)
	s_lshl_b32 s51, s50, 5
	v_mov_b32_e32 v37, 0
	v_mov_b32_e32 v36, 1.0
	s_branch .LBB81_4
.LBB81_3:                               ;   in Loop: Header=BB81_4 Depth=1
	s_or_b64 exec, exec, s[8:9]
	s_add_i32 s7, s50, s7
	s_cmp_le_i32 s7, s33
	v_add_u32_e32 v34, s51, v34
	s_cbranch_scc0 .LBB81_63
.LBB81_4:                               ; =>This Loop Header: Depth=1
                                        ;     Child Loop BB81_7 Depth 2
	v_lshl_add_u32 v57, s7, 5, v43
	v_ashrrev_i32_e32 v58, 31, v57
	s_andn2_b64 vcc, exec, s[18:19]
	v_mov_b32_e32 v50, v37
	v_mov_b32_e32 v52, v37
	;; [unrolled: 1-line block ×8, first 2 shown]
	s_cbranch_vccnz .LBB81_55
; %bb.5:                                ;   in Loop: Header=BB81_4 Depth=1
	v_ashrrev_i32_e32 v35, 31, v34
	v_mad_u64_u32 v[38:39], s[8:9], s20, v34, v[32:33]
	v_mul_lo_u32 v0, s21, v34
	v_mul_lo_u32 v1, s20, v35
	v_add3_u32 v39, v0, v39, v1
	v_lshlrev_b64 v[0:1], 3, v[34:35]
	v_add_co_u32_e32 v0, vcc, 0x80, v0
	v_addc_co_u32_e32 v1, vcc, 0, v1, vcc
	v_mul_lo_u32 v1, s24, v1
	v_mul_lo_u32 v2, s25, v0
	v_mad_u64_u32 v[40:41], s[8:9], s24, v0, v[32:33]
	v_add3_u32 v41, v2, v41, v1
	v_mov_b32_e32 v1, s49
	v_sub_co_u32_e32 v0, vcc, s30, v57
	v_subb_co_u32_e32 v1, vcc, v1, v58, vcc
	s_mov_b64 s[22:23], 0
	v_cmp_lt_i64_e32 vcc, 0, v[0:1]
	v_cmp_lt_i64_e64 s[8:9], 16, v[0:1]
	v_mov_b32_e32 v12, 0
	s_mov_b64 s[26:27], 0
	v_mov_b32_e32 v14, 0
	v_mov_b32_e32 v44, 0
	;; [unrolled: 1-line block ×7, first 2 shown]
	s_branch .LBB81_7
.LBB81_6:                               ;   in Loop: Header=BB81_7 Depth=2
	s_or_b64 exec, exec, s[12:13]
	s_waitcnt lgkmcnt(0)
	s_barrier
	ds_read_b128 v[60:63], v53
	ds_read_b128 v[8:11], v53 offset:16
	ds_read_b128 v[4:7], v53 offset:32
	;; [unrolled: 1-line block ×3, first 2 shown]
	ds_read2_b64 v[64:67], v49 offset1:16
	ds_read_b128 v[68:71], v53 offset:4096
	s_add_u32 s26, s26, 32
	s_addc_u32 s27, s27, 0
	s_add_u32 s22, s22, 0x100
	s_waitcnt lgkmcnt(1)
	v_mul_f32_e32 v13, v61, v65
	v_mul_f32_e32 v15, v60, v65
	v_fma_f32 v13, v60, v64, -v13
	v_fmac_f32_e32 v15, v61, v64
	v_add_f32_e32 v35, v50, v13
	v_add_f32_e32 v50, v52, v15
	v_mul_f32_e32 v13, v61, v67
	v_mul_f32_e32 v15, v60, v67
	v_fma_f32 v13, v60, v66, -v13
	v_fmac_f32_e32 v15, v61, v66
	v_add_f32_e32 v46, v46, v13
	v_add_f32_e32 v48, v48, v15
	s_waitcnt lgkmcnt(0)
	v_mul_f32_e32 v13, v69, v65
	v_mul_f32_e32 v15, v68, v65
	v_fma_f32 v13, v68, v64, -v13
	v_fmac_f32_e32 v15, v69, v64
	v_add_f32_e32 v42, v42, v13
	v_add_f32_e32 v44, v44, v15
	v_mul_f32_e32 v13, v69, v67
	v_mul_f32_e32 v15, v68, v67
	v_fma_f32 v13, v68, v66, -v13
	v_fmac_f32_e32 v15, v69, v66
	v_add_f32_e32 v52, v14, v13
	v_add_f32_e32 v59, v12, v15
	ds_read2_b64 v[12:15], v49 offset0:32 offset1:48
	s_addc_u32 s23, s23, 0
	s_cmp_ge_i32 s26, s6
	s_waitcnt lgkmcnt(0)
	v_mul_f32_e32 v60, v63, v13
	v_fma_f32 v60, v62, v12, -v60
	v_add_f32_e32 v35, v35, v60
	v_mul_f32_e32 v60, v63, v15
	v_fma_f32 v60, v62, v14, -v60
	v_mul_f32_e32 v61, v62, v13
	v_add_f32_e32 v46, v46, v60
	v_mul_f32_e32 v60, v71, v13
	v_mul_f32_e32 v13, v70, v13
	v_fmac_f32_e32 v13, v71, v12
	v_fmac_f32_e32 v61, v63, v12
	v_fma_f32 v60, v70, v12, -v60
	v_add_f32_e32 v44, v44, v13
	v_mul_f32_e32 v12, v71, v15
	v_mul_f32_e32 v13, v70, v15
	v_add_f32_e32 v50, v50, v61
	v_mul_f32_e32 v61, v62, v15
	v_fma_f32 v12, v70, v14, -v12
	v_fmac_f32_e32 v13, v71, v14
	v_fmac_f32_e32 v61, v63, v14
	v_add_f32_e32 v52, v52, v12
	v_add_f32_e32 v59, v59, v13
	ds_read2_b64 v[12:15], v49 offset0:64 offset1:80
	v_add_f32_e32 v42, v42, v60
	v_add_f32_e32 v48, v48, v61
	s_waitcnt lgkmcnt(0)
	v_mul_f32_e32 v60, v9, v13
	v_fma_f32 v60, v8, v12, -v60
	v_mul_f32_e32 v61, v8, v13
	v_add_f32_e32 v35, v35, v60
	v_mul_f32_e32 v60, v9, v15
	v_fmac_f32_e32 v61, v9, v12
	v_fma_f32 v60, v8, v14, -v60
	v_mul_f32_e32 v8, v8, v15
	v_add_f32_e32 v50, v50, v61
	v_fmac_f32_e32 v8, v9, v14
	v_add_f32_e32 v9, v46, v60
	ds_read_b128 v[60:63], v53 offset:4112
	v_add_f32_e32 v8, v48, v8
	s_waitcnt lgkmcnt(0)
	v_mul_f32_e32 v46, v61, v13
	v_mul_f32_e32 v13, v60, v13
	v_fmac_f32_e32 v13, v61, v12
	v_fma_f32 v46, v60, v12, -v46
	v_add_f32_e32 v44, v44, v13
	v_mul_f32_e32 v12, v61, v15
	v_mul_f32_e32 v13, v60, v15
	v_fma_f32 v12, v60, v14, -v12
	v_fmac_f32_e32 v13, v61, v14
	v_add_f32_e32 v42, v42, v46
	v_add_f32_e32 v46, v52, v12
	;; [unrolled: 1-line block ×3, first 2 shown]
	ds_read2_b64 v[12:15], v49 offset0:96 offset1:112
	s_waitcnt lgkmcnt(0)
	v_mul_f32_e32 v52, v11, v13
	v_fma_f32 v52, v10, v12, -v52
	v_add_f32_e32 v35, v35, v52
	v_mul_f32_e32 v52, v11, v15
	v_mul_f32_e32 v59, v10, v13
	v_fma_f32 v52, v10, v14, -v52
	v_mul_f32_e32 v10, v10, v15
	v_fmac_f32_e32 v59, v11, v12
	v_fmac_f32_e32 v10, v11, v14
	v_add_f32_e32 v50, v50, v59
	v_add_f32_e32 v52, v9, v52
	;; [unrolled: 1-line block ×3, first 2 shown]
	v_mul_f32_e32 v8, v63, v13
	v_mul_f32_e32 v9, v62, v13
	v_fma_f32 v8, v62, v12, -v8
	v_fmac_f32_e32 v9, v63, v12
	v_add_f32_e32 v42, v42, v8
	v_add_f32_e32 v44, v44, v9
	v_mul_f32_e32 v8, v63, v15
	v_mul_f32_e32 v9, v62, v15
	v_fma_f32 v8, v62, v14, -v8
	v_fmac_f32_e32 v9, v63, v14
	v_add_f32_e32 v46, v46, v8
	v_add_f32_e32 v48, v48, v9
	ds_read2_b64 v[8:11], v49 offset0:128 offset1:144
	s_waitcnt lgkmcnt(0)
	v_mul_f32_e32 v12, v5, v9
	v_fma_f32 v12, v4, v8, -v12
	v_mul_f32_e32 v13, v4, v9
	v_add_f32_e32 v35, v35, v12
	v_mul_f32_e32 v12, v5, v11
	v_fmac_f32_e32 v13, v5, v8
	v_fma_f32 v12, v4, v10, -v12
	v_mul_f32_e32 v4, v4, v11
	v_add_f32_e32 v50, v50, v13
	v_fmac_f32_e32 v4, v5, v10
	v_add_f32_e32 v5, v52, v12
	ds_read_b128 v[12:15], v53 offset:4128
	v_add_f32_e32 v4, v59, v4
	s_waitcnt lgkmcnt(0)
	v_mul_f32_e32 v52, v13, v9
	v_mul_f32_e32 v9, v12, v9
	v_fmac_f32_e32 v9, v13, v8
	v_fma_f32 v52, v12, v8, -v52
	v_add_f32_e32 v44, v44, v9
	v_mul_f32_e32 v8, v13, v11
	v_mul_f32_e32 v9, v12, v11
	v_fma_f32 v8, v12, v10, -v8
	v_fmac_f32_e32 v9, v13, v10
	v_add_f32_e32 v12, v46, v8
	v_add_f32_e32 v13, v48, v9
	ds_read2_b64 v[8:11], v49 offset0:160 offset1:176
	v_add_f32_e32 v42, v42, v52
	s_waitcnt lgkmcnt(0)
	v_mul_f32_e32 v46, v7, v9
	v_mul_f32_e32 v48, v6, v9
	v_fma_f32 v46, v6, v8, -v46
	v_fmac_f32_e32 v48, v7, v8
	v_add_f32_e32 v35, v35, v46
	v_add_f32_e32 v46, v50, v48
	v_mul_f32_e32 v48, v7, v11
	v_fma_f32 v48, v6, v10, -v48
	v_mul_f32_e32 v6, v6, v11
	v_fmac_f32_e32 v6, v7, v10
	v_add_f32_e32 v48, v5, v48
	v_add_f32_e32 v50, v4, v6
	v_mul_f32_e32 v4, v15, v9
	v_mul_f32_e32 v5, v14, v9
	v_fma_f32 v4, v14, v8, -v4
	v_fmac_f32_e32 v5, v15, v8
	v_add_f32_e32 v42, v42, v4
	v_add_f32_e32 v44, v44, v5
	v_mul_f32_e32 v4, v15, v11
	v_mul_f32_e32 v5, v14, v11
	v_fma_f32 v4, v14, v10, -v4
	v_fmac_f32_e32 v5, v15, v10
	v_add_f32_e32 v12, v12, v4
	v_add_f32_e32 v13, v13, v5
	ds_read2_b64 v[4:7], v49 offset0:192 offset1:208
	s_waitcnt lgkmcnt(0)
	v_mul_f32_e32 v8, v1, v5
	v_fma_f32 v8, v0, v4, -v8
	v_mul_f32_e32 v9, v0, v5
	v_add_f32_e32 v14, v35, v8
	v_mul_f32_e32 v8, v1, v7
	v_fmac_f32_e32 v9, v1, v4
	v_fma_f32 v8, v0, v6, -v8
	v_mul_f32_e32 v0, v0, v7
	v_add_f32_e32 v15, v46, v9
	v_fmac_f32_e32 v0, v1, v6
	v_add_f32_e32 v1, v48, v8
	ds_read_b128 v[8:11], v53 offset:4144
	v_add_f32_e32 v0, v50, v0
	s_waitcnt lgkmcnt(0)
	v_mul_f32_e32 v35, v9, v5
	v_mul_f32_e32 v5, v8, v5
	v_fma_f32 v35, v8, v4, -v35
	v_fmac_f32_e32 v5, v9, v4
	v_add_f32_e32 v35, v42, v35
	v_add_f32_e32 v42, v44, v5
	v_mul_f32_e32 v4, v9, v7
	v_mul_f32_e32 v5, v8, v7
	v_fma_f32 v4, v8, v6, -v4
	v_fmac_f32_e32 v5, v9, v6
	v_add_f32_e32 v8, v12, v4
	v_add_f32_e32 v9, v13, v5
	ds_read2_b64 v[4:7], v49 offset0:224 offset1:240
	s_waitcnt lgkmcnt(0)
	v_mul_f32_e32 v12, v3, v5
	v_fma_f32 v12, v2, v4, -v12
	v_add_f32_e32 v12, v14, v12
	v_mul_f32_e32 v14, v3, v7
	v_mul_f32_e32 v13, v2, v5
	v_fma_f32 v14, v2, v6, -v14
	v_mul_f32_e32 v2, v2, v7
	v_fmac_f32_e32 v13, v3, v4
	v_fmac_f32_e32 v2, v3, v6
	v_add_f32_e32 v13, v15, v13
	v_add_f32_e32 v14, v1, v14
	;; [unrolled: 1-line block ×3, first 2 shown]
	v_mul_f32_e32 v0, v11, v5
	v_mul_f32_e32 v1, v10, v5
	v_fma_f32 v0, v10, v4, -v0
	v_fmac_f32_e32 v1, v11, v4
	v_add_f32_e32 v5, v35, v0
	v_add_f32_e32 v35, v42, v1
	v_mul_f32_e32 v0, v11, v7
	v_mul_f32_e32 v1, v10, v7
	v_fma_f32 v0, v10, v6, -v0
	v_fmac_f32_e32 v1, v11, v6
	v_add_u32_e32 v4, 0x800, v49
	v_add_f32_e32 v42, v8, v0
	v_add_f32_e32 v44, v9, v1
	ds_read_b128 v[0:3], v53 offset:64
	ds_read2_b64 v[6:9], v4 offset1:16
	s_waitcnt lgkmcnt(0)
	v_mul_f32_e32 v10, v1, v7
	v_fma_f32 v10, v0, v6, -v10
	v_mul_f32_e32 v11, v0, v7
	v_add_f32_e32 v46, v12, v10
	v_mul_f32_e32 v10, v1, v9
	v_fmac_f32_e32 v11, v1, v6
	v_fma_f32 v10, v0, v8, -v10
	v_mul_f32_e32 v0, v0, v9
	v_add_f32_e32 v48, v13, v11
	v_fmac_f32_e32 v0, v1, v8
	v_add_f32_e32 v1, v14, v10
	ds_read_b128 v[10:13], v53 offset:4160
	v_add_f32_e32 v0, v15, v0
	s_waitcnt lgkmcnt(0)
	v_mul_f32_e32 v14, v11, v7
	v_mul_f32_e32 v7, v10, v7
	v_fma_f32 v14, v10, v6, -v14
	v_fmac_f32_e32 v7, v11, v6
	v_add_f32_e32 v5, v5, v14
	v_add_f32_e32 v14, v35, v7
	v_mul_f32_e32 v6, v11, v9
	v_mul_f32_e32 v7, v10, v9
	v_fma_f32 v6, v10, v8, -v6
	v_fmac_f32_e32 v7, v11, v8
	v_add_f32_e32 v10, v42, v6
	v_add_f32_e32 v11, v44, v7
	ds_read2_b64 v[6:9], v4 offset0:32 offset1:48
	s_waitcnt lgkmcnt(0)
	v_mul_f32_e32 v15, v3, v7
	v_mul_f32_e32 v42, v3, v9
	v_fma_f32 v15, v2, v6, -v15
	v_mul_f32_e32 v35, v2, v7
	v_fma_f32 v42, v2, v8, -v42
	v_mul_f32_e32 v2, v2, v9
	v_fmac_f32_e32 v2, v3, v8
	v_add_f32_e32 v42, v1, v42
	v_add_f32_e32 v44, v0, v2
	v_mul_f32_e32 v0, v13, v7
	v_mul_f32_e32 v1, v12, v7
	v_fma_f32 v0, v12, v6, -v0
	v_fmac_f32_e32 v1, v13, v6
	v_add_f32_e32 v5, v5, v0
	v_add_f32_e32 v14, v14, v1
	v_mul_f32_e32 v0, v13, v9
	v_mul_f32_e32 v1, v12, v9
	v_fmac_f32_e32 v35, v3, v6
	v_fma_f32 v0, v12, v8, -v0
	v_fmac_f32_e32 v1, v13, v8
	v_add_f32_e32 v15, v46, v15
	v_add_f32_e32 v35, v48, v35
	;; [unrolled: 1-line block ×4, first 2 shown]
	ds_read_b128 v[0:3], v53 offset:80
	ds_read2_b64 v[6:9], v4 offset0:64 offset1:80
	s_waitcnt lgkmcnt(0)
	v_mul_f32_e32 v10, v1, v7
	v_fma_f32 v10, v0, v6, -v10
	v_mul_f32_e32 v11, v0, v7
	v_add_f32_e32 v15, v15, v10
	v_mul_f32_e32 v10, v1, v9
	v_fmac_f32_e32 v11, v1, v6
	v_fma_f32 v10, v0, v8, -v10
	v_mul_f32_e32 v0, v0, v9
	v_add_f32_e32 v35, v35, v11
	v_fmac_f32_e32 v0, v1, v8
	v_add_f32_e32 v1, v42, v10
	ds_read_b128 v[10:13], v53 offset:4176
	v_add_f32_e32 v0, v44, v0
	s_waitcnt lgkmcnt(0)
	v_mul_f32_e32 v42, v11, v7
	v_mul_f32_e32 v7, v10, v7
	v_fmac_f32_e32 v7, v11, v6
	v_fma_f32 v42, v10, v6, -v42
	v_add_f32_e32 v14, v14, v7
	v_mul_f32_e32 v6, v11, v9
	v_mul_f32_e32 v7, v10, v9
	v_fma_f32 v6, v10, v8, -v6
	v_fmac_f32_e32 v7, v11, v8
	v_add_f32_e32 v10, v46, v6
	v_add_f32_e32 v11, v48, v7
	ds_read2_b64 v[6:9], v4 offset0:96 offset1:112
	v_add_f32_e32 v5, v5, v42
	s_waitcnt lgkmcnt(0)
	v_mul_f32_e32 v42, v3, v7
	v_fma_f32 v42, v2, v6, -v42
	v_add_f32_e32 v15, v15, v42
	v_mul_f32_e32 v42, v3, v9
	v_mul_f32_e32 v44, v2, v7
	v_fma_f32 v42, v2, v8, -v42
	v_mul_f32_e32 v2, v2, v9
	v_fmac_f32_e32 v44, v3, v6
	v_fmac_f32_e32 v2, v3, v8
	v_add_f32_e32 v35, v35, v44
	v_add_f32_e32 v42, v1, v42
	;; [unrolled: 1-line block ×3, first 2 shown]
	v_mul_f32_e32 v0, v13, v7
	v_mul_f32_e32 v1, v12, v7
	v_fma_f32 v0, v12, v6, -v0
	v_fmac_f32_e32 v1, v13, v6
	v_add_f32_e32 v5, v5, v0
	v_add_f32_e32 v14, v14, v1
	v_mul_f32_e32 v0, v13, v9
	v_mul_f32_e32 v1, v12, v9
	v_fma_f32 v0, v12, v8, -v0
	v_fmac_f32_e32 v1, v13, v8
	v_add_f32_e32 v46, v10, v0
	v_add_f32_e32 v48, v11, v1
	ds_read_b128 v[0:3], v53 offset:96
	ds_read2_b64 v[6:9], v4 offset0:128 offset1:144
	s_waitcnt lgkmcnt(0)
	v_mul_f32_e32 v10, v1, v7
	v_fma_f32 v10, v0, v6, -v10
	v_mul_f32_e32 v11, v0, v7
	v_add_f32_e32 v15, v15, v10
	v_mul_f32_e32 v10, v1, v9
	v_fmac_f32_e32 v11, v1, v6
	v_fma_f32 v10, v0, v8, -v10
	v_mul_f32_e32 v0, v0, v9
	v_add_f32_e32 v35, v35, v11
	v_fmac_f32_e32 v0, v1, v8
	v_add_f32_e32 v1, v42, v10
	ds_read_b128 v[10:13], v53 offset:4192
	v_add_f32_e32 v0, v44, v0
	s_waitcnt lgkmcnt(0)
	v_mul_f32_e32 v42, v11, v7
	v_mul_f32_e32 v7, v10, v7
	v_fmac_f32_e32 v7, v11, v6
	v_fma_f32 v42, v10, v6, -v42
	v_add_f32_e32 v14, v14, v7
	v_mul_f32_e32 v6, v11, v9
	v_mul_f32_e32 v7, v10, v9
	v_fma_f32 v6, v10, v8, -v6
	v_fmac_f32_e32 v7, v11, v8
	v_add_f32_e32 v10, v46, v6
	v_add_f32_e32 v11, v48, v7
	ds_read2_b64 v[6:9], v4 offset0:160 offset1:176
	v_add_f32_e32 v5, v5, v42
	s_waitcnt lgkmcnt(0)
	v_mul_f32_e32 v42, v3, v7
	v_fma_f32 v42, v2, v6, -v42
	v_add_f32_e32 v15, v15, v42
	v_mul_f32_e32 v42, v3, v9
	v_mul_f32_e32 v44, v2, v7
	v_fma_f32 v42, v2, v8, -v42
	v_mul_f32_e32 v2, v2, v9
	v_fmac_f32_e32 v44, v3, v6
	v_fmac_f32_e32 v2, v3, v8
	v_add_f32_e32 v35, v35, v44
	v_add_f32_e32 v42, v1, v42
	;; [unrolled: 1-line block ×3, first 2 shown]
	v_mul_f32_e32 v0, v13, v7
	v_mul_f32_e32 v1, v12, v7
	v_fma_f32 v0, v12, v6, -v0
	v_fmac_f32_e32 v1, v13, v6
	v_add_f32_e32 v5, v5, v0
	v_add_f32_e32 v14, v14, v1
	v_mul_f32_e32 v0, v13, v9
	v_mul_f32_e32 v1, v12, v9
	v_fma_f32 v0, v12, v8, -v0
	v_fmac_f32_e32 v1, v13, v8
	v_add_f32_e32 v46, v10, v0
	v_add_f32_e32 v48, v11, v1
	ds_read_b128 v[0:3], v53 offset:112
	ds_read2_b64 v[6:9], v4 offset0:192 offset1:208
	s_waitcnt lgkmcnt(0)
	v_mul_f32_e32 v10, v1, v7
	v_fma_f32 v10, v0, v6, -v10
	v_mul_f32_e32 v11, v0, v7
	v_add_f32_e32 v15, v15, v10
	v_mul_f32_e32 v10, v1, v9
	v_fmac_f32_e32 v11, v1, v6
	v_fma_f32 v10, v0, v8, -v10
	v_mul_f32_e32 v0, v0, v9
	v_add_f32_e32 v35, v35, v11
	v_fmac_f32_e32 v0, v1, v8
	v_add_f32_e32 v1, v42, v10
	ds_read_b128 v[10:13], v53 offset:4208
	v_add_f32_e32 v0, v44, v0
	s_waitcnt lgkmcnt(0)
	v_mul_f32_e32 v42, v11, v7
	v_fma_f32 v42, v10, v6, -v42
	v_mul_f32_e32 v7, v10, v7
	v_fmac_f32_e32 v7, v11, v6
	v_add_f32_e32 v42, v5, v42
	v_mul_f32_e32 v5, v11, v9
	v_mul_f32_e32 v6, v10, v9
	v_fma_f32 v5, v10, v8, -v5
	v_fmac_f32_e32 v6, v11, v8
	v_add_f32_e32 v14, v14, v7
	v_add_f32_e32 v8, v46, v5
	;; [unrolled: 1-line block ×3, first 2 shown]
	ds_read2_b64 v[4:7], v4 offset0:224 offset1:240
	s_waitcnt lgkmcnt(0)
	v_mul_f32_e32 v10, v3, v5
	v_fma_f32 v10, v2, v4, -v10
	v_add_f32_e32 v10, v15, v10
	v_mul_f32_e32 v15, v3, v7
	v_mul_f32_e32 v11, v2, v5
	v_fma_f32 v15, v2, v6, -v15
	v_mul_f32_e32 v2, v2, v7
	v_fmac_f32_e32 v11, v3, v4
	v_fmac_f32_e32 v2, v3, v6
	v_add_f32_e32 v11, v35, v11
	v_add_f32_e32 v15, v1, v15
	;; [unrolled: 1-line block ×3, first 2 shown]
	v_mul_f32_e32 v0, v13, v5
	v_mul_f32_e32 v1, v12, v5
	v_fma_f32 v0, v12, v4, -v0
	v_fmac_f32_e32 v1, v13, v4
	v_add_f32_e32 v5, v42, v0
	v_add_f32_e32 v14, v14, v1
	v_mul_f32_e32 v0, v13, v7
	v_mul_f32_e32 v1, v12, v7
	v_fma_f32 v0, v12, v6, -v0
	v_fmac_f32_e32 v1, v13, v6
	v_add_u32_e32 v4, 0x1000, v49
	v_add_f32_e32 v42, v8, v0
	v_add_f32_e32 v44, v9, v1
	ds_read_b128 v[0:3], v53 offset:128
	ds_read2_b64 v[6:9], v4 offset1:16
	s_waitcnt lgkmcnt(0)
	v_mul_f32_e32 v12, v1, v7
	v_fma_f32 v12, v0, v6, -v12
	v_mul_f32_e32 v13, v0, v7
	v_add_f32_e32 v46, v10, v12
	v_mul_f32_e32 v10, v1, v9
	v_fmac_f32_e32 v13, v1, v6
	v_fma_f32 v10, v0, v8, -v10
	v_mul_f32_e32 v0, v0, v9
	v_add_f32_e32 v48, v11, v13
	v_fmac_f32_e32 v0, v1, v8
	v_add_f32_e32 v1, v15, v10
	ds_read_b128 v[10:13], v53 offset:4224
	v_add_f32_e32 v0, v35, v0
	s_waitcnt lgkmcnt(0)
	v_mul_f32_e32 v15, v11, v7
	v_mul_f32_e32 v7, v10, v7
	v_fmac_f32_e32 v7, v11, v6
	v_fma_f32 v15, v10, v6, -v15
	v_add_f32_e32 v14, v14, v7
	v_mul_f32_e32 v6, v11, v9
	v_mul_f32_e32 v7, v10, v9
	v_fma_f32 v6, v10, v8, -v6
	v_fmac_f32_e32 v7, v11, v8
	v_add_f32_e32 v10, v42, v6
	v_add_f32_e32 v11, v44, v7
	ds_read2_b64 v[6:9], v4 offset0:32 offset1:48
	v_add_f32_e32 v5, v5, v15
	s_waitcnt lgkmcnt(0)
	v_mul_f32_e32 v15, v3, v7
	v_mul_f32_e32 v42, v3, v9
	v_fma_f32 v15, v2, v6, -v15
	v_mul_f32_e32 v35, v2, v7
	v_fma_f32 v42, v2, v8, -v42
	v_mul_f32_e32 v2, v2, v9
	v_fmac_f32_e32 v2, v3, v8
	v_add_f32_e32 v42, v1, v42
	v_add_f32_e32 v44, v0, v2
	v_mul_f32_e32 v0, v13, v7
	v_mul_f32_e32 v1, v12, v7
	v_fma_f32 v0, v12, v6, -v0
	v_fmac_f32_e32 v1, v13, v6
	v_add_f32_e32 v5, v5, v0
	v_add_f32_e32 v14, v14, v1
	v_mul_f32_e32 v0, v13, v9
	v_mul_f32_e32 v1, v12, v9
	v_fmac_f32_e32 v35, v3, v6
	v_fma_f32 v0, v12, v8, -v0
	v_fmac_f32_e32 v1, v13, v8
	v_add_f32_e32 v15, v46, v15
	v_add_f32_e32 v35, v48, v35
	;; [unrolled: 1-line block ×4, first 2 shown]
	ds_read_b128 v[0:3], v53 offset:144
	ds_read2_b64 v[6:9], v4 offset0:64 offset1:80
	s_waitcnt lgkmcnt(0)
	v_mul_f32_e32 v10, v1, v7
	v_fma_f32 v10, v0, v6, -v10
	v_mul_f32_e32 v11, v0, v7
	v_add_f32_e32 v15, v15, v10
	v_mul_f32_e32 v10, v1, v9
	v_fmac_f32_e32 v11, v1, v6
	v_fma_f32 v10, v0, v8, -v10
	v_mul_f32_e32 v0, v0, v9
	v_add_f32_e32 v35, v35, v11
	v_fmac_f32_e32 v0, v1, v8
	v_add_f32_e32 v1, v42, v10
	ds_read_b128 v[10:13], v53 offset:4240
	v_add_f32_e32 v0, v44, v0
	s_waitcnt lgkmcnt(0)
	v_mul_f32_e32 v42, v11, v7
	v_mul_f32_e32 v7, v10, v7
	v_fmac_f32_e32 v7, v11, v6
	v_fma_f32 v42, v10, v6, -v42
	v_add_f32_e32 v14, v14, v7
	v_mul_f32_e32 v6, v11, v9
	v_mul_f32_e32 v7, v10, v9
	v_fma_f32 v6, v10, v8, -v6
	v_fmac_f32_e32 v7, v11, v8
	v_add_f32_e32 v10, v46, v6
	v_add_f32_e32 v11, v48, v7
	ds_read2_b64 v[6:9], v4 offset0:96 offset1:112
	v_add_f32_e32 v5, v5, v42
	s_waitcnt lgkmcnt(0)
	v_mul_f32_e32 v42, v3, v7
	v_fma_f32 v42, v2, v6, -v42
	v_add_f32_e32 v15, v15, v42
	v_mul_f32_e32 v42, v3, v9
	v_mul_f32_e32 v44, v2, v7
	v_fma_f32 v42, v2, v8, -v42
	v_mul_f32_e32 v2, v2, v9
	v_fmac_f32_e32 v44, v3, v6
	v_fmac_f32_e32 v2, v3, v8
	v_add_f32_e32 v35, v35, v44
	v_add_f32_e32 v42, v1, v42
	;; [unrolled: 1-line block ×3, first 2 shown]
	v_mul_f32_e32 v0, v13, v7
	v_mul_f32_e32 v1, v12, v7
	v_fma_f32 v0, v12, v6, -v0
	v_fmac_f32_e32 v1, v13, v6
	v_add_f32_e32 v5, v5, v0
	v_add_f32_e32 v14, v14, v1
	v_mul_f32_e32 v0, v13, v9
	v_mul_f32_e32 v1, v12, v9
	v_fma_f32 v0, v12, v8, -v0
	v_fmac_f32_e32 v1, v13, v8
	v_add_f32_e32 v46, v10, v0
	v_add_f32_e32 v48, v11, v1
	ds_read_b128 v[0:3], v53 offset:160
	ds_read2_b64 v[6:9], v4 offset0:128 offset1:144
	s_waitcnt lgkmcnt(0)
	v_mul_f32_e32 v10, v1, v7
	v_fma_f32 v10, v0, v6, -v10
	v_mul_f32_e32 v11, v0, v7
	v_add_f32_e32 v15, v15, v10
	v_mul_f32_e32 v10, v1, v9
	v_fmac_f32_e32 v11, v1, v6
	v_fma_f32 v10, v0, v8, -v10
	v_mul_f32_e32 v0, v0, v9
	v_add_f32_e32 v35, v35, v11
	v_fmac_f32_e32 v0, v1, v8
	v_add_f32_e32 v1, v42, v10
	ds_read_b128 v[10:13], v53 offset:4256
	v_add_f32_e32 v0, v44, v0
	s_waitcnt lgkmcnt(0)
	v_mul_f32_e32 v42, v11, v7
	v_mul_f32_e32 v7, v10, v7
	v_fmac_f32_e32 v7, v11, v6
	v_fma_f32 v42, v10, v6, -v42
	v_add_f32_e32 v14, v14, v7
	v_mul_f32_e32 v6, v11, v9
	v_mul_f32_e32 v7, v10, v9
	v_fma_f32 v6, v10, v8, -v6
	v_fmac_f32_e32 v7, v11, v8
	v_add_f32_e32 v10, v46, v6
	v_add_f32_e32 v11, v48, v7
	ds_read2_b64 v[6:9], v4 offset0:160 offset1:176
	v_add_f32_e32 v5, v5, v42
	s_waitcnt lgkmcnt(0)
	v_mul_f32_e32 v42, v3, v7
	v_fma_f32 v42, v2, v6, -v42
	v_add_f32_e32 v15, v15, v42
	v_mul_f32_e32 v42, v3, v9
	v_mul_f32_e32 v44, v2, v7
	v_fma_f32 v42, v2, v8, -v42
	v_mul_f32_e32 v2, v2, v9
	v_fmac_f32_e32 v44, v3, v6
	v_fmac_f32_e32 v2, v3, v8
	v_add_f32_e32 v35, v35, v44
	v_add_f32_e32 v42, v1, v42
	;; [unrolled: 1-line block ×3, first 2 shown]
	v_mul_f32_e32 v0, v13, v7
	v_mul_f32_e32 v1, v12, v7
	v_fma_f32 v0, v12, v6, -v0
	v_fmac_f32_e32 v1, v13, v6
	v_add_f32_e32 v5, v5, v0
	v_add_f32_e32 v14, v14, v1
	v_mul_f32_e32 v0, v13, v9
	v_mul_f32_e32 v1, v12, v9
	v_fma_f32 v0, v12, v8, -v0
	v_fmac_f32_e32 v1, v13, v8
	v_add_f32_e32 v46, v10, v0
	v_add_f32_e32 v48, v11, v1
	ds_read_b128 v[0:3], v53 offset:176
	ds_read2_b64 v[6:9], v4 offset0:192 offset1:208
	s_waitcnt lgkmcnt(0)
	v_mul_f32_e32 v10, v1, v7
	v_fma_f32 v10, v0, v6, -v10
	v_mul_f32_e32 v11, v0, v7
	v_add_f32_e32 v15, v15, v10
	v_mul_f32_e32 v10, v1, v9
	v_fmac_f32_e32 v11, v1, v6
	v_fma_f32 v10, v0, v8, -v10
	v_mul_f32_e32 v0, v0, v9
	v_add_f32_e32 v35, v35, v11
	v_fmac_f32_e32 v0, v1, v8
	v_add_f32_e32 v1, v42, v10
	ds_read_b128 v[10:13], v53 offset:4272
	v_add_f32_e32 v0, v44, v0
	s_waitcnt lgkmcnt(0)
	v_mul_f32_e32 v42, v11, v7
	v_fma_f32 v42, v10, v6, -v42
	v_mul_f32_e32 v7, v10, v7
	v_fmac_f32_e32 v7, v11, v6
	v_add_f32_e32 v42, v5, v42
	v_mul_f32_e32 v5, v11, v9
	v_mul_f32_e32 v6, v10, v9
	v_fma_f32 v5, v10, v8, -v5
	v_fmac_f32_e32 v6, v11, v8
	v_add_f32_e32 v14, v14, v7
	v_add_f32_e32 v8, v46, v5
	;; [unrolled: 1-line block ×3, first 2 shown]
	ds_read2_b64 v[4:7], v4 offset0:224 offset1:240
	s_waitcnt lgkmcnt(0)
	v_mul_f32_e32 v10, v3, v5
	v_fma_f32 v10, v2, v4, -v10
	v_add_f32_e32 v10, v15, v10
	v_mul_f32_e32 v15, v3, v7
	v_mul_f32_e32 v11, v2, v5
	v_fma_f32 v15, v2, v6, -v15
	v_mul_f32_e32 v2, v2, v7
	v_fmac_f32_e32 v11, v3, v4
	v_fmac_f32_e32 v2, v3, v6
	v_add_f32_e32 v11, v35, v11
	v_add_f32_e32 v15, v1, v15
	;; [unrolled: 1-line block ×3, first 2 shown]
	v_mul_f32_e32 v0, v13, v5
	v_mul_f32_e32 v1, v12, v5
	v_fma_f32 v0, v12, v4, -v0
	v_fmac_f32_e32 v1, v13, v4
	v_add_f32_e32 v5, v42, v0
	v_add_f32_e32 v14, v14, v1
	v_mul_f32_e32 v0, v13, v7
	v_mul_f32_e32 v1, v12, v7
	v_fma_f32 v0, v12, v6, -v0
	v_fmac_f32_e32 v1, v13, v6
	v_add_u32_e32 v4, 0x1800, v49
	v_add_f32_e32 v42, v8, v0
	v_add_f32_e32 v44, v9, v1
	ds_read_b128 v[0:3], v53 offset:192
	ds_read2_b64 v[6:9], v4 offset1:16
	s_waitcnt lgkmcnt(0)
	v_mul_f32_e32 v12, v1, v7
	v_fma_f32 v12, v0, v6, -v12
	v_mul_f32_e32 v13, v0, v7
	v_add_f32_e32 v46, v10, v12
	v_mul_f32_e32 v10, v1, v9
	v_fmac_f32_e32 v13, v1, v6
	v_fma_f32 v10, v0, v8, -v10
	v_mul_f32_e32 v0, v0, v9
	v_add_f32_e32 v48, v11, v13
	v_fmac_f32_e32 v0, v1, v8
	v_add_f32_e32 v1, v15, v10
	ds_read_b128 v[10:13], v53 offset:4288
	v_add_f32_e32 v0, v35, v0
	s_waitcnt lgkmcnt(0)
	v_mul_f32_e32 v15, v11, v7
	v_mul_f32_e32 v7, v10, v7
	v_fmac_f32_e32 v7, v11, v6
	v_fma_f32 v15, v10, v6, -v15
	v_add_f32_e32 v14, v14, v7
	v_mul_f32_e32 v6, v11, v9
	v_mul_f32_e32 v7, v10, v9
	v_fma_f32 v6, v10, v8, -v6
	v_fmac_f32_e32 v7, v11, v8
	v_add_f32_e32 v10, v42, v6
	v_add_f32_e32 v11, v44, v7
	ds_read2_b64 v[6:9], v4 offset0:32 offset1:48
	v_add_f32_e32 v5, v5, v15
	s_waitcnt lgkmcnt(0)
	v_mul_f32_e32 v15, v3, v7
	v_mul_f32_e32 v42, v3, v9
	v_fma_f32 v15, v2, v6, -v15
	v_mul_f32_e32 v35, v2, v7
	v_fma_f32 v42, v2, v8, -v42
	v_mul_f32_e32 v2, v2, v9
	v_fmac_f32_e32 v2, v3, v8
	v_add_f32_e32 v42, v1, v42
	v_add_f32_e32 v44, v0, v2
	v_mul_f32_e32 v0, v13, v7
	v_mul_f32_e32 v1, v12, v7
	v_fma_f32 v0, v12, v6, -v0
	v_fmac_f32_e32 v1, v13, v6
	v_add_f32_e32 v5, v5, v0
	v_add_f32_e32 v14, v14, v1
	v_mul_f32_e32 v0, v13, v9
	v_mul_f32_e32 v1, v12, v9
	v_fmac_f32_e32 v35, v3, v6
	v_fma_f32 v0, v12, v8, -v0
	v_fmac_f32_e32 v1, v13, v8
	v_add_f32_e32 v15, v46, v15
	v_add_f32_e32 v35, v48, v35
	;; [unrolled: 1-line block ×4, first 2 shown]
	ds_read_b128 v[0:3], v53 offset:208
	ds_read2_b64 v[6:9], v4 offset0:64 offset1:80
	s_waitcnt lgkmcnt(0)
	v_mul_f32_e32 v10, v1, v7
	v_fma_f32 v10, v0, v6, -v10
	v_mul_f32_e32 v11, v0, v7
	v_add_f32_e32 v15, v15, v10
	v_mul_f32_e32 v10, v1, v9
	v_fmac_f32_e32 v11, v1, v6
	v_fma_f32 v10, v0, v8, -v10
	v_mul_f32_e32 v0, v0, v9
	v_add_f32_e32 v35, v35, v11
	v_fmac_f32_e32 v0, v1, v8
	v_add_f32_e32 v1, v42, v10
	ds_read_b128 v[10:13], v53 offset:4304
	v_add_f32_e32 v0, v44, v0
	s_waitcnt lgkmcnt(0)
	v_mul_f32_e32 v42, v11, v7
	v_mul_f32_e32 v7, v10, v7
	v_fmac_f32_e32 v7, v11, v6
	v_fma_f32 v42, v10, v6, -v42
	v_add_f32_e32 v14, v14, v7
	v_mul_f32_e32 v6, v11, v9
	v_mul_f32_e32 v7, v10, v9
	v_fma_f32 v6, v10, v8, -v6
	v_fmac_f32_e32 v7, v11, v8
	v_add_f32_e32 v10, v46, v6
	v_add_f32_e32 v11, v48, v7
	ds_read2_b64 v[6:9], v4 offset0:96 offset1:112
	v_add_f32_e32 v5, v5, v42
	s_waitcnt lgkmcnt(0)
	v_mul_f32_e32 v42, v3, v7
	v_fma_f32 v42, v2, v6, -v42
	v_add_f32_e32 v15, v15, v42
	v_mul_f32_e32 v42, v3, v9
	v_mul_f32_e32 v44, v2, v7
	v_fma_f32 v42, v2, v8, -v42
	v_mul_f32_e32 v2, v2, v9
	v_fmac_f32_e32 v44, v3, v6
	v_fmac_f32_e32 v2, v3, v8
	v_add_f32_e32 v35, v35, v44
	v_add_f32_e32 v42, v1, v42
	;; [unrolled: 1-line block ×3, first 2 shown]
	v_mul_f32_e32 v0, v13, v7
	v_mul_f32_e32 v1, v12, v7
	v_fma_f32 v0, v12, v6, -v0
	v_fmac_f32_e32 v1, v13, v6
	v_add_f32_e32 v5, v5, v0
	v_add_f32_e32 v14, v14, v1
	v_mul_f32_e32 v0, v13, v9
	v_mul_f32_e32 v1, v12, v9
	v_fma_f32 v0, v12, v8, -v0
	v_fmac_f32_e32 v1, v13, v8
	v_add_f32_e32 v46, v10, v0
	v_add_f32_e32 v48, v11, v1
	ds_read_b128 v[0:3], v53 offset:224
	ds_read2_b64 v[6:9], v4 offset0:128 offset1:144
	s_waitcnt lgkmcnt(0)
	v_mul_f32_e32 v10, v1, v7
	v_fma_f32 v10, v0, v6, -v10
	v_mul_f32_e32 v11, v0, v7
	v_add_f32_e32 v15, v15, v10
	v_mul_f32_e32 v10, v1, v9
	v_fmac_f32_e32 v11, v1, v6
	v_fma_f32 v10, v0, v8, -v10
	v_mul_f32_e32 v0, v0, v9
	v_add_f32_e32 v35, v35, v11
	v_fmac_f32_e32 v0, v1, v8
	v_add_f32_e32 v1, v42, v10
	ds_read_b128 v[10:13], v53 offset:4320
	v_add_f32_e32 v0, v44, v0
	s_waitcnt lgkmcnt(0)
	v_mul_f32_e32 v42, v11, v7
	v_mul_f32_e32 v7, v10, v7
	v_fmac_f32_e32 v7, v11, v6
	v_fma_f32 v42, v10, v6, -v42
	v_add_f32_e32 v14, v14, v7
	v_mul_f32_e32 v6, v11, v9
	v_mul_f32_e32 v7, v10, v9
	v_fma_f32 v6, v10, v8, -v6
	v_fmac_f32_e32 v7, v11, v8
	v_add_f32_e32 v10, v46, v6
	v_add_f32_e32 v11, v48, v7
	ds_read2_b64 v[6:9], v4 offset0:160 offset1:176
	v_add_f32_e32 v5, v5, v42
	s_waitcnt lgkmcnt(0)
	v_mul_f32_e32 v42, v3, v7
	v_fma_f32 v42, v2, v6, -v42
	v_add_f32_e32 v15, v15, v42
	v_mul_f32_e32 v42, v3, v9
	v_mul_f32_e32 v44, v2, v7
	v_fma_f32 v42, v2, v8, -v42
	v_mul_f32_e32 v2, v2, v9
	v_fmac_f32_e32 v44, v3, v6
	v_fmac_f32_e32 v2, v3, v8
	v_add_f32_e32 v35, v35, v44
	v_add_f32_e32 v42, v1, v42
	;; [unrolled: 1-line block ×3, first 2 shown]
	v_mul_f32_e32 v0, v13, v7
	v_mul_f32_e32 v1, v12, v7
	v_fma_f32 v0, v12, v6, -v0
	v_fmac_f32_e32 v1, v13, v6
	v_add_f32_e32 v5, v5, v0
	v_add_f32_e32 v14, v14, v1
	v_mul_f32_e32 v0, v13, v9
	v_mul_f32_e32 v1, v12, v9
	v_fma_f32 v0, v12, v8, -v0
	v_fmac_f32_e32 v1, v13, v8
	v_add_f32_e32 v46, v10, v0
	v_add_f32_e32 v48, v11, v1
	ds_read_b128 v[0:3], v53 offset:240
	ds_read2_b64 v[6:9], v4 offset0:192 offset1:208
	s_waitcnt lgkmcnt(0)
	v_mul_f32_e32 v10, v1, v7
	v_fma_f32 v10, v0, v6, -v10
	v_mul_f32_e32 v11, v0, v7
	v_add_f32_e32 v15, v15, v10
	v_mul_f32_e32 v10, v1, v9
	v_fmac_f32_e32 v11, v1, v6
	v_fma_f32 v10, v0, v8, -v10
	v_mul_f32_e32 v0, v0, v9
	v_add_f32_e32 v35, v35, v11
	v_fmac_f32_e32 v0, v1, v8
	v_add_f32_e32 v1, v42, v10
	ds_read_b128 v[10:13], v53 offset:4336
	v_add_f32_e32 v0, v44, v0
	s_waitcnt lgkmcnt(0)
	v_mul_f32_e32 v42, v11, v7
	v_fma_f32 v42, v10, v6, -v42
	v_mul_f32_e32 v7, v10, v7
	v_fmac_f32_e32 v7, v11, v6
	v_add_f32_e32 v42, v5, v42
	v_mul_f32_e32 v5, v11, v9
	v_mul_f32_e32 v6, v10, v9
	v_fma_f32 v5, v10, v8, -v5
	v_fmac_f32_e32 v6, v11, v8
	v_add_f32_e32 v14, v14, v7
	v_add_f32_e32 v8, v46, v5
	;; [unrolled: 1-line block ×3, first 2 shown]
	ds_read2_b64 v[4:7], v4 offset0:224 offset1:240
	s_waitcnt lgkmcnt(0)
	s_barrier
	v_mul_f32_e32 v10, v3, v5
	v_fma_f32 v10, v2, v4, -v10
	v_add_f32_e32 v50, v15, v10
	v_mul_f32_e32 v10, v3, v7
	v_mul_f32_e32 v11, v2, v5
	v_fma_f32 v10, v2, v6, -v10
	v_mul_f32_e32 v2, v2, v7
	v_fmac_f32_e32 v2, v3, v6
	v_add_f32_e32 v46, v1, v10
	v_add_f32_e32 v48, v0, v2
	v_mul_f32_e32 v0, v13, v5
	v_mul_f32_e32 v1, v12, v5
	v_fma_f32 v0, v12, v4, -v0
	v_fmac_f32_e32 v1, v13, v4
	v_add_f32_e32 v42, v42, v0
	v_add_f32_e32 v44, v14, v1
	v_mul_f32_e32 v0, v13, v7
	v_mul_f32_e32 v1, v12, v7
	v_fmac_f32_e32 v11, v3, v4
	v_fma_f32 v0, v12, v6, -v0
	v_fmac_f32_e32 v1, v13, v6
	v_add_f32_e32 v52, v35, v11
	v_add_f32_e32 v14, v8, v0
	;; [unrolled: 1-line block ×3, first 2 shown]
	s_cbranch_scc1 .LBB81_55
.LBB81_7:                               ;   Parent Loop BB81_4 Depth=1
                                        ; =>  This Inner Loop Header: Depth=2
	v_mov_b32_e32 v0, s27
	v_add_co_u32_e64 v2, s[10:11], s26, v16
	v_addc_co_u32_e64 v3, s[10:11], v17, v0, s[10:11]
	v_mov_b32_e32 v1, s23
	v_add_co_u32_e64 v0, s[10:11], s22, v45
	v_addc_co_u32_e64 v1, s[10:11], v47, v1, s[10:11]
	v_cmp_eq_u64_e64 s[10:11], s[26:27], v[24:25]
	v_cmp_le_i64_e64 s[12:13], s[38:39], v[2:3]
	s_and_b64 s[44:45], s[36:37], s[10:11]
	v_cmp_lt_i64_e64 s[10:11], v[2:3], v[18:19]
	s_or_b64 s[16:17], s[12:13], s[10:11]
	s_or_b64 s[16:17], s[16:17], s[44:45]
	;; [unrolled: 1-line block ×3, first 2 shown]
	s_xor_b64 s[16:17], s[16:17], -1
	s_and_saveexec_b64 s[28:29], s[16:17]
	s_xor_b64 s[16:17], exec, s[28:29]
	s_cbranch_execz .LBB81_9
; %bb.8:                                ;   in Loop: Header=BB81_7 Depth=2
	global_load_dwordx2 v[4:5], v[0:1], off
	s_waitcnt vmcnt(0)
	v_xor_b32_e32 v5, 0x80000000, v5
	ds_write_b64 v51, v[4:5]
.LBB81_9:                               ;   in Loop: Header=BB81_7 Depth=2
	s_or_saveexec_b64 s[16:17], s[16:17]
	s_xor_b64 s[28:29], s[44:45], -1
	s_xor_b64 exec, exec, s[16:17]
	s_cbranch_execz .LBB81_15
; %bb.10:                               ;   in Loop: Header=BB81_7 Depth=2
	s_and_saveexec_b64 s[46:47], s[28:29]
	s_xor_b64 s[46:47], exec, s[46:47]
	s_cbranch_execz .LBB81_12
; %bb.11:                               ;   in Loop: Header=BB81_7 Depth=2
	v_mov_b32_e32 v4, v37
	v_mov_b32_e32 v5, v37
	ds_write_b64 v51, v[4:5]
.LBB81_12:                              ;   in Loop: Header=BB81_7 Depth=2
	s_andn2_saveexec_b64 s[46:47], s[46:47]
	s_cbranch_execz .LBB81_14
; %bb.13:                               ;   in Loop: Header=BB81_7 Depth=2
	ds_write_b64 v51, v[36:37]
.LBB81_14:                              ;   in Loop: Header=BB81_7 Depth=2
	s_or_b64 exec, exec, s[46:47]
.LBB81_15:                              ;   in Loop: Header=BB81_7 Depth=2
	s_or_b64 exec, exec, s[16:17]
	v_cmp_eq_u64_e64 s[16:17], s[26:27], v[26:27]
	s_and_b64 s[46:47], s[36:37], s[16:17]
	v_cmp_gt_i64_e64 s[16:17], v[20:21], v[2:3]
	s_or_b64 s[12:13], s[12:13], s[16:17]
	s_or_b64 s[12:13], s[12:13], s[46:47]
	;; [unrolled: 1-line block ×3, first 2 shown]
	s_xor_b64 s[12:13], s[12:13], -1
	s_and_saveexec_b64 s[16:17], s[12:13]
	s_xor_b64 s[16:17], exec, s[16:17]
	s_cbranch_execz .LBB81_17
; %bb.16:                               ;   in Loop: Header=BB81_7 Depth=2
	v_mov_b32_e32 v5, s23
	v_add_co_u32_e64 v4, s[12:13], s22, v55
	v_addc_co_u32_e64 v5, s[12:13], v56, v5, s[12:13]
	global_load_dwordx2 v[4:5], v[4:5], off
	s_waitcnt vmcnt(0)
	v_xor_b32_e32 v5, 0x80000000, v5
	ds_write_b64 v51, v[4:5] offset:128
.LBB81_17:                              ;   in Loop: Header=BB81_7 Depth=2
	s_andn2_saveexec_b64 s[12:13], s[16:17]
	s_cbranch_execz .LBB81_23
; %bb.18:                               ;   in Loop: Header=BB81_7 Depth=2
	s_xor_b64 s[16:17], s[46:47], -1
	s_and_saveexec_b64 s[46:47], s[16:17]
	s_xor_b64 s[16:17], exec, s[46:47]
	s_cbranch_execz .LBB81_20
; %bb.19:                               ;   in Loop: Header=BB81_7 Depth=2
	v_mov_b32_e32 v4, v37
	v_mov_b32_e32 v5, v37
	ds_write_b64 v51, v[4:5] offset:128
.LBB81_20:                              ;   in Loop: Header=BB81_7 Depth=2
	s_andn2_saveexec_b64 s[16:17], s[16:17]
	s_cbranch_execz .LBB81_22
; %bb.21:                               ;   in Loop: Header=BB81_7 Depth=2
	ds_write_b64 v51, v[36:37] offset:128
.LBB81_22:                              ;   in Loop: Header=BB81_7 Depth=2
	s_or_b64 exec, exec, s[16:17]
.LBB81_23:                              ;   in Loop: Header=BB81_7 Depth=2
	s_or_b64 exec, exec, s[12:13]
	v_add_co_u32_e64 v2, s[12:13], 16, v2
	v_addc_co_u32_e64 v3, s[12:13], 0, v3, s[12:13]
	v_cmp_eq_u64_e64 s[16:17], s[26:27], v[28:29]
	v_cmp_le_i64_e64 s[12:13], s[38:39], v[2:3]
	s_and_b64 s[46:47], s[36:37], s[16:17]
	v_cmp_lt_i64_e64 s[16:17], v[2:3], v[18:19]
	s_or_b64 s[16:17], s[12:13], s[16:17]
	s_or_b64 s[16:17], s[16:17], s[46:47]
	;; [unrolled: 1-line block ×3, first 2 shown]
	s_xor_b64 s[16:17], s[16:17], -1
	s_and_saveexec_b64 s[52:53], s[16:17]
	s_xor_b64 s[16:17], exec, s[52:53]
	s_cbranch_execz .LBB81_25
; %bb.24:                               ;   in Loop: Header=BB81_7 Depth=2
	global_load_dwordx2 v[0:1], v[0:1], off offset:128
	s_waitcnt vmcnt(0)
	v_xor_b32_e32 v1, 0x80000000, v1
	ds_write_b64 v51, v[0:1] offset:4096
.LBB81_25:                              ;   in Loop: Header=BB81_7 Depth=2
	s_andn2_saveexec_b64 s[16:17], s[16:17]
	s_cbranch_execz .LBB81_31
; %bb.26:                               ;   in Loop: Header=BB81_7 Depth=2
	s_xor_b64 s[46:47], s[46:47], -1
	s_and_saveexec_b64 s[52:53], s[46:47]
	s_xor_b64 s[46:47], exec, s[52:53]
	s_cbranch_execz .LBB81_28
; %bb.27:                               ;   in Loop: Header=BB81_7 Depth=2
	v_mov_b32_e32 v0, v37
	v_mov_b32_e32 v1, v37
	ds_write_b64 v51, v[0:1] offset:4096
.LBB81_28:                              ;   in Loop: Header=BB81_7 Depth=2
	s_andn2_saveexec_b64 s[46:47], s[46:47]
	s_cbranch_execz .LBB81_30
; %bb.29:                               ;   in Loop: Header=BB81_7 Depth=2
	ds_write_b64 v51, v[36:37] offset:4096
.LBB81_30:                              ;   in Loop: Header=BB81_7 Depth=2
	s_or_b64 exec, exec, s[46:47]
.LBB81_31:                              ;   in Loop: Header=BB81_7 Depth=2
	s_or_b64 exec, exec, s[16:17]
	s_or_b64 s[10:11], s[12:13], s[10:11]
	s_or_b64 s[10:11], s[10:11], s[44:45]
	;; [unrolled: 1-line block ×3, first 2 shown]
	s_xor_b64 s[10:11], s[10:11], -1
	s_and_saveexec_b64 s[12:13], s[10:11]
	s_xor_b64 s[12:13], exec, s[12:13]
	s_cbranch_execz .LBB81_33
; %bb.32:                               ;   in Loop: Header=BB81_7 Depth=2
	v_mov_b32_e32 v1, s23
	v_add_co_u32_e64 v0, s[10:11], s22, v55
	v_addc_co_u32_e64 v1, s[10:11], v56, v1, s[10:11]
	global_load_dwordx2 v[0:1], v[0:1], off offset:128
	s_waitcnt vmcnt(0)
	v_xor_b32_e32 v1, 0x80000000, v1
	ds_write_b64 v51, v[0:1] offset:4224
.LBB81_33:                              ;   in Loop: Header=BB81_7 Depth=2
	s_andn2_saveexec_b64 s[10:11], s[12:13]
	s_cbranch_execz .LBB81_39
; %bb.34:                               ;   in Loop: Header=BB81_7 Depth=2
	s_and_saveexec_b64 s[12:13], s[28:29]
	s_xor_b64 s[12:13], exec, s[12:13]
	s_cbranch_execz .LBB81_36
; %bb.35:                               ;   in Loop: Header=BB81_7 Depth=2
	v_mov_b32_e32 v0, v37
	v_mov_b32_e32 v1, v37
	ds_write_b64 v51, v[0:1] offset:4224
.LBB81_36:                              ;   in Loop: Header=BB81_7 Depth=2
	s_andn2_saveexec_b64 s[12:13], s[12:13]
	s_cbranch_execz .LBB81_38
; %bb.37:                               ;   in Loop: Header=BB81_7 Depth=2
	ds_write_b64 v51, v[36:37] offset:4224
.LBB81_38:                              ;   in Loop: Header=BB81_7 Depth=2
	s_or_b64 exec, exec, s[12:13]
.LBB81_39:                              ;   in Loop: Header=BB81_7 Depth=2
	s_or_b64 exec, exec, s[10:11]
	v_mov_b32_e32 v1, s27
	v_add_co_u32_e64 v0, s[10:11], s26, v18
	v_addc_co_u32_e64 v1, s[10:11], v19, v1, s[10:11]
	v_cmp_gt_i64_e64 s[10:11], s[38:39], v[0:1]
	s_and_b64 s[12:13], vcc, s[10:11]
	s_xor_b64 s[12:13], s[12:13], -1
	s_and_saveexec_b64 s[16:17], s[12:13]
	s_xor_b64 s[12:13], exec, s[16:17]
	s_cbranch_execz .LBB81_41
; %bb.40:                               ;   in Loop: Header=BB81_7 Depth=2
	v_mov_b32_e32 v2, v37
	v_mov_b32_e32 v3, v37
	ds_write_b64 v54, v[2:3]
.LBB81_41:                              ;   in Loop: Header=BB81_7 Depth=2
	s_or_saveexec_b64 s[16:17], s[12:13]
	v_mov_b32_e32 v3, s23
	v_add_co_u32_e64 v2, s[12:13], s22, v38
	v_addc_co_u32_e64 v3, s[12:13], v39, v3, s[12:13]
	s_xor_b64 exec, exec, s[16:17]
	s_cbranch_execz .LBB81_43
; %bb.42:                               ;   in Loop: Header=BB81_7 Depth=2
	global_load_dwordx2 v[4:5], v[2:3], off offset:-128
	s_waitcnt vmcnt(0)
	ds_write_b64 v54, v[4:5]
.LBB81_43:                              ;   in Loop: Header=BB81_7 Depth=2
	s_or_b64 exec, exec, s[16:17]
	v_cmp_gt_i64_e64 s[12:13], s[42:43], v[0:1]
	s_and_b64 s[16:17], vcc, s[12:13]
	s_xor_b64 s[16:17], s[16:17], -1
	s_and_saveexec_b64 s[28:29], s[16:17]
	s_xor_b64 s[16:17], exec, s[28:29]
	s_cbranch_execz .LBB81_45
; %bb.44:                               ;   in Loop: Header=BB81_7 Depth=2
	v_mov_b32_e32 v0, v37
	v_mov_b32_e32 v1, v37
	ds_write_b64 v54, v[0:1] offset:128
                                        ; implicit-def: $vgpr2_vgpr3
.LBB81_45:                              ;   in Loop: Header=BB81_7 Depth=2
	s_andn2_saveexec_b64 s[16:17], s[16:17]
	s_cbranch_execz .LBB81_47
; %bb.46:                               ;   in Loop: Header=BB81_7 Depth=2
	global_load_dwordx2 v[0:1], v[2:3], off
	s_waitcnt vmcnt(0)
	ds_write_b64 v54, v[0:1] offset:128
.LBB81_47:                              ;   in Loop: Header=BB81_7 Depth=2
	s_or_b64 exec, exec, s[16:17]
	s_and_b64 s[10:11], s[8:9], s[10:11]
	s_xor_b64 s[10:11], s[10:11], -1
	s_and_saveexec_b64 s[16:17], s[10:11]
	s_xor_b64 s[10:11], exec, s[16:17]
	s_cbranch_execz .LBB81_49
; %bb.48:                               ;   in Loop: Header=BB81_7 Depth=2
	v_mov_b32_e32 v0, v37
	v_mov_b32_e32 v1, v37
	ds_write_b64 v54, v[0:1] offset:4096
.LBB81_49:                              ;   in Loop: Header=BB81_7 Depth=2
	s_andn2_saveexec_b64 s[16:17], s[10:11]
	s_cbranch_execz .LBB81_51
; %bb.50:                               ;   in Loop: Header=BB81_7 Depth=2
	v_mov_b32_e32 v1, s23
	v_add_co_u32_e64 v0, s[10:11], s22, v40
	v_addc_co_u32_e64 v1, s[10:11], v41, v1, s[10:11]
	global_load_dwordx2 v[0:1], v[0:1], off offset:-128
	s_waitcnt vmcnt(0)
	ds_write_b64 v54, v[0:1] offset:4096
.LBB81_51:                              ;   in Loop: Header=BB81_7 Depth=2
	s_or_b64 exec, exec, s[16:17]
	s_and_b64 s[10:11], s[8:9], s[12:13]
	s_xor_b64 s[10:11], s[10:11], -1
	s_and_saveexec_b64 s[12:13], s[10:11]
	s_xor_b64 s[10:11], exec, s[12:13]
	s_cbranch_execz .LBB81_53
; %bb.52:                               ;   in Loop: Header=BB81_7 Depth=2
	v_mov_b32_e32 v0, v37
	v_mov_b32_e32 v1, v37
	ds_write_b64 v54, v[0:1] offset:4224
.LBB81_53:                              ;   in Loop: Header=BB81_7 Depth=2
	s_andn2_saveexec_b64 s[12:13], s[10:11]
	s_cbranch_execz .LBB81_6
; %bb.54:                               ;   in Loop: Header=BB81_7 Depth=2
	v_mov_b32_e32 v1, s23
	v_add_co_u32_e64 v0, s[10:11], s22, v40
	v_addc_co_u32_e64 v1, s[10:11], v41, v1, s[10:11]
	global_load_dwordx2 v[0:1], v[0:1], off
	s_waitcnt vmcnt(0)
	ds_write_b64 v54, v[0:1] offset:4224
	s_branch .LBB81_6
.LBB81_55:                              ;   in Loop: Header=BB81_4 Depth=1
	v_mul_lo_u32 v2, v58, s40
	v_mul_lo_u32 v3, v57, s41
	v_mad_u64_u32 v[0:1], s[8:9], v57, s40, 0
	v_add3_u32 v1, v1, v3, v2
	v_lshlrev_b64 v[0:1], 3, v[0:1]
	v_mov_b32_e32 v2, s48
	v_add_co_u32_e64 v0, s[8:9], s31, v0
	v_cmp_gt_i32_e32 vcc, s30, v57
	v_addc_co_u32_e64 v1, s[8:9], v2, v1, s[8:9]
	s_and_b64 s[8:9], s[4:5], vcc
	s_and_saveexec_b64 s[10:11], s[8:9]
	s_cbranch_execz .LBB81_57
; %bb.56:                               ;   in Loop: Header=BB81_4 Depth=1
	v_add_co_u32_e64 v2, s[8:9], v0, v30
	v_addc_co_u32_e64 v3, s[8:9], v1, v31, s[8:9]
	global_load_dwordx2 v[4:5], v[2:3], off
	v_pk_mul_f32 v[6:7], v[52:53], s[34:35] op_sel_hi:[0,1]
	v_pk_fma_f32 v[8:9], v[50:51], s[34:35], v[6:7] op_sel:[0,0,1] op_sel_hi:[1,1,0] neg_lo:[0,0,1] neg_hi:[0,0,1]
	v_pk_fma_f32 v[6:7], v[50:51], s[34:35], v[6:7] op_sel:[0,0,1] op_sel_hi:[0,1,0]
	v_mov_b32_e32 v9, v7
	s_waitcnt vmcnt(0)
	v_pk_add_f32 v[4:5], v[4:5], v[8:9]
	global_store_dwordx2 v[2:3], v[4:5], off
.LBB81_57:                              ;   in Loop: Header=BB81_4 Depth=1
	s_or_b64 exec, exec, s[10:11]
	s_and_b64 s[10:11], s[14:15], vcc
	s_and_saveexec_b64 s[8:9], s[10:11]
	s_cbranch_execz .LBB81_59
; %bb.58:                               ;   in Loop: Header=BB81_4 Depth=1
	v_lshlrev_b64 v[2:3], 3, v[22:23]
	v_add_co_u32_e32 v0, vcc, v0, v2
	v_addc_co_u32_e32 v1, vcc, v1, v3, vcc
	global_load_dwordx2 v[2:3], v[0:1], off
	v_pk_mul_f32 v[4:5], v[48:49], s[34:35] op_sel_hi:[0,1]
	v_pk_fma_f32 v[6:7], v[46:47], s[34:35], v[4:5] op_sel:[0,0,1] op_sel_hi:[1,1,0] neg_lo:[0,0,1] neg_hi:[0,0,1]
	v_pk_fma_f32 v[4:5], v[46:47], s[34:35], v[4:5] op_sel:[0,0,1] op_sel_hi:[0,1,0]
	v_mov_b32_e32 v7, v5
	s_waitcnt vmcnt(0)
	v_pk_add_f32 v[2:3], v[2:3], v[6:7]
	global_store_dwordx2 v[0:1], v[2:3], off
.LBB81_59:                              ;   in Loop: Header=BB81_4 Depth=1
	s_or_b64 exec, exec, s[8:9]
	v_add_u32_e32 v0, 16, v57
	v_ashrrev_i32_e32 v1, 31, v0
	v_cmp_gt_i32_e32 vcc, s30, v0
	v_mul_lo_u32 v2, v1, s40
	v_mul_lo_u32 v3, v0, s41
	v_mad_u64_u32 v[0:1], s[8:9], v0, s40, 0
	v_add3_u32 v1, v1, v3, v2
	v_lshlrev_b64 v[0:1], 3, v[0:1]
	v_mov_b32_e32 v2, s48
	v_add_co_u32_e64 v0, s[8:9], s31, v0
	v_addc_co_u32_e64 v1, s[8:9], v2, v1, s[8:9]
	s_and_b64 s[8:9], s[4:5], vcc
	s_and_saveexec_b64 s[10:11], s[8:9]
	s_cbranch_execz .LBB81_61
; %bb.60:                               ;   in Loop: Header=BB81_4 Depth=1
	v_add_co_u32_e64 v2, s[8:9], v0, v30
	v_addc_co_u32_e64 v3, s[8:9], v1, v31, s[8:9]
	global_load_dwordx2 v[4:5], v[2:3], off
	v_pk_mul_f32 v[6:7], v[44:45], s[34:35] op_sel_hi:[0,1]
	v_pk_fma_f32 v[8:9], v[42:43], s[34:35], v[6:7] op_sel:[0,0,1] op_sel_hi:[1,1,0] neg_lo:[0,0,1] neg_hi:[0,0,1]
	v_pk_fma_f32 v[6:7], v[42:43], s[34:35], v[6:7] op_sel:[0,0,1] op_sel_hi:[0,1,0]
	v_mov_b32_e32 v9, v7
	s_waitcnt vmcnt(0)
	v_pk_add_f32 v[4:5], v[4:5], v[8:9]
	global_store_dwordx2 v[2:3], v[4:5], off
.LBB81_61:                              ;   in Loop: Header=BB81_4 Depth=1
	s_or_b64 exec, exec, s[10:11]
	s_and_b64 s[10:11], s[14:15], vcc
	s_and_saveexec_b64 s[8:9], s[10:11]
	s_cbranch_execz .LBB81_3
; %bb.62:                               ;   in Loop: Header=BB81_4 Depth=1
	v_lshlrev_b64 v[2:3], 3, v[22:23]
	v_add_co_u32_e32 v0, vcc, v0, v2
	v_addc_co_u32_e32 v1, vcc, v1, v3, vcc
	global_load_dwordx2 v[2:3], v[0:1], off
	v_pk_mul_f32 v[4:5], v[12:13], s[34:35] op_sel_hi:[0,1]
	v_pk_fma_f32 v[6:7], v[14:15], s[34:35], v[4:5] op_sel:[0,0,1] op_sel_hi:[1,1,0] neg_lo:[0,0,1] neg_hi:[0,0,1]
	v_pk_fma_f32 v[4:5], v[14:15], s[34:35], v[4:5] op_sel:[0,0,1] op_sel_hi:[0,1,0]
	v_mov_b32_e32 v7, v5
	s_waitcnt vmcnt(0)
	v_pk_add_f32 v[2:3], v[2:3], v[6:7]
	global_store_dwordx2 v[0:1], v[2:3], off
	s_branch .LBB81_3
.LBB81_63:
	s_endpgm
	.section	.rodata,"a",@progbits
	.p2align	6, 0x0
	.amdhsa_kernel _ZL30rocblas_trmm_outofplace_kernelI19rocblas_complex_numIfELi32ELi2ELb1ELb0ELb1ELb1ES1_KS1_S1_Ev17rocblas_diagonal_iiT6_lPT7_lllS6_lllPT8_llli
		.amdhsa_group_segment_fixed_size 16384
		.amdhsa_private_segment_fixed_size 0
		.amdhsa_kernarg_size 392
		.amdhsa_user_sgpr_count 6
		.amdhsa_user_sgpr_private_segment_buffer 1
		.amdhsa_user_sgpr_dispatch_ptr 0
		.amdhsa_user_sgpr_queue_ptr 0
		.amdhsa_user_sgpr_kernarg_segment_ptr 1
		.amdhsa_user_sgpr_dispatch_id 0
		.amdhsa_user_sgpr_flat_scratch_init 0
		.amdhsa_user_sgpr_kernarg_preload_length 0
		.amdhsa_user_sgpr_kernarg_preload_offset 0
		.amdhsa_user_sgpr_private_segment_size 0
		.amdhsa_uses_dynamic_stack 0
		.amdhsa_system_sgpr_private_segment_wavefront_offset 0
		.amdhsa_system_sgpr_workgroup_id_x 1
		.amdhsa_system_sgpr_workgroup_id_y 1
		.amdhsa_system_sgpr_workgroup_id_z 1
		.amdhsa_system_sgpr_workgroup_info 0
		.amdhsa_system_vgpr_workitem_id 1
		.amdhsa_next_free_vgpr 72
		.amdhsa_next_free_sgpr 54
		.amdhsa_accum_offset 72
		.amdhsa_reserve_vcc 1
		.amdhsa_reserve_flat_scratch 0
		.amdhsa_float_round_mode_32 0
		.amdhsa_float_round_mode_16_64 0
		.amdhsa_float_denorm_mode_32 3
		.amdhsa_float_denorm_mode_16_64 3
		.amdhsa_dx10_clamp 1
		.amdhsa_ieee_mode 1
		.amdhsa_fp16_overflow 0
		.amdhsa_tg_split 0
		.amdhsa_exception_fp_ieee_invalid_op 0
		.amdhsa_exception_fp_denorm_src 0
		.amdhsa_exception_fp_ieee_div_zero 0
		.amdhsa_exception_fp_ieee_overflow 0
		.amdhsa_exception_fp_ieee_underflow 0
		.amdhsa_exception_fp_ieee_inexact 0
		.amdhsa_exception_int_div_zero 0
	.end_amdhsa_kernel
	.section	.text._ZL30rocblas_trmm_outofplace_kernelI19rocblas_complex_numIfELi32ELi2ELb1ELb0ELb1ELb1ES1_KS1_S1_Ev17rocblas_diagonal_iiT6_lPT7_lllS6_lllPT8_llli,"axG",@progbits,_ZL30rocblas_trmm_outofplace_kernelI19rocblas_complex_numIfELi32ELi2ELb1ELb0ELb1ELb1ES1_KS1_S1_Ev17rocblas_diagonal_iiT6_lPT7_lllS6_lllPT8_llli,comdat
.Lfunc_end81:
	.size	_ZL30rocblas_trmm_outofplace_kernelI19rocblas_complex_numIfELi32ELi2ELb1ELb0ELb1ELb1ES1_KS1_S1_Ev17rocblas_diagonal_iiT6_lPT7_lllS6_lllPT8_llli, .Lfunc_end81-_ZL30rocblas_trmm_outofplace_kernelI19rocblas_complex_numIfELi32ELi2ELb1ELb0ELb1ELb1ES1_KS1_S1_Ev17rocblas_diagonal_iiT6_lPT7_lllS6_lllPT8_llli
                                        ; -- End function
	.section	.AMDGPU.csdata,"",@progbits
; Kernel info:
; codeLenInByte = 6688
; NumSgprs: 58
; NumVgprs: 72
; NumAgprs: 0
; TotalNumVgprs: 72
; ScratchSize: 0
; MemoryBound: 0
; FloatMode: 240
; IeeeMode: 1
; LDSByteSize: 16384 bytes/workgroup (compile time only)
; SGPRBlocks: 7
; VGPRBlocks: 8
; NumSGPRsForWavesPerEU: 58
; NumVGPRsForWavesPerEU: 72
; AccumOffset: 72
; Occupancy: 7
; WaveLimiterHint : 0
; COMPUTE_PGM_RSRC2:SCRATCH_EN: 0
; COMPUTE_PGM_RSRC2:USER_SGPR: 6
; COMPUTE_PGM_RSRC2:TRAP_HANDLER: 0
; COMPUTE_PGM_RSRC2:TGID_X_EN: 1
; COMPUTE_PGM_RSRC2:TGID_Y_EN: 1
; COMPUTE_PGM_RSRC2:TGID_Z_EN: 1
; COMPUTE_PGM_RSRC2:TIDIG_COMP_CNT: 1
; COMPUTE_PGM_RSRC3_GFX90A:ACCUM_OFFSET: 17
; COMPUTE_PGM_RSRC3_GFX90A:TG_SPLIT: 0
	.section	.text._ZL30rocblas_trmm_outofplace_kernelI19rocblas_complex_numIfELi32ELi2ELb1ELb1ELb1ELb1EPKS1_S2_S1_Ev17rocblas_diagonal_iiT6_lPT7_lllS7_lllPT8_llli,"axG",@progbits,_ZL30rocblas_trmm_outofplace_kernelI19rocblas_complex_numIfELi32ELi2ELb1ELb1ELb1ELb1EPKS1_S2_S1_Ev17rocblas_diagonal_iiT6_lPT7_lllS7_lllPT8_llli,comdat
	.globl	_ZL30rocblas_trmm_outofplace_kernelI19rocblas_complex_numIfELi32ELi2ELb1ELb1ELb1ELb1EPKS1_S2_S1_Ev17rocblas_diagonal_iiT6_lPT7_lllS7_lllPT8_llli ; -- Begin function _ZL30rocblas_trmm_outofplace_kernelI19rocblas_complex_numIfELi32ELi2ELb1ELb1ELb1ELb1EPKS1_S2_S1_Ev17rocblas_diagonal_iiT6_lPT7_lllS7_lllPT8_llli
	.p2align	8
	.type	_ZL30rocblas_trmm_outofplace_kernelI19rocblas_complex_numIfELi32ELi2ELb1ELb1ELb1ELb1EPKS1_S2_S1_Ev17rocblas_diagonal_iiT6_lPT7_lllS7_lllPT8_llli,@function
_ZL30rocblas_trmm_outofplace_kernelI19rocblas_complex_numIfELi32ELi2ELb1ELb1ELb1ELb1EPKS1_S2_S1_Ev17rocblas_diagonal_iiT6_lPT7_lllS7_lllPT8_llli: ; @_ZL30rocblas_trmm_outofplace_kernelI19rocblas_complex_numIfELi32ELi2ELb1ELb1ELb1ELb1EPKS1_S2_S1_Ev17rocblas_diagonal_iiT6_lPT7_lllS7_lllPT8_llli
; %bb.0:
	s_load_dwordx16 s[12:27], s[4:5], 0x10
	s_waitcnt lgkmcnt(0)
	s_mul_i32 s0, s8, s15
	s_mul_hi_u32 s1, s8, s14
	s_add_i32 s1, s1, s0
	s_mul_i32 s0, s8, s14
	s_lshl_b64 s[0:1], s[0:1], 3
	s_add_u32 s0, s12, s0
	s_addc_u32 s1, s13, s1
	s_load_dwordx2 s[34:35], s[0:1], 0x0
	s_waitcnt lgkmcnt(0)
	s_or_b32 s0, s34, s35
	s_bitset0_b32 s0, 31
	s_cmp_eq_u32 s0, 0
	s_cbranch_scc1 .LBB82_63
; %bb.1:
	s_load_dwordx4 s[28:31], s[4:5], 0x0
	s_waitcnt lgkmcnt(0)
	s_add_i32 s0, s30, -1
	s_ashr_i32 s1, s0, 31
	s_lshr_b32 s1, s1, 27
	s_add_i32 s0, s0, s1
	s_ashr_i32 s31, s0, 5
	s_cmp_gt_i32 s7, s31
	s_cbranch_scc1 .LBB82_63
; %bb.2:
	s_mul_i32 s0, s8, s23
	s_mul_hi_u32 s1, s8, s22
	s_add_i32 s1, s1, s0
	s_mul_i32 s0, s8, s22
	s_load_dwordx4 s[44:47], s[4:5], 0x70
	s_load_dword s33, s[4:5], 0x8c
	s_lshl_b64 s[10:11], s[0:1], 3
	s_add_u32 s0, s16, s10
	s_load_dwordx8 s[36:43], s[4:5], 0x50
	s_addc_u32 s1, s17, s11
	s_lshl_b64 s[12:13], s[18:19], 3
	s_add_u32 s2, s0, s12
	s_addc_u32 s3, s1, s13
	s_waitcnt lgkmcnt(0)
	s_mul_i32 s0, s8, s47
	s_mul_hi_u32 s1, s8, s46
	s_add_i32 s1, s1, s0
	s_mul_i32 s0, s8, s46
	s_lshl_b64 s[0:1], s[0:1], 3
	s_add_u32 s4, s40, s0
	s_addc_u32 s5, s41, s1
	s_lshl_b64 s[0:1], s[42:43], 3
	s_add_u32 s48, s4, s0
	s_addc_u32 s49, s5, s1
	s_lshl_b32 s50, s6, 5
	v_and_b32_e32 v20, 0x3ff, v0
	v_add_u32_e32 v22, s50, v20
	v_ashrrev_i32_e32 v23, 31, v22
	v_bfe_u32 v16, v0, 10, 10
	v_mul_lo_u32 v2, v23, s20
	v_mul_lo_u32 v3, v22, s21
	v_mad_u64_u32 v[0:1], s[0:1], v22, s20, 0
	v_add3_u32 v1, v1, v3, v2
	v_lshlrev_b64 v[0:1], 3, v[0:1]
	v_mov_b32_e32 v2, s3
	v_add_co_u32_e32 v0, vcc, s2, v0
	v_addc_co_u32_e32 v1, vcc, v2, v1, vcc
	v_lshlrev_b32_e32 v2, 3, v16
	v_add_co_u32_e32 v17, vcc, v0, v2
	v_addc_co_u32_e32 v21, vcc, 0, v1, vcc
	v_add_co_u32_e32 v24, vcc, 16, v22
	v_addc_co_u32_e32 v25, vcc, 0, v23, vcc
	v_sub_co_u32_e32 v28, vcc, v22, v16
	s_cmp_gt_i32 s6, -1
	v_subbrev_co_u32_e32 v29, vcc, 0, v23, vcc
	s_cselect_b64 s[18:19], -1, 0
	s_cmpk_eq_i32 s28, 0x84
	v_add_co_u32_e32 v30, vcc, 16, v28
	s_cselect_b64 s[22:23], -1, 0
	s_ashr_i32 s41, s29, 31
	s_ashr_i32 s6, s30, 31
	v_addc_co_u32_e32 v31, vcc, 0, v29, vcc
	s_add_u32 s42, s29, -16
	v_add_co_u32_e32 v32, vcc, -16, v28
	s_addc_u32 s43, s41, -1
	v_addc_co_u32_e32 v33, vcc, -1, v29, vcc
	v_lshlrev_b64 v[34:35], 3, v[22:23]
	s_movk_i32 s28, 0x80
	v_lshlrev_b32_e32 v0, 8, v16
	v_lshlrev_b32_e32 v45, 3, v20
	v_add_co_u32_e32 v3, vcc, s28, v34
	s_add_u32 s10, s12, s10
	v_add_u32_e32 v47, v45, v0
	v_add_u32_e32 v49, 0x2000, v0
	v_addc_co_u32_e32 v0, vcc, 0, v35, vcc
	s_addc_u32 s11, s13, s11
	v_mul_lo_u32 v4, s20, v0
	v_pk_mov_b32 v[0:1], s[10:11], s[10:11] op_sel:[0,1]
	v_mad_u64_u32 v[0:1], s[10:11], s20, v3, v[0:1]
	s_mul_i32 s9, s39, s8
	s_mul_hi_u32 s10, s38, s8
	s_add_i32 s9, s10, s9
	s_mul_i32 s8, s38, s8
	v_mul_lo_u32 v5, s21, v3
	s_lshl_b64 s[8:9], s[8:9], 3
	s_lshl_b64 s[10:11], s[26:27], 3
	v_add3_u32 v1, v5, v1, v4
	v_add_co_u32_e32 v0, vcc, v0, v2
	s_add_u32 s8, s8, s10
	v_addc_co_u32_e32 v1, vcc, 0, v1, vcc
	s_addc_u32 s9, s9, s11
	v_mov_b32_e32 v2, s17
	v_add_co_u32_e32 v53, vcc, s16, v0
	s_add_u32 s8, s24, s8
	v_addc_co_u32_e32 v55, vcc, v2, v1, vcc
	s_addc_u32 s9, s25, s9
	v_mov_b32_e32 v0, s9
	v_add_co_u32_e32 v1, vcc, s8, v45
	v_addc_co_u32_e32 v0, vcc, 0, v0, vcc
	s_mov_b32 s40, s29
	v_add_u32_e32 v26, 16, v22
	v_add_co_u32_e32 v36, vcc, s28, v1
	v_mov_b32_e32 v19, 0
	v_cmp_le_i32_e64 s[0:1], s29, v22
	v_cmp_le_i64_e64 s[2:3], s[40:41], v[24:25]
	v_add_u32_e32 v51, v49, v45
	v_cmp_gt_i32_e64 s[4:5], s29, v22
	v_cmp_gt_i32_e64 s[14:15], s29, v26
	v_ashrrev_i32_e32 v27, 31, v26
	v_addc_co_u32_e32 v37, vcc, 0, v0, vcc
	s_lshl_b64 s[20:21], s[36:37], 3
	v_lshl_add_u32 v38, s7, 5, v16
	s_lshl_b32 s51, s33, 5
	v_mov_b32_e32 v18, 1.0
	s_branch .LBB82_4
.LBB82_3:                               ;   in Loop: Header=BB82_4 Depth=1
	s_or_b64 exec, exec, s[8:9]
	s_add_i32 s7, s33, s7
	s_cmp_le_i32 s7, s31
	v_add_u32_e32 v38, s51, v38
	s_cbranch_scc0 .LBB82_63
.LBB82_4:                               ; =>This Loop Header: Depth=1
                                        ;     Child Loop BB82_7 Depth 2
	v_lshl_add_u32 v56, s7, 5, v16
	v_ashrrev_i32_e32 v57, 31, v56
	s_andn2_b64 vcc, exec, s[18:19]
	v_mov_b32_e32 v52, v19
	v_mov_b32_e32 v54, v19
	;; [unrolled: 1-line block ×8, first 2 shown]
	s_cbranch_vccnz .LBB82_55
; %bb.5:                                ;   in Loop: Header=BB82_4 Depth=1
	v_ashrrev_i32_e32 v39, 31, v38
	v_mad_u64_u32 v[40:41], s[8:9], s20, v38, v[36:37]
	v_mul_lo_u32 v0, s21, v38
	v_mul_lo_u32 v1, s20, v39
	v_add3_u32 v41, v0, v41, v1
	v_lshlrev_b64 v[0:1], 3, v[38:39]
	v_add_co_u32_e32 v0, vcc, 0x80, v0
	v_addc_co_u32_e32 v1, vcc, 0, v1, vcc
	v_mul_lo_u32 v1, s36, v1
	v_mul_lo_u32 v2, s37, v0
	v_mad_u64_u32 v[42:43], s[8:9], s36, v0, v[36:37]
	v_add3_u32 v43, v2, v43, v1
	v_mov_b32_e32 v1, s6
	v_sub_co_u32_e32 v0, vcc, s30, v56
	v_subb_co_u32_e32 v1, vcc, v1, v57, vcc
	s_mov_b64 s[24:25], 0
	v_cmp_lt_i64_e32 vcc, 0, v[0:1]
	v_cmp_lt_i64_e64 s[8:9], 16, v[0:1]
	v_mov_b32_e32 v12, 0
	s_mov_b64 s[26:27], 0
	v_mov_b32_e32 v14, 0
	v_mov_b32_e32 v46, 0
	;; [unrolled: 1-line block ×7, first 2 shown]
	s_branch .LBB82_7
.LBB82_6:                               ;   in Loop: Header=BB82_7 Depth=2
	s_or_b64 exec, exec, s[12:13]
	s_waitcnt lgkmcnt(0)
	s_barrier
	ds_read_b128 v[58:61], v49
	ds_read_b128 v[8:11], v49 offset:16
	ds_read_b128 v[4:7], v49 offset:32
	;; [unrolled: 1-line block ×3, first 2 shown]
	ds_read2_b64 v[62:65], v45 offset1:16
	ds_read_b128 v[66:69], v49 offset:4096
	s_add_u32 s26, s26, 32
	s_addc_u32 s27, s27, 0
	s_sub_i32 s10, s26, 32
	s_waitcnt lgkmcnt(1)
	v_mul_f32_e32 v13, v59, v63
	v_mul_f32_e32 v15, v58, v63
	v_fma_f32 v13, v58, v62, -v13
	v_fmac_f32_e32 v15, v59, v62
	v_add_f32_e32 v39, v52, v13
	v_add_f32_e32 v52, v54, v15
	v_mul_f32_e32 v13, v59, v65
	v_mul_f32_e32 v15, v58, v65
	v_fma_f32 v13, v58, v64, -v13
	v_fmac_f32_e32 v15, v59, v64
	v_add_f32_e32 v48, v48, v13
	v_add_f32_e32 v50, v50, v15
	s_waitcnt lgkmcnt(0)
	v_mul_f32_e32 v13, v67, v63
	v_mul_f32_e32 v15, v66, v63
	v_fma_f32 v13, v66, v62, -v13
	v_fmac_f32_e32 v15, v67, v62
	v_add_f32_e32 v44, v44, v13
	v_add_f32_e32 v46, v46, v15
	v_mul_f32_e32 v13, v67, v65
	v_mul_f32_e32 v15, v66, v65
	v_fma_f32 v13, v66, v64, -v13
	v_fmac_f32_e32 v15, v67, v64
	v_add_f32_e32 v54, v14, v13
	v_add_f32_e32 v58, v12, v15
	ds_read2_b64 v[12:15], v45 offset0:32 offset1:48
	s_add_u32 s24, s24, 0x100
	s_addc_u32 s25, s25, 0
	s_cmp_ge_i32 s10, s50
	s_waitcnt lgkmcnt(0)
	v_mul_f32_e32 v59, v61, v13
	v_fma_f32 v59, v60, v12, -v59
	v_add_f32_e32 v39, v39, v59
	v_mul_f32_e32 v59, v61, v15
	v_fma_f32 v59, v60, v14, -v59
	v_mul_f32_e32 v62, v60, v13
	v_add_f32_e32 v48, v48, v59
	v_mul_f32_e32 v59, v69, v13
	v_mul_f32_e32 v13, v68, v13
	v_fmac_f32_e32 v13, v69, v12
	v_fmac_f32_e32 v62, v61, v12
	v_fma_f32 v59, v68, v12, -v59
	v_add_f32_e32 v46, v46, v13
	v_mul_f32_e32 v12, v69, v15
	v_mul_f32_e32 v13, v68, v15
	;; [unrolled: 1-line block ×3, first 2 shown]
	v_fma_f32 v12, v68, v14, -v12
	v_fmac_f32_e32 v13, v69, v14
	v_add_f32_e32 v52, v52, v62
	v_fmac_f32_e32 v60, v61, v14
	v_add_f32_e32 v54, v54, v12
	v_add_f32_e32 v62, v58, v13
	ds_read2_b64 v[12:15], v45 offset0:64 offset1:80
	v_add_f32_e32 v44, v44, v59
	v_add_f32_e32 v50, v50, v60
	s_waitcnt lgkmcnt(0)
	v_mul_f32_e32 v58, v9, v13
	v_fma_f32 v58, v8, v12, -v58
	v_mul_f32_e32 v59, v8, v13
	v_add_f32_e32 v39, v39, v58
	v_mul_f32_e32 v58, v9, v15
	v_fmac_f32_e32 v59, v9, v12
	v_fma_f32 v58, v8, v14, -v58
	v_mul_f32_e32 v8, v8, v15
	v_add_f32_e32 v52, v52, v59
	v_fmac_f32_e32 v8, v9, v14
	v_add_f32_e32 v9, v48, v58
	ds_read_b128 v[58:61], v49 offset:4112
	v_add_f32_e32 v8, v50, v8
	s_waitcnt lgkmcnt(0)
	v_mul_f32_e32 v48, v59, v13
	v_mul_f32_e32 v13, v58, v13
	v_fmac_f32_e32 v13, v59, v12
	v_fma_f32 v48, v58, v12, -v48
	v_add_f32_e32 v46, v46, v13
	v_mul_f32_e32 v12, v59, v15
	v_mul_f32_e32 v13, v58, v15
	v_fma_f32 v12, v58, v14, -v12
	v_fmac_f32_e32 v13, v59, v14
	v_add_f32_e32 v44, v44, v48
	v_add_f32_e32 v48, v54, v12
	;; [unrolled: 1-line block ×3, first 2 shown]
	ds_read2_b64 v[12:15], v45 offset0:96 offset1:112
	s_waitcnt lgkmcnt(0)
	v_mul_f32_e32 v54, v11, v13
	v_fma_f32 v54, v10, v12, -v54
	v_add_f32_e32 v39, v39, v54
	v_mul_f32_e32 v54, v11, v15
	v_mul_f32_e32 v58, v10, v13
	v_fma_f32 v54, v10, v14, -v54
	v_mul_f32_e32 v10, v10, v15
	v_fmac_f32_e32 v58, v11, v12
	v_fmac_f32_e32 v10, v11, v14
	v_add_f32_e32 v52, v52, v58
	v_add_f32_e32 v54, v9, v54
	;; [unrolled: 1-line block ×3, first 2 shown]
	v_mul_f32_e32 v8, v61, v13
	v_mul_f32_e32 v9, v60, v13
	v_fma_f32 v8, v60, v12, -v8
	v_fmac_f32_e32 v9, v61, v12
	v_add_f32_e32 v44, v44, v8
	v_add_f32_e32 v46, v46, v9
	v_mul_f32_e32 v8, v61, v15
	v_mul_f32_e32 v9, v60, v15
	v_fma_f32 v8, v60, v14, -v8
	v_fmac_f32_e32 v9, v61, v14
	v_add_f32_e32 v48, v48, v8
	v_add_f32_e32 v50, v50, v9
	ds_read2_b64 v[8:11], v45 offset0:128 offset1:144
	s_waitcnt lgkmcnt(0)
	v_mul_f32_e32 v12, v5, v9
	v_fma_f32 v12, v4, v8, -v12
	v_mul_f32_e32 v13, v4, v9
	v_add_f32_e32 v39, v39, v12
	v_mul_f32_e32 v12, v5, v11
	v_fmac_f32_e32 v13, v5, v8
	v_fma_f32 v12, v4, v10, -v12
	v_mul_f32_e32 v4, v4, v11
	v_add_f32_e32 v52, v52, v13
	v_fmac_f32_e32 v4, v5, v10
	v_add_f32_e32 v5, v54, v12
	ds_read_b128 v[12:15], v49 offset:4128
	v_add_f32_e32 v4, v58, v4
	s_waitcnt lgkmcnt(0)
	v_mul_f32_e32 v54, v13, v9
	v_mul_f32_e32 v9, v12, v9
	v_fmac_f32_e32 v9, v13, v8
	v_fma_f32 v54, v12, v8, -v54
	v_add_f32_e32 v46, v46, v9
	v_mul_f32_e32 v8, v13, v11
	v_mul_f32_e32 v9, v12, v11
	v_fma_f32 v8, v12, v10, -v8
	v_fmac_f32_e32 v9, v13, v10
	v_add_f32_e32 v12, v48, v8
	v_add_f32_e32 v13, v50, v9
	ds_read2_b64 v[8:11], v45 offset0:160 offset1:176
	v_add_f32_e32 v44, v44, v54
	s_waitcnt lgkmcnt(0)
	v_mul_f32_e32 v48, v7, v9
	v_mul_f32_e32 v50, v6, v9
	v_fma_f32 v48, v6, v8, -v48
	v_fmac_f32_e32 v50, v7, v8
	v_add_f32_e32 v39, v39, v48
	v_add_f32_e32 v48, v52, v50
	v_mul_f32_e32 v50, v7, v11
	v_fma_f32 v50, v6, v10, -v50
	v_mul_f32_e32 v6, v6, v11
	v_fmac_f32_e32 v6, v7, v10
	v_add_f32_e32 v50, v5, v50
	v_add_f32_e32 v52, v4, v6
	v_mul_f32_e32 v4, v15, v9
	v_mul_f32_e32 v5, v14, v9
	v_fma_f32 v4, v14, v8, -v4
	v_fmac_f32_e32 v5, v15, v8
	v_add_f32_e32 v44, v44, v4
	v_add_f32_e32 v46, v46, v5
	v_mul_f32_e32 v4, v15, v11
	v_mul_f32_e32 v5, v14, v11
	v_fma_f32 v4, v14, v10, -v4
	v_fmac_f32_e32 v5, v15, v10
	v_add_f32_e32 v12, v12, v4
	v_add_f32_e32 v13, v13, v5
	ds_read2_b64 v[4:7], v45 offset0:192 offset1:208
	s_waitcnt lgkmcnt(0)
	v_mul_f32_e32 v8, v1, v5
	v_fma_f32 v8, v0, v4, -v8
	v_mul_f32_e32 v9, v0, v5
	v_add_f32_e32 v14, v39, v8
	v_mul_f32_e32 v8, v1, v7
	v_fmac_f32_e32 v9, v1, v4
	v_fma_f32 v8, v0, v6, -v8
	v_mul_f32_e32 v0, v0, v7
	v_add_f32_e32 v15, v48, v9
	v_fmac_f32_e32 v0, v1, v6
	v_add_f32_e32 v1, v50, v8
	ds_read_b128 v[8:11], v49 offset:4144
	v_add_f32_e32 v0, v52, v0
	s_waitcnt lgkmcnt(0)
	v_mul_f32_e32 v39, v9, v5
	v_mul_f32_e32 v5, v8, v5
	v_fma_f32 v39, v8, v4, -v39
	v_fmac_f32_e32 v5, v9, v4
	v_add_f32_e32 v39, v44, v39
	v_add_f32_e32 v44, v46, v5
	v_mul_f32_e32 v4, v9, v7
	v_mul_f32_e32 v5, v8, v7
	v_fma_f32 v4, v8, v6, -v4
	v_fmac_f32_e32 v5, v9, v6
	v_add_f32_e32 v8, v12, v4
	v_add_f32_e32 v9, v13, v5
	ds_read2_b64 v[4:7], v45 offset0:224 offset1:240
	s_waitcnt lgkmcnt(0)
	v_mul_f32_e32 v12, v3, v5
	v_fma_f32 v12, v2, v4, -v12
	v_add_f32_e32 v12, v14, v12
	v_mul_f32_e32 v14, v3, v7
	v_mul_f32_e32 v13, v2, v5
	v_fma_f32 v14, v2, v6, -v14
	v_mul_f32_e32 v2, v2, v7
	v_fmac_f32_e32 v13, v3, v4
	v_fmac_f32_e32 v2, v3, v6
	v_add_f32_e32 v13, v15, v13
	v_add_f32_e32 v14, v1, v14
	;; [unrolled: 1-line block ×3, first 2 shown]
	v_mul_f32_e32 v0, v11, v5
	v_mul_f32_e32 v1, v10, v5
	v_fma_f32 v0, v10, v4, -v0
	v_fmac_f32_e32 v1, v11, v4
	v_add_f32_e32 v5, v39, v0
	v_add_f32_e32 v39, v44, v1
	v_mul_f32_e32 v0, v11, v7
	v_mul_f32_e32 v1, v10, v7
	v_fma_f32 v0, v10, v6, -v0
	v_fmac_f32_e32 v1, v11, v6
	v_add_u32_e32 v4, 0x800, v45
	v_add_f32_e32 v44, v8, v0
	v_add_f32_e32 v46, v9, v1
	ds_read_b128 v[0:3], v49 offset:64
	ds_read2_b64 v[6:9], v4 offset1:16
	s_waitcnt lgkmcnt(0)
	v_mul_f32_e32 v10, v1, v7
	v_fma_f32 v10, v0, v6, -v10
	v_mul_f32_e32 v11, v0, v7
	v_add_f32_e32 v48, v12, v10
	v_mul_f32_e32 v10, v1, v9
	v_fmac_f32_e32 v11, v1, v6
	v_fma_f32 v10, v0, v8, -v10
	v_mul_f32_e32 v0, v0, v9
	v_add_f32_e32 v50, v13, v11
	v_fmac_f32_e32 v0, v1, v8
	v_add_f32_e32 v1, v14, v10
	ds_read_b128 v[10:13], v49 offset:4160
	v_add_f32_e32 v0, v15, v0
	s_waitcnt lgkmcnt(0)
	v_mul_f32_e32 v14, v11, v7
	v_mul_f32_e32 v7, v10, v7
	v_fma_f32 v14, v10, v6, -v14
	v_fmac_f32_e32 v7, v11, v6
	v_add_f32_e32 v5, v5, v14
	v_add_f32_e32 v14, v39, v7
	v_mul_f32_e32 v6, v11, v9
	v_mul_f32_e32 v7, v10, v9
	v_fma_f32 v6, v10, v8, -v6
	v_fmac_f32_e32 v7, v11, v8
	v_add_f32_e32 v10, v44, v6
	v_add_f32_e32 v11, v46, v7
	ds_read2_b64 v[6:9], v4 offset0:32 offset1:48
	s_waitcnt lgkmcnt(0)
	v_mul_f32_e32 v15, v3, v7
	v_mul_f32_e32 v44, v3, v9
	v_fma_f32 v15, v2, v6, -v15
	v_mul_f32_e32 v39, v2, v7
	v_fma_f32 v44, v2, v8, -v44
	v_mul_f32_e32 v2, v2, v9
	v_fmac_f32_e32 v2, v3, v8
	v_add_f32_e32 v44, v1, v44
	v_add_f32_e32 v46, v0, v2
	v_mul_f32_e32 v0, v13, v7
	v_mul_f32_e32 v1, v12, v7
	v_fma_f32 v0, v12, v6, -v0
	v_fmac_f32_e32 v1, v13, v6
	v_add_f32_e32 v5, v5, v0
	v_add_f32_e32 v14, v14, v1
	v_mul_f32_e32 v0, v13, v9
	v_mul_f32_e32 v1, v12, v9
	v_fmac_f32_e32 v39, v3, v6
	v_fma_f32 v0, v12, v8, -v0
	v_fmac_f32_e32 v1, v13, v8
	v_add_f32_e32 v15, v48, v15
	v_add_f32_e32 v39, v50, v39
	v_add_f32_e32 v48, v10, v0
	v_add_f32_e32 v50, v11, v1
	ds_read_b128 v[0:3], v49 offset:80
	ds_read2_b64 v[6:9], v4 offset0:64 offset1:80
	s_waitcnt lgkmcnt(0)
	v_mul_f32_e32 v10, v1, v7
	v_fma_f32 v10, v0, v6, -v10
	v_mul_f32_e32 v11, v0, v7
	v_add_f32_e32 v15, v15, v10
	v_mul_f32_e32 v10, v1, v9
	v_fmac_f32_e32 v11, v1, v6
	v_fma_f32 v10, v0, v8, -v10
	v_mul_f32_e32 v0, v0, v9
	v_add_f32_e32 v39, v39, v11
	v_fmac_f32_e32 v0, v1, v8
	v_add_f32_e32 v1, v44, v10
	ds_read_b128 v[10:13], v49 offset:4176
	v_add_f32_e32 v0, v46, v0
	s_waitcnt lgkmcnt(0)
	v_mul_f32_e32 v44, v11, v7
	v_mul_f32_e32 v7, v10, v7
	v_fmac_f32_e32 v7, v11, v6
	v_fma_f32 v44, v10, v6, -v44
	v_add_f32_e32 v14, v14, v7
	v_mul_f32_e32 v6, v11, v9
	v_mul_f32_e32 v7, v10, v9
	v_fma_f32 v6, v10, v8, -v6
	v_fmac_f32_e32 v7, v11, v8
	v_add_f32_e32 v10, v48, v6
	v_add_f32_e32 v11, v50, v7
	ds_read2_b64 v[6:9], v4 offset0:96 offset1:112
	v_add_f32_e32 v5, v5, v44
	s_waitcnt lgkmcnt(0)
	v_mul_f32_e32 v44, v3, v7
	v_fma_f32 v44, v2, v6, -v44
	v_add_f32_e32 v15, v15, v44
	v_mul_f32_e32 v44, v3, v9
	v_mul_f32_e32 v46, v2, v7
	v_fma_f32 v44, v2, v8, -v44
	v_mul_f32_e32 v2, v2, v9
	v_fmac_f32_e32 v46, v3, v6
	v_fmac_f32_e32 v2, v3, v8
	v_add_f32_e32 v39, v39, v46
	v_add_f32_e32 v44, v1, v44
	;; [unrolled: 1-line block ×3, first 2 shown]
	v_mul_f32_e32 v0, v13, v7
	v_mul_f32_e32 v1, v12, v7
	v_fma_f32 v0, v12, v6, -v0
	v_fmac_f32_e32 v1, v13, v6
	v_add_f32_e32 v5, v5, v0
	v_add_f32_e32 v14, v14, v1
	v_mul_f32_e32 v0, v13, v9
	v_mul_f32_e32 v1, v12, v9
	v_fma_f32 v0, v12, v8, -v0
	v_fmac_f32_e32 v1, v13, v8
	v_add_f32_e32 v48, v10, v0
	v_add_f32_e32 v50, v11, v1
	ds_read_b128 v[0:3], v49 offset:96
	ds_read2_b64 v[6:9], v4 offset0:128 offset1:144
	s_waitcnt lgkmcnt(0)
	v_mul_f32_e32 v10, v1, v7
	v_fma_f32 v10, v0, v6, -v10
	v_mul_f32_e32 v11, v0, v7
	v_add_f32_e32 v15, v15, v10
	v_mul_f32_e32 v10, v1, v9
	v_fmac_f32_e32 v11, v1, v6
	v_fma_f32 v10, v0, v8, -v10
	v_mul_f32_e32 v0, v0, v9
	v_add_f32_e32 v39, v39, v11
	v_fmac_f32_e32 v0, v1, v8
	v_add_f32_e32 v1, v44, v10
	ds_read_b128 v[10:13], v49 offset:4192
	v_add_f32_e32 v0, v46, v0
	s_waitcnt lgkmcnt(0)
	v_mul_f32_e32 v44, v11, v7
	v_mul_f32_e32 v7, v10, v7
	v_fmac_f32_e32 v7, v11, v6
	v_fma_f32 v44, v10, v6, -v44
	v_add_f32_e32 v14, v14, v7
	v_mul_f32_e32 v6, v11, v9
	v_mul_f32_e32 v7, v10, v9
	v_fma_f32 v6, v10, v8, -v6
	v_fmac_f32_e32 v7, v11, v8
	v_add_f32_e32 v10, v48, v6
	v_add_f32_e32 v11, v50, v7
	ds_read2_b64 v[6:9], v4 offset0:160 offset1:176
	v_add_f32_e32 v5, v5, v44
	s_waitcnt lgkmcnt(0)
	v_mul_f32_e32 v44, v3, v7
	v_fma_f32 v44, v2, v6, -v44
	v_add_f32_e32 v15, v15, v44
	v_mul_f32_e32 v44, v3, v9
	v_mul_f32_e32 v46, v2, v7
	v_fma_f32 v44, v2, v8, -v44
	v_mul_f32_e32 v2, v2, v9
	v_fmac_f32_e32 v46, v3, v6
	v_fmac_f32_e32 v2, v3, v8
	v_add_f32_e32 v39, v39, v46
	v_add_f32_e32 v44, v1, v44
	;; [unrolled: 1-line block ×3, first 2 shown]
	v_mul_f32_e32 v0, v13, v7
	v_mul_f32_e32 v1, v12, v7
	v_fma_f32 v0, v12, v6, -v0
	v_fmac_f32_e32 v1, v13, v6
	v_add_f32_e32 v5, v5, v0
	v_add_f32_e32 v14, v14, v1
	v_mul_f32_e32 v0, v13, v9
	v_mul_f32_e32 v1, v12, v9
	v_fma_f32 v0, v12, v8, -v0
	v_fmac_f32_e32 v1, v13, v8
	v_add_f32_e32 v48, v10, v0
	v_add_f32_e32 v50, v11, v1
	ds_read_b128 v[0:3], v49 offset:112
	ds_read2_b64 v[6:9], v4 offset0:192 offset1:208
	s_waitcnt lgkmcnt(0)
	v_mul_f32_e32 v10, v1, v7
	v_fma_f32 v10, v0, v6, -v10
	v_mul_f32_e32 v11, v0, v7
	v_add_f32_e32 v15, v15, v10
	v_mul_f32_e32 v10, v1, v9
	v_fmac_f32_e32 v11, v1, v6
	v_fma_f32 v10, v0, v8, -v10
	v_mul_f32_e32 v0, v0, v9
	v_add_f32_e32 v39, v39, v11
	v_fmac_f32_e32 v0, v1, v8
	v_add_f32_e32 v1, v44, v10
	ds_read_b128 v[10:13], v49 offset:4208
	v_add_f32_e32 v0, v46, v0
	s_waitcnt lgkmcnt(0)
	v_mul_f32_e32 v44, v11, v7
	v_fma_f32 v44, v10, v6, -v44
	v_mul_f32_e32 v7, v10, v7
	v_fmac_f32_e32 v7, v11, v6
	v_add_f32_e32 v44, v5, v44
	v_mul_f32_e32 v5, v11, v9
	v_mul_f32_e32 v6, v10, v9
	v_fma_f32 v5, v10, v8, -v5
	v_fmac_f32_e32 v6, v11, v8
	v_add_f32_e32 v14, v14, v7
	v_add_f32_e32 v8, v48, v5
	;; [unrolled: 1-line block ×3, first 2 shown]
	ds_read2_b64 v[4:7], v4 offset0:224 offset1:240
	s_waitcnt lgkmcnt(0)
	v_mul_f32_e32 v10, v3, v5
	v_fma_f32 v10, v2, v4, -v10
	v_add_f32_e32 v10, v15, v10
	v_mul_f32_e32 v15, v3, v7
	v_mul_f32_e32 v11, v2, v5
	v_fma_f32 v15, v2, v6, -v15
	v_mul_f32_e32 v2, v2, v7
	v_fmac_f32_e32 v11, v3, v4
	v_fmac_f32_e32 v2, v3, v6
	v_add_f32_e32 v11, v39, v11
	v_add_f32_e32 v15, v1, v15
	;; [unrolled: 1-line block ×3, first 2 shown]
	v_mul_f32_e32 v0, v13, v5
	v_mul_f32_e32 v1, v12, v5
	v_fma_f32 v0, v12, v4, -v0
	v_fmac_f32_e32 v1, v13, v4
	v_add_f32_e32 v5, v44, v0
	v_add_f32_e32 v14, v14, v1
	v_mul_f32_e32 v0, v13, v7
	v_mul_f32_e32 v1, v12, v7
	v_fma_f32 v0, v12, v6, -v0
	v_fmac_f32_e32 v1, v13, v6
	v_add_u32_e32 v4, 0x1000, v45
	v_add_f32_e32 v44, v8, v0
	v_add_f32_e32 v46, v9, v1
	ds_read_b128 v[0:3], v49 offset:128
	ds_read2_b64 v[6:9], v4 offset1:16
	s_waitcnt lgkmcnt(0)
	v_mul_f32_e32 v12, v1, v7
	v_fma_f32 v12, v0, v6, -v12
	v_mul_f32_e32 v13, v0, v7
	v_add_f32_e32 v48, v10, v12
	v_mul_f32_e32 v10, v1, v9
	v_fmac_f32_e32 v13, v1, v6
	v_fma_f32 v10, v0, v8, -v10
	v_mul_f32_e32 v0, v0, v9
	v_add_f32_e32 v50, v11, v13
	v_fmac_f32_e32 v0, v1, v8
	v_add_f32_e32 v1, v15, v10
	ds_read_b128 v[10:13], v49 offset:4224
	v_add_f32_e32 v0, v39, v0
	s_waitcnt lgkmcnt(0)
	v_mul_f32_e32 v15, v11, v7
	v_mul_f32_e32 v7, v10, v7
	v_fmac_f32_e32 v7, v11, v6
	v_fma_f32 v15, v10, v6, -v15
	v_add_f32_e32 v14, v14, v7
	v_mul_f32_e32 v6, v11, v9
	v_mul_f32_e32 v7, v10, v9
	v_fma_f32 v6, v10, v8, -v6
	v_fmac_f32_e32 v7, v11, v8
	v_add_f32_e32 v10, v44, v6
	v_add_f32_e32 v11, v46, v7
	ds_read2_b64 v[6:9], v4 offset0:32 offset1:48
	v_add_f32_e32 v5, v5, v15
	s_waitcnt lgkmcnt(0)
	v_mul_f32_e32 v15, v3, v7
	v_mul_f32_e32 v44, v3, v9
	v_fma_f32 v15, v2, v6, -v15
	v_mul_f32_e32 v39, v2, v7
	v_fma_f32 v44, v2, v8, -v44
	v_mul_f32_e32 v2, v2, v9
	v_fmac_f32_e32 v2, v3, v8
	v_add_f32_e32 v44, v1, v44
	v_add_f32_e32 v46, v0, v2
	v_mul_f32_e32 v0, v13, v7
	v_mul_f32_e32 v1, v12, v7
	v_fma_f32 v0, v12, v6, -v0
	v_fmac_f32_e32 v1, v13, v6
	v_add_f32_e32 v5, v5, v0
	v_add_f32_e32 v14, v14, v1
	v_mul_f32_e32 v0, v13, v9
	v_mul_f32_e32 v1, v12, v9
	v_fmac_f32_e32 v39, v3, v6
	v_fma_f32 v0, v12, v8, -v0
	v_fmac_f32_e32 v1, v13, v8
	v_add_f32_e32 v15, v48, v15
	v_add_f32_e32 v39, v50, v39
	;; [unrolled: 1-line block ×4, first 2 shown]
	ds_read_b128 v[0:3], v49 offset:144
	ds_read2_b64 v[6:9], v4 offset0:64 offset1:80
	s_waitcnt lgkmcnt(0)
	v_mul_f32_e32 v10, v1, v7
	v_fma_f32 v10, v0, v6, -v10
	v_mul_f32_e32 v11, v0, v7
	v_add_f32_e32 v15, v15, v10
	v_mul_f32_e32 v10, v1, v9
	v_fmac_f32_e32 v11, v1, v6
	v_fma_f32 v10, v0, v8, -v10
	v_mul_f32_e32 v0, v0, v9
	v_add_f32_e32 v39, v39, v11
	v_fmac_f32_e32 v0, v1, v8
	v_add_f32_e32 v1, v44, v10
	ds_read_b128 v[10:13], v49 offset:4240
	v_add_f32_e32 v0, v46, v0
	s_waitcnt lgkmcnt(0)
	v_mul_f32_e32 v44, v11, v7
	v_mul_f32_e32 v7, v10, v7
	v_fmac_f32_e32 v7, v11, v6
	v_fma_f32 v44, v10, v6, -v44
	v_add_f32_e32 v14, v14, v7
	v_mul_f32_e32 v6, v11, v9
	v_mul_f32_e32 v7, v10, v9
	v_fma_f32 v6, v10, v8, -v6
	v_fmac_f32_e32 v7, v11, v8
	v_add_f32_e32 v10, v48, v6
	v_add_f32_e32 v11, v50, v7
	ds_read2_b64 v[6:9], v4 offset0:96 offset1:112
	v_add_f32_e32 v5, v5, v44
	s_waitcnt lgkmcnt(0)
	v_mul_f32_e32 v44, v3, v7
	v_fma_f32 v44, v2, v6, -v44
	v_add_f32_e32 v15, v15, v44
	v_mul_f32_e32 v44, v3, v9
	v_mul_f32_e32 v46, v2, v7
	v_fma_f32 v44, v2, v8, -v44
	v_mul_f32_e32 v2, v2, v9
	v_fmac_f32_e32 v46, v3, v6
	v_fmac_f32_e32 v2, v3, v8
	v_add_f32_e32 v39, v39, v46
	v_add_f32_e32 v44, v1, v44
	;; [unrolled: 1-line block ×3, first 2 shown]
	v_mul_f32_e32 v0, v13, v7
	v_mul_f32_e32 v1, v12, v7
	v_fma_f32 v0, v12, v6, -v0
	v_fmac_f32_e32 v1, v13, v6
	v_add_f32_e32 v5, v5, v0
	v_add_f32_e32 v14, v14, v1
	v_mul_f32_e32 v0, v13, v9
	v_mul_f32_e32 v1, v12, v9
	v_fma_f32 v0, v12, v8, -v0
	v_fmac_f32_e32 v1, v13, v8
	v_add_f32_e32 v48, v10, v0
	v_add_f32_e32 v50, v11, v1
	ds_read_b128 v[0:3], v49 offset:160
	ds_read2_b64 v[6:9], v4 offset0:128 offset1:144
	s_waitcnt lgkmcnt(0)
	v_mul_f32_e32 v10, v1, v7
	v_fma_f32 v10, v0, v6, -v10
	v_mul_f32_e32 v11, v0, v7
	v_add_f32_e32 v15, v15, v10
	v_mul_f32_e32 v10, v1, v9
	v_fmac_f32_e32 v11, v1, v6
	v_fma_f32 v10, v0, v8, -v10
	v_mul_f32_e32 v0, v0, v9
	v_add_f32_e32 v39, v39, v11
	v_fmac_f32_e32 v0, v1, v8
	v_add_f32_e32 v1, v44, v10
	ds_read_b128 v[10:13], v49 offset:4256
	v_add_f32_e32 v0, v46, v0
	s_waitcnt lgkmcnt(0)
	v_mul_f32_e32 v44, v11, v7
	v_mul_f32_e32 v7, v10, v7
	v_fmac_f32_e32 v7, v11, v6
	v_fma_f32 v44, v10, v6, -v44
	v_add_f32_e32 v14, v14, v7
	v_mul_f32_e32 v6, v11, v9
	v_mul_f32_e32 v7, v10, v9
	v_fma_f32 v6, v10, v8, -v6
	v_fmac_f32_e32 v7, v11, v8
	v_add_f32_e32 v10, v48, v6
	v_add_f32_e32 v11, v50, v7
	ds_read2_b64 v[6:9], v4 offset0:160 offset1:176
	v_add_f32_e32 v5, v5, v44
	s_waitcnt lgkmcnt(0)
	v_mul_f32_e32 v44, v3, v7
	v_fma_f32 v44, v2, v6, -v44
	v_add_f32_e32 v15, v15, v44
	v_mul_f32_e32 v44, v3, v9
	v_mul_f32_e32 v46, v2, v7
	v_fma_f32 v44, v2, v8, -v44
	v_mul_f32_e32 v2, v2, v9
	v_fmac_f32_e32 v46, v3, v6
	v_fmac_f32_e32 v2, v3, v8
	v_add_f32_e32 v39, v39, v46
	v_add_f32_e32 v44, v1, v44
	;; [unrolled: 1-line block ×3, first 2 shown]
	v_mul_f32_e32 v0, v13, v7
	v_mul_f32_e32 v1, v12, v7
	v_fma_f32 v0, v12, v6, -v0
	v_fmac_f32_e32 v1, v13, v6
	v_add_f32_e32 v5, v5, v0
	v_add_f32_e32 v14, v14, v1
	v_mul_f32_e32 v0, v13, v9
	v_mul_f32_e32 v1, v12, v9
	v_fma_f32 v0, v12, v8, -v0
	v_fmac_f32_e32 v1, v13, v8
	v_add_f32_e32 v48, v10, v0
	v_add_f32_e32 v50, v11, v1
	ds_read_b128 v[0:3], v49 offset:176
	ds_read2_b64 v[6:9], v4 offset0:192 offset1:208
	s_waitcnt lgkmcnt(0)
	v_mul_f32_e32 v10, v1, v7
	v_fma_f32 v10, v0, v6, -v10
	v_mul_f32_e32 v11, v0, v7
	v_add_f32_e32 v15, v15, v10
	v_mul_f32_e32 v10, v1, v9
	v_fmac_f32_e32 v11, v1, v6
	v_fma_f32 v10, v0, v8, -v10
	v_mul_f32_e32 v0, v0, v9
	v_add_f32_e32 v39, v39, v11
	v_fmac_f32_e32 v0, v1, v8
	v_add_f32_e32 v1, v44, v10
	ds_read_b128 v[10:13], v49 offset:4272
	v_add_f32_e32 v0, v46, v0
	s_waitcnt lgkmcnt(0)
	v_mul_f32_e32 v44, v11, v7
	v_fma_f32 v44, v10, v6, -v44
	v_mul_f32_e32 v7, v10, v7
	v_fmac_f32_e32 v7, v11, v6
	v_add_f32_e32 v44, v5, v44
	v_mul_f32_e32 v5, v11, v9
	v_mul_f32_e32 v6, v10, v9
	v_fma_f32 v5, v10, v8, -v5
	v_fmac_f32_e32 v6, v11, v8
	v_add_f32_e32 v14, v14, v7
	v_add_f32_e32 v8, v48, v5
	;; [unrolled: 1-line block ×3, first 2 shown]
	ds_read2_b64 v[4:7], v4 offset0:224 offset1:240
	s_waitcnt lgkmcnt(0)
	v_mul_f32_e32 v10, v3, v5
	v_fma_f32 v10, v2, v4, -v10
	v_add_f32_e32 v10, v15, v10
	v_mul_f32_e32 v15, v3, v7
	v_mul_f32_e32 v11, v2, v5
	v_fma_f32 v15, v2, v6, -v15
	v_mul_f32_e32 v2, v2, v7
	v_fmac_f32_e32 v11, v3, v4
	v_fmac_f32_e32 v2, v3, v6
	v_add_f32_e32 v11, v39, v11
	v_add_f32_e32 v15, v1, v15
	;; [unrolled: 1-line block ×3, first 2 shown]
	v_mul_f32_e32 v0, v13, v5
	v_mul_f32_e32 v1, v12, v5
	v_fma_f32 v0, v12, v4, -v0
	v_fmac_f32_e32 v1, v13, v4
	v_add_f32_e32 v5, v44, v0
	v_add_f32_e32 v14, v14, v1
	v_mul_f32_e32 v0, v13, v7
	v_mul_f32_e32 v1, v12, v7
	v_fma_f32 v0, v12, v6, -v0
	v_fmac_f32_e32 v1, v13, v6
	v_add_u32_e32 v4, 0x1800, v45
	v_add_f32_e32 v44, v8, v0
	v_add_f32_e32 v46, v9, v1
	ds_read_b128 v[0:3], v49 offset:192
	ds_read2_b64 v[6:9], v4 offset1:16
	s_waitcnt lgkmcnt(0)
	v_mul_f32_e32 v12, v1, v7
	v_fma_f32 v12, v0, v6, -v12
	v_mul_f32_e32 v13, v0, v7
	v_add_f32_e32 v48, v10, v12
	v_mul_f32_e32 v10, v1, v9
	v_fmac_f32_e32 v13, v1, v6
	v_fma_f32 v10, v0, v8, -v10
	v_mul_f32_e32 v0, v0, v9
	v_add_f32_e32 v50, v11, v13
	v_fmac_f32_e32 v0, v1, v8
	v_add_f32_e32 v1, v15, v10
	ds_read_b128 v[10:13], v49 offset:4288
	v_add_f32_e32 v0, v39, v0
	s_waitcnt lgkmcnt(0)
	v_mul_f32_e32 v15, v11, v7
	v_mul_f32_e32 v7, v10, v7
	v_fmac_f32_e32 v7, v11, v6
	v_fma_f32 v15, v10, v6, -v15
	v_add_f32_e32 v14, v14, v7
	v_mul_f32_e32 v6, v11, v9
	v_mul_f32_e32 v7, v10, v9
	v_fma_f32 v6, v10, v8, -v6
	v_fmac_f32_e32 v7, v11, v8
	v_add_f32_e32 v10, v44, v6
	v_add_f32_e32 v11, v46, v7
	ds_read2_b64 v[6:9], v4 offset0:32 offset1:48
	v_add_f32_e32 v5, v5, v15
	s_waitcnt lgkmcnt(0)
	v_mul_f32_e32 v15, v3, v7
	v_mul_f32_e32 v44, v3, v9
	v_fma_f32 v15, v2, v6, -v15
	v_mul_f32_e32 v39, v2, v7
	v_fma_f32 v44, v2, v8, -v44
	v_mul_f32_e32 v2, v2, v9
	v_fmac_f32_e32 v2, v3, v8
	v_add_f32_e32 v44, v1, v44
	v_add_f32_e32 v46, v0, v2
	v_mul_f32_e32 v0, v13, v7
	v_mul_f32_e32 v1, v12, v7
	v_fma_f32 v0, v12, v6, -v0
	v_fmac_f32_e32 v1, v13, v6
	v_add_f32_e32 v5, v5, v0
	v_add_f32_e32 v14, v14, v1
	v_mul_f32_e32 v0, v13, v9
	v_mul_f32_e32 v1, v12, v9
	v_fmac_f32_e32 v39, v3, v6
	v_fma_f32 v0, v12, v8, -v0
	v_fmac_f32_e32 v1, v13, v8
	v_add_f32_e32 v15, v48, v15
	v_add_f32_e32 v39, v50, v39
	;; [unrolled: 1-line block ×4, first 2 shown]
	ds_read_b128 v[0:3], v49 offset:208
	ds_read2_b64 v[6:9], v4 offset0:64 offset1:80
	s_waitcnt lgkmcnt(0)
	v_mul_f32_e32 v10, v1, v7
	v_fma_f32 v10, v0, v6, -v10
	v_mul_f32_e32 v11, v0, v7
	v_add_f32_e32 v15, v15, v10
	v_mul_f32_e32 v10, v1, v9
	v_fmac_f32_e32 v11, v1, v6
	v_fma_f32 v10, v0, v8, -v10
	v_mul_f32_e32 v0, v0, v9
	v_add_f32_e32 v39, v39, v11
	v_fmac_f32_e32 v0, v1, v8
	v_add_f32_e32 v1, v44, v10
	ds_read_b128 v[10:13], v49 offset:4304
	v_add_f32_e32 v0, v46, v0
	s_waitcnt lgkmcnt(0)
	v_mul_f32_e32 v44, v11, v7
	v_mul_f32_e32 v7, v10, v7
	v_fmac_f32_e32 v7, v11, v6
	v_fma_f32 v44, v10, v6, -v44
	v_add_f32_e32 v14, v14, v7
	v_mul_f32_e32 v6, v11, v9
	v_mul_f32_e32 v7, v10, v9
	v_fma_f32 v6, v10, v8, -v6
	v_fmac_f32_e32 v7, v11, v8
	v_add_f32_e32 v10, v48, v6
	v_add_f32_e32 v11, v50, v7
	ds_read2_b64 v[6:9], v4 offset0:96 offset1:112
	v_add_f32_e32 v5, v5, v44
	s_waitcnt lgkmcnt(0)
	v_mul_f32_e32 v44, v3, v7
	v_fma_f32 v44, v2, v6, -v44
	v_add_f32_e32 v15, v15, v44
	v_mul_f32_e32 v44, v3, v9
	v_mul_f32_e32 v46, v2, v7
	v_fma_f32 v44, v2, v8, -v44
	v_mul_f32_e32 v2, v2, v9
	v_fmac_f32_e32 v46, v3, v6
	v_fmac_f32_e32 v2, v3, v8
	v_add_f32_e32 v39, v39, v46
	v_add_f32_e32 v44, v1, v44
	;; [unrolled: 1-line block ×3, first 2 shown]
	v_mul_f32_e32 v0, v13, v7
	v_mul_f32_e32 v1, v12, v7
	v_fma_f32 v0, v12, v6, -v0
	v_fmac_f32_e32 v1, v13, v6
	v_add_f32_e32 v5, v5, v0
	v_add_f32_e32 v14, v14, v1
	v_mul_f32_e32 v0, v13, v9
	v_mul_f32_e32 v1, v12, v9
	v_fma_f32 v0, v12, v8, -v0
	v_fmac_f32_e32 v1, v13, v8
	v_add_f32_e32 v48, v10, v0
	v_add_f32_e32 v50, v11, v1
	ds_read_b128 v[0:3], v49 offset:224
	ds_read2_b64 v[6:9], v4 offset0:128 offset1:144
	s_waitcnt lgkmcnt(0)
	v_mul_f32_e32 v10, v1, v7
	v_fma_f32 v10, v0, v6, -v10
	v_mul_f32_e32 v11, v0, v7
	v_add_f32_e32 v15, v15, v10
	v_mul_f32_e32 v10, v1, v9
	v_fmac_f32_e32 v11, v1, v6
	v_fma_f32 v10, v0, v8, -v10
	v_mul_f32_e32 v0, v0, v9
	v_add_f32_e32 v39, v39, v11
	v_fmac_f32_e32 v0, v1, v8
	v_add_f32_e32 v1, v44, v10
	ds_read_b128 v[10:13], v49 offset:4320
	v_add_f32_e32 v0, v46, v0
	s_waitcnt lgkmcnt(0)
	v_mul_f32_e32 v44, v11, v7
	v_mul_f32_e32 v7, v10, v7
	v_fmac_f32_e32 v7, v11, v6
	v_fma_f32 v44, v10, v6, -v44
	v_add_f32_e32 v14, v14, v7
	v_mul_f32_e32 v6, v11, v9
	v_mul_f32_e32 v7, v10, v9
	v_fma_f32 v6, v10, v8, -v6
	v_fmac_f32_e32 v7, v11, v8
	v_add_f32_e32 v10, v48, v6
	v_add_f32_e32 v11, v50, v7
	ds_read2_b64 v[6:9], v4 offset0:160 offset1:176
	v_add_f32_e32 v5, v5, v44
	s_waitcnt lgkmcnt(0)
	v_mul_f32_e32 v44, v3, v7
	v_fma_f32 v44, v2, v6, -v44
	v_add_f32_e32 v15, v15, v44
	v_mul_f32_e32 v44, v3, v9
	v_mul_f32_e32 v46, v2, v7
	v_fma_f32 v44, v2, v8, -v44
	v_mul_f32_e32 v2, v2, v9
	v_fmac_f32_e32 v46, v3, v6
	v_fmac_f32_e32 v2, v3, v8
	v_add_f32_e32 v39, v39, v46
	v_add_f32_e32 v44, v1, v44
	;; [unrolled: 1-line block ×3, first 2 shown]
	v_mul_f32_e32 v0, v13, v7
	v_mul_f32_e32 v1, v12, v7
	v_fma_f32 v0, v12, v6, -v0
	v_fmac_f32_e32 v1, v13, v6
	v_add_f32_e32 v5, v5, v0
	v_add_f32_e32 v14, v14, v1
	v_mul_f32_e32 v0, v13, v9
	v_mul_f32_e32 v1, v12, v9
	v_fma_f32 v0, v12, v8, -v0
	v_fmac_f32_e32 v1, v13, v8
	v_add_f32_e32 v48, v10, v0
	v_add_f32_e32 v50, v11, v1
	ds_read_b128 v[0:3], v49 offset:240
	ds_read2_b64 v[6:9], v4 offset0:192 offset1:208
	s_waitcnt lgkmcnt(0)
	v_mul_f32_e32 v10, v1, v7
	v_fma_f32 v10, v0, v6, -v10
	v_mul_f32_e32 v11, v0, v7
	v_add_f32_e32 v15, v15, v10
	v_mul_f32_e32 v10, v1, v9
	v_fmac_f32_e32 v11, v1, v6
	v_fma_f32 v10, v0, v8, -v10
	v_mul_f32_e32 v0, v0, v9
	v_add_f32_e32 v39, v39, v11
	v_fmac_f32_e32 v0, v1, v8
	v_add_f32_e32 v1, v44, v10
	ds_read_b128 v[10:13], v49 offset:4336
	v_add_f32_e32 v0, v46, v0
	s_waitcnt lgkmcnt(0)
	v_mul_f32_e32 v44, v11, v7
	v_fma_f32 v44, v10, v6, -v44
	v_mul_f32_e32 v7, v10, v7
	v_fmac_f32_e32 v7, v11, v6
	v_add_f32_e32 v44, v5, v44
	v_mul_f32_e32 v5, v11, v9
	v_mul_f32_e32 v6, v10, v9
	v_fma_f32 v5, v10, v8, -v5
	v_fmac_f32_e32 v6, v11, v8
	v_add_f32_e32 v14, v14, v7
	v_add_f32_e32 v8, v48, v5
	;; [unrolled: 1-line block ×3, first 2 shown]
	ds_read2_b64 v[4:7], v4 offset0:224 offset1:240
	s_waitcnt lgkmcnt(0)
	s_barrier
	v_mul_f32_e32 v10, v3, v5
	v_fma_f32 v10, v2, v4, -v10
	v_add_f32_e32 v52, v15, v10
	v_mul_f32_e32 v10, v3, v7
	v_mul_f32_e32 v11, v2, v5
	v_fma_f32 v10, v2, v6, -v10
	v_mul_f32_e32 v2, v2, v7
	v_fmac_f32_e32 v2, v3, v6
	v_add_f32_e32 v48, v1, v10
	v_add_f32_e32 v50, v0, v2
	v_mul_f32_e32 v0, v13, v5
	v_mul_f32_e32 v1, v12, v5
	v_fma_f32 v0, v12, v4, -v0
	v_fmac_f32_e32 v1, v13, v4
	v_add_f32_e32 v44, v44, v0
	v_add_f32_e32 v46, v14, v1
	v_mul_f32_e32 v0, v13, v7
	v_mul_f32_e32 v1, v12, v7
	v_fmac_f32_e32 v11, v3, v4
	v_fma_f32 v0, v12, v6, -v0
	v_fmac_f32_e32 v1, v13, v6
	v_add_f32_e32 v54, v39, v11
	v_add_f32_e32 v14, v8, v0
	;; [unrolled: 1-line block ×3, first 2 shown]
	s_cbranch_scc1 .LBB82_55
.LBB82_7:                               ;   Parent Loop BB82_4 Depth=1
                                        ; =>  This Inner Loop Header: Depth=2
	v_mov_b32_e32 v0, s27
	v_add_co_u32_e64 v2, s[10:11], s26, v16
	v_addc_co_u32_e64 v3, s[10:11], 0, v0, s[10:11]
	v_mov_b32_e32 v1, s25
	v_add_co_u32_e64 v0, s[10:11], s24, v17
	v_addc_co_u32_e64 v1, s[10:11], v21, v1, s[10:11]
	v_cmp_eq_u64_e64 s[10:11], s[26:27], v[28:29]
	v_cmp_le_i64_e64 s[12:13], s[40:41], v[2:3]
	s_and_b64 s[38:39], s[22:23], s[10:11]
	v_cmp_gt_i64_e64 s[10:11], v[2:3], v[22:23]
	s_or_b64 s[16:17], s[12:13], s[10:11]
	s_or_b64 s[16:17], s[16:17], s[38:39]
	;; [unrolled: 1-line block ×3, first 2 shown]
	s_xor_b64 s[16:17], s[16:17], -1
	s_and_saveexec_b64 s[28:29], s[16:17]
	s_xor_b64 s[16:17], exec, s[28:29]
	s_cbranch_execz .LBB82_9
; %bb.8:                                ;   in Loop: Header=BB82_7 Depth=2
	global_load_dwordx2 v[4:5], v[0:1], off
	s_waitcnt vmcnt(0)
	v_xor_b32_e32 v5, 0x80000000, v5
	ds_write_b64 v47, v[4:5]
.LBB82_9:                               ;   in Loop: Header=BB82_7 Depth=2
	s_or_saveexec_b64 s[16:17], s[16:17]
	s_xor_b64 s[28:29], s[38:39], -1
	s_xor_b64 exec, exec, s[16:17]
	s_cbranch_execz .LBB82_15
; %bb.10:                               ;   in Loop: Header=BB82_7 Depth=2
	s_and_saveexec_b64 s[46:47], s[28:29]
	s_xor_b64 s[46:47], exec, s[46:47]
	s_cbranch_execz .LBB82_12
; %bb.11:                               ;   in Loop: Header=BB82_7 Depth=2
	v_mov_b32_e32 v4, v19
	v_mov_b32_e32 v5, v19
	ds_write_b64 v47, v[4:5]
.LBB82_12:                              ;   in Loop: Header=BB82_7 Depth=2
	s_andn2_saveexec_b64 s[46:47], s[46:47]
	s_cbranch_execz .LBB82_14
; %bb.13:                               ;   in Loop: Header=BB82_7 Depth=2
	ds_write_b64 v47, v[18:19]
.LBB82_14:                              ;   in Loop: Header=BB82_7 Depth=2
	s_or_b64 exec, exec, s[46:47]
.LBB82_15:                              ;   in Loop: Header=BB82_7 Depth=2
	s_or_b64 exec, exec, s[16:17]
	v_cmp_eq_u64_e64 s[16:17], s[26:27], v[30:31]
	s_and_b64 s[46:47], s[22:23], s[16:17]
	v_cmp_lt_i64_e64 s[16:17], v[24:25], v[2:3]
	s_or_b64 s[12:13], s[12:13], s[16:17]
	s_or_b64 s[12:13], s[12:13], s[46:47]
	;; [unrolled: 1-line block ×3, first 2 shown]
	s_xor_b64 s[12:13], s[12:13], -1
	s_and_saveexec_b64 s[16:17], s[12:13]
	s_xor_b64 s[16:17], exec, s[16:17]
	s_cbranch_execz .LBB82_17
; %bb.16:                               ;   in Loop: Header=BB82_7 Depth=2
	v_mov_b32_e32 v5, s25
	v_add_co_u32_e64 v4, s[12:13], s24, v53
	v_addc_co_u32_e64 v5, s[12:13], v55, v5, s[12:13]
	global_load_dwordx2 v[4:5], v[4:5], off
	s_waitcnt vmcnt(0)
	v_xor_b32_e32 v5, 0x80000000, v5
	ds_write_b64 v47, v[4:5] offset:128
.LBB82_17:                              ;   in Loop: Header=BB82_7 Depth=2
	s_andn2_saveexec_b64 s[12:13], s[16:17]
	s_cbranch_execz .LBB82_23
; %bb.18:                               ;   in Loop: Header=BB82_7 Depth=2
	s_xor_b64 s[16:17], s[46:47], -1
	s_and_saveexec_b64 s[46:47], s[16:17]
	s_xor_b64 s[16:17], exec, s[46:47]
	s_cbranch_execz .LBB82_20
; %bb.19:                               ;   in Loop: Header=BB82_7 Depth=2
	v_mov_b32_e32 v4, v19
	v_mov_b32_e32 v5, v19
	ds_write_b64 v47, v[4:5] offset:128
.LBB82_20:                              ;   in Loop: Header=BB82_7 Depth=2
	s_andn2_saveexec_b64 s[16:17], s[16:17]
	s_cbranch_execz .LBB82_22
; %bb.21:                               ;   in Loop: Header=BB82_7 Depth=2
	ds_write_b64 v47, v[18:19] offset:128
.LBB82_22:                              ;   in Loop: Header=BB82_7 Depth=2
	s_or_b64 exec, exec, s[16:17]
.LBB82_23:                              ;   in Loop: Header=BB82_7 Depth=2
	s_or_b64 exec, exec, s[12:13]
	v_add_co_u32_e64 v2, s[12:13], 16, v2
	v_addc_co_u32_e64 v3, s[12:13], 0, v3, s[12:13]
	v_cmp_eq_u64_e64 s[16:17], s[26:27], v[32:33]
	v_cmp_le_i64_e64 s[12:13], s[40:41], v[2:3]
	s_and_b64 s[46:47], s[22:23], s[16:17]
	v_cmp_gt_i64_e64 s[16:17], v[2:3], v[22:23]
	s_or_b64 s[16:17], s[12:13], s[16:17]
	s_or_b64 s[16:17], s[16:17], s[46:47]
	;; [unrolled: 1-line block ×3, first 2 shown]
	s_xor_b64 s[16:17], s[16:17], -1
	s_and_saveexec_b64 s[52:53], s[16:17]
	s_xor_b64 s[16:17], exec, s[52:53]
	s_cbranch_execz .LBB82_25
; %bb.24:                               ;   in Loop: Header=BB82_7 Depth=2
	global_load_dwordx2 v[0:1], v[0:1], off offset:128
	s_waitcnt vmcnt(0)
	v_xor_b32_e32 v1, 0x80000000, v1
	ds_write_b64 v47, v[0:1] offset:4096
.LBB82_25:                              ;   in Loop: Header=BB82_7 Depth=2
	s_andn2_saveexec_b64 s[16:17], s[16:17]
	s_cbranch_execz .LBB82_31
; %bb.26:                               ;   in Loop: Header=BB82_7 Depth=2
	s_xor_b64 s[46:47], s[46:47], -1
	s_and_saveexec_b64 s[52:53], s[46:47]
	s_xor_b64 s[46:47], exec, s[52:53]
	s_cbranch_execz .LBB82_28
; %bb.27:                               ;   in Loop: Header=BB82_7 Depth=2
	v_mov_b32_e32 v0, v19
	v_mov_b32_e32 v1, v19
	ds_write_b64 v47, v[0:1] offset:4096
.LBB82_28:                              ;   in Loop: Header=BB82_7 Depth=2
	s_andn2_saveexec_b64 s[46:47], s[46:47]
	s_cbranch_execz .LBB82_30
; %bb.29:                               ;   in Loop: Header=BB82_7 Depth=2
	ds_write_b64 v47, v[18:19] offset:4096
.LBB82_30:                              ;   in Loop: Header=BB82_7 Depth=2
	s_or_b64 exec, exec, s[46:47]
.LBB82_31:                              ;   in Loop: Header=BB82_7 Depth=2
	s_or_b64 exec, exec, s[16:17]
	s_or_b64 s[10:11], s[12:13], s[10:11]
	s_or_b64 s[10:11], s[10:11], s[38:39]
	;; [unrolled: 1-line block ×3, first 2 shown]
	s_xor_b64 s[10:11], s[10:11], -1
	s_and_saveexec_b64 s[12:13], s[10:11]
	s_xor_b64 s[12:13], exec, s[12:13]
	s_cbranch_execz .LBB82_33
; %bb.32:                               ;   in Loop: Header=BB82_7 Depth=2
	v_mov_b32_e32 v1, s25
	v_add_co_u32_e64 v0, s[10:11], s24, v53
	v_addc_co_u32_e64 v1, s[10:11], v55, v1, s[10:11]
	global_load_dwordx2 v[0:1], v[0:1], off offset:128
	s_waitcnt vmcnt(0)
	v_xor_b32_e32 v1, 0x80000000, v1
	ds_write_b64 v47, v[0:1] offset:4224
.LBB82_33:                              ;   in Loop: Header=BB82_7 Depth=2
	s_andn2_saveexec_b64 s[10:11], s[12:13]
	s_cbranch_execz .LBB82_39
; %bb.34:                               ;   in Loop: Header=BB82_7 Depth=2
	s_and_saveexec_b64 s[12:13], s[28:29]
	s_xor_b64 s[12:13], exec, s[12:13]
	s_cbranch_execz .LBB82_36
; %bb.35:                               ;   in Loop: Header=BB82_7 Depth=2
	v_mov_b32_e32 v0, v19
	v_mov_b32_e32 v1, v19
	ds_write_b64 v47, v[0:1] offset:4224
.LBB82_36:                              ;   in Loop: Header=BB82_7 Depth=2
	s_andn2_saveexec_b64 s[12:13], s[12:13]
	s_cbranch_execz .LBB82_38
; %bb.37:                               ;   in Loop: Header=BB82_7 Depth=2
	ds_write_b64 v47, v[18:19] offset:4224
.LBB82_38:                              ;   in Loop: Header=BB82_7 Depth=2
	s_or_b64 exec, exec, s[12:13]
.LBB82_39:                              ;   in Loop: Header=BB82_7 Depth=2
	s_or_b64 exec, exec, s[10:11]
	v_mov_b32_e32 v1, s27
	v_add_co_u32_e64 v0, s[10:11], s26, v20
	v_addc_co_u32_e64 v1, s[10:11], 0, v1, s[10:11]
	v_cmp_gt_i64_e64 s[10:11], s[40:41], v[0:1]
	s_and_b64 s[12:13], vcc, s[10:11]
	s_xor_b64 s[12:13], s[12:13], -1
	s_and_saveexec_b64 s[16:17], s[12:13]
	s_xor_b64 s[12:13], exec, s[16:17]
	s_cbranch_execz .LBB82_41
; %bb.40:                               ;   in Loop: Header=BB82_7 Depth=2
	v_mov_b32_e32 v2, v19
	v_mov_b32_e32 v3, v19
	ds_write_b64 v51, v[2:3]
.LBB82_41:                              ;   in Loop: Header=BB82_7 Depth=2
	s_or_saveexec_b64 s[16:17], s[12:13]
	v_mov_b32_e32 v3, s25
	v_add_co_u32_e64 v2, s[12:13], s24, v40
	v_addc_co_u32_e64 v3, s[12:13], v41, v3, s[12:13]
	s_xor_b64 exec, exec, s[16:17]
	s_cbranch_execz .LBB82_43
; %bb.42:                               ;   in Loop: Header=BB82_7 Depth=2
	global_load_dwordx2 v[4:5], v[2:3], off offset:-128
	s_waitcnt vmcnt(0)
	ds_write_b64 v51, v[4:5]
.LBB82_43:                              ;   in Loop: Header=BB82_7 Depth=2
	s_or_b64 exec, exec, s[16:17]
	v_cmp_gt_i64_e64 s[12:13], s[42:43], v[0:1]
	s_and_b64 s[16:17], vcc, s[12:13]
	s_xor_b64 s[16:17], s[16:17], -1
	s_and_saveexec_b64 s[28:29], s[16:17]
	s_xor_b64 s[16:17], exec, s[28:29]
	s_cbranch_execz .LBB82_45
; %bb.44:                               ;   in Loop: Header=BB82_7 Depth=2
	v_mov_b32_e32 v0, v19
	v_mov_b32_e32 v1, v19
	ds_write_b64 v51, v[0:1] offset:128
                                        ; implicit-def: $vgpr2_vgpr3
.LBB82_45:                              ;   in Loop: Header=BB82_7 Depth=2
	s_andn2_saveexec_b64 s[16:17], s[16:17]
	s_cbranch_execz .LBB82_47
; %bb.46:                               ;   in Loop: Header=BB82_7 Depth=2
	global_load_dwordx2 v[0:1], v[2:3], off
	s_waitcnt vmcnt(0)
	ds_write_b64 v51, v[0:1] offset:128
.LBB82_47:                              ;   in Loop: Header=BB82_7 Depth=2
	s_or_b64 exec, exec, s[16:17]
	s_and_b64 s[10:11], s[8:9], s[10:11]
	s_xor_b64 s[10:11], s[10:11], -1
	s_and_saveexec_b64 s[16:17], s[10:11]
	s_xor_b64 s[10:11], exec, s[16:17]
	s_cbranch_execz .LBB82_49
; %bb.48:                               ;   in Loop: Header=BB82_7 Depth=2
	v_mov_b32_e32 v0, v19
	v_mov_b32_e32 v1, v19
	ds_write_b64 v51, v[0:1] offset:4096
.LBB82_49:                              ;   in Loop: Header=BB82_7 Depth=2
	s_andn2_saveexec_b64 s[16:17], s[10:11]
	s_cbranch_execz .LBB82_51
; %bb.50:                               ;   in Loop: Header=BB82_7 Depth=2
	v_mov_b32_e32 v1, s25
	v_add_co_u32_e64 v0, s[10:11], s24, v42
	v_addc_co_u32_e64 v1, s[10:11], v43, v1, s[10:11]
	global_load_dwordx2 v[0:1], v[0:1], off offset:-128
	s_waitcnt vmcnt(0)
	ds_write_b64 v51, v[0:1] offset:4096
.LBB82_51:                              ;   in Loop: Header=BB82_7 Depth=2
	s_or_b64 exec, exec, s[16:17]
	s_and_b64 s[10:11], s[8:9], s[12:13]
	s_xor_b64 s[10:11], s[10:11], -1
	s_and_saveexec_b64 s[12:13], s[10:11]
	s_xor_b64 s[10:11], exec, s[12:13]
	s_cbranch_execz .LBB82_53
; %bb.52:                               ;   in Loop: Header=BB82_7 Depth=2
	v_mov_b32_e32 v0, v19
	v_mov_b32_e32 v1, v19
	ds_write_b64 v51, v[0:1] offset:4224
.LBB82_53:                              ;   in Loop: Header=BB82_7 Depth=2
	s_andn2_saveexec_b64 s[12:13], s[10:11]
	s_cbranch_execz .LBB82_6
; %bb.54:                               ;   in Loop: Header=BB82_7 Depth=2
	v_mov_b32_e32 v1, s25
	v_add_co_u32_e64 v0, s[10:11], s24, v42
	v_addc_co_u32_e64 v1, s[10:11], v43, v1, s[10:11]
	global_load_dwordx2 v[0:1], v[0:1], off
	s_waitcnt vmcnt(0)
	ds_write_b64 v51, v[0:1] offset:4224
	s_branch .LBB82_6
.LBB82_55:                              ;   in Loop: Header=BB82_4 Depth=1
	v_mul_lo_u32 v2, v57, s44
	v_mul_lo_u32 v3, v56, s45
	v_mad_u64_u32 v[0:1], s[8:9], v56, s44, 0
	v_add3_u32 v1, v1, v3, v2
	v_lshlrev_b64 v[0:1], 3, v[0:1]
	v_mov_b32_e32 v2, s49
	v_add_co_u32_e64 v0, s[8:9], s48, v0
	v_cmp_gt_i32_e32 vcc, s30, v56
	v_addc_co_u32_e64 v1, s[8:9], v2, v1, s[8:9]
	s_and_b64 s[8:9], s[4:5], vcc
	s_and_saveexec_b64 s[10:11], s[8:9]
	s_cbranch_execz .LBB82_57
; %bb.56:                               ;   in Loop: Header=BB82_4 Depth=1
	v_add_co_u32_e64 v2, s[8:9], v0, v34
	v_addc_co_u32_e64 v3, s[8:9], v1, v35, s[8:9]
	global_load_dwordx2 v[4:5], v[2:3], off
	v_pk_mul_f32 v[6:7], v[54:55], s[34:35] op_sel_hi:[0,1]
	v_pk_fma_f32 v[8:9], v[52:53], s[34:35], v[6:7] op_sel:[0,0,1] op_sel_hi:[1,1,0] neg_lo:[0,0,1] neg_hi:[0,0,1]
	v_pk_fma_f32 v[6:7], v[52:53], s[34:35], v[6:7] op_sel:[0,0,1] op_sel_hi:[0,1,0]
	v_mov_b32_e32 v9, v7
	s_waitcnt vmcnt(0)
	v_pk_add_f32 v[4:5], v[4:5], v[8:9]
	global_store_dwordx2 v[2:3], v[4:5], off
.LBB82_57:                              ;   in Loop: Header=BB82_4 Depth=1
	s_or_b64 exec, exec, s[10:11]
	s_and_b64 s[10:11], s[14:15], vcc
	s_and_saveexec_b64 s[8:9], s[10:11]
	s_cbranch_execz .LBB82_59
; %bb.58:                               ;   in Loop: Header=BB82_4 Depth=1
	v_lshlrev_b64 v[2:3], 3, v[26:27]
	v_add_co_u32_e32 v0, vcc, v0, v2
	v_addc_co_u32_e32 v1, vcc, v1, v3, vcc
	global_load_dwordx2 v[2:3], v[0:1], off
	v_pk_mul_f32 v[4:5], v[50:51], s[34:35] op_sel_hi:[0,1]
	v_pk_fma_f32 v[6:7], v[48:49], s[34:35], v[4:5] op_sel:[0,0,1] op_sel_hi:[1,1,0] neg_lo:[0,0,1] neg_hi:[0,0,1]
	v_pk_fma_f32 v[4:5], v[48:49], s[34:35], v[4:5] op_sel:[0,0,1] op_sel_hi:[0,1,0]
	v_mov_b32_e32 v7, v5
	s_waitcnt vmcnt(0)
	v_pk_add_f32 v[2:3], v[2:3], v[6:7]
	global_store_dwordx2 v[0:1], v[2:3], off
.LBB82_59:                              ;   in Loop: Header=BB82_4 Depth=1
	s_or_b64 exec, exec, s[8:9]
	v_add_u32_e32 v0, 16, v56
	v_ashrrev_i32_e32 v1, 31, v0
	v_cmp_gt_i32_e32 vcc, s30, v0
	v_mul_lo_u32 v2, v1, s44
	v_mul_lo_u32 v3, v0, s45
	v_mad_u64_u32 v[0:1], s[8:9], v0, s44, 0
	v_add3_u32 v1, v1, v3, v2
	v_lshlrev_b64 v[0:1], 3, v[0:1]
	v_mov_b32_e32 v2, s49
	v_add_co_u32_e64 v0, s[8:9], s48, v0
	v_addc_co_u32_e64 v1, s[8:9], v2, v1, s[8:9]
	s_and_b64 s[8:9], s[4:5], vcc
	s_and_saveexec_b64 s[10:11], s[8:9]
	s_cbranch_execz .LBB82_61
; %bb.60:                               ;   in Loop: Header=BB82_4 Depth=1
	v_add_co_u32_e64 v2, s[8:9], v0, v34
	v_addc_co_u32_e64 v3, s[8:9], v1, v35, s[8:9]
	global_load_dwordx2 v[4:5], v[2:3], off
	v_pk_mul_f32 v[6:7], v[46:47], s[34:35] op_sel_hi:[0,1]
	v_pk_fma_f32 v[8:9], v[44:45], s[34:35], v[6:7] op_sel:[0,0,1] op_sel_hi:[1,1,0] neg_lo:[0,0,1] neg_hi:[0,0,1]
	v_pk_fma_f32 v[6:7], v[44:45], s[34:35], v[6:7] op_sel:[0,0,1] op_sel_hi:[0,1,0]
	v_mov_b32_e32 v9, v7
	s_waitcnt vmcnt(0)
	v_pk_add_f32 v[4:5], v[4:5], v[8:9]
	global_store_dwordx2 v[2:3], v[4:5], off
.LBB82_61:                              ;   in Loop: Header=BB82_4 Depth=1
	s_or_b64 exec, exec, s[10:11]
	s_and_b64 s[10:11], s[14:15], vcc
	s_and_saveexec_b64 s[8:9], s[10:11]
	s_cbranch_execz .LBB82_3
; %bb.62:                               ;   in Loop: Header=BB82_4 Depth=1
	v_lshlrev_b64 v[2:3], 3, v[26:27]
	v_add_co_u32_e32 v0, vcc, v0, v2
	v_addc_co_u32_e32 v1, vcc, v1, v3, vcc
	global_load_dwordx2 v[2:3], v[0:1], off
	v_pk_mul_f32 v[4:5], v[12:13], s[34:35] op_sel_hi:[0,1]
	v_pk_fma_f32 v[6:7], v[14:15], s[34:35], v[4:5] op_sel:[0,0,1] op_sel_hi:[1,1,0] neg_lo:[0,0,1] neg_hi:[0,0,1]
	v_pk_fma_f32 v[4:5], v[14:15], s[34:35], v[4:5] op_sel:[0,0,1] op_sel_hi:[0,1,0]
	v_mov_b32_e32 v7, v5
	s_waitcnt vmcnt(0)
	v_pk_add_f32 v[2:3], v[2:3], v[6:7]
	global_store_dwordx2 v[0:1], v[2:3], off
	s_branch .LBB82_3
.LBB82_63:
	s_endpgm
	.section	.rodata,"a",@progbits
	.p2align	6, 0x0
	.amdhsa_kernel _ZL30rocblas_trmm_outofplace_kernelI19rocblas_complex_numIfELi32ELi2ELb1ELb1ELb1ELb1EPKS1_S2_S1_Ev17rocblas_diagonal_iiT6_lPT7_lllS7_lllPT8_llli
		.amdhsa_group_segment_fixed_size 16384
		.amdhsa_private_segment_fixed_size 0
		.amdhsa_kernarg_size 392
		.amdhsa_user_sgpr_count 6
		.amdhsa_user_sgpr_private_segment_buffer 1
		.amdhsa_user_sgpr_dispatch_ptr 0
		.amdhsa_user_sgpr_queue_ptr 0
		.amdhsa_user_sgpr_kernarg_segment_ptr 1
		.amdhsa_user_sgpr_dispatch_id 0
		.amdhsa_user_sgpr_flat_scratch_init 0
		.amdhsa_user_sgpr_kernarg_preload_length 0
		.amdhsa_user_sgpr_kernarg_preload_offset 0
		.amdhsa_user_sgpr_private_segment_size 0
		.amdhsa_uses_dynamic_stack 0
		.amdhsa_system_sgpr_private_segment_wavefront_offset 0
		.amdhsa_system_sgpr_workgroup_id_x 1
		.amdhsa_system_sgpr_workgroup_id_y 1
		.amdhsa_system_sgpr_workgroup_id_z 1
		.amdhsa_system_sgpr_workgroup_info 0
		.amdhsa_system_vgpr_workitem_id 1
		.amdhsa_next_free_vgpr 70
		.amdhsa_next_free_sgpr 54
		.amdhsa_accum_offset 72
		.amdhsa_reserve_vcc 1
		.amdhsa_reserve_flat_scratch 0
		.amdhsa_float_round_mode_32 0
		.amdhsa_float_round_mode_16_64 0
		.amdhsa_float_denorm_mode_32 3
		.amdhsa_float_denorm_mode_16_64 3
		.amdhsa_dx10_clamp 1
		.amdhsa_ieee_mode 1
		.amdhsa_fp16_overflow 0
		.amdhsa_tg_split 0
		.amdhsa_exception_fp_ieee_invalid_op 0
		.amdhsa_exception_fp_denorm_src 0
		.amdhsa_exception_fp_ieee_div_zero 0
		.amdhsa_exception_fp_ieee_overflow 0
		.amdhsa_exception_fp_ieee_underflow 0
		.amdhsa_exception_fp_ieee_inexact 0
		.amdhsa_exception_int_div_zero 0
	.end_amdhsa_kernel
	.section	.text._ZL30rocblas_trmm_outofplace_kernelI19rocblas_complex_numIfELi32ELi2ELb1ELb1ELb1ELb1EPKS1_S2_S1_Ev17rocblas_diagonal_iiT6_lPT7_lllS7_lllPT8_llli,"axG",@progbits,_ZL30rocblas_trmm_outofplace_kernelI19rocblas_complex_numIfELi32ELi2ELb1ELb1ELb1ELb1EPKS1_S2_S1_Ev17rocblas_diagonal_iiT6_lPT7_lllS7_lllPT8_llli,comdat
.Lfunc_end82:
	.size	_ZL30rocblas_trmm_outofplace_kernelI19rocblas_complex_numIfELi32ELi2ELb1ELb1ELb1ELb1EPKS1_S2_S1_Ev17rocblas_diagonal_iiT6_lPT7_lllS7_lllPT8_llli, .Lfunc_end82-_ZL30rocblas_trmm_outofplace_kernelI19rocblas_complex_numIfELi32ELi2ELb1ELb1ELb1ELb1EPKS1_S2_S1_Ev17rocblas_diagonal_iiT6_lPT7_lllS7_lllPT8_llli
                                        ; -- End function
	.section	.AMDGPU.csdata,"",@progbits
; Kernel info:
; codeLenInByte = 6720
; NumSgprs: 58
; NumVgprs: 70
; NumAgprs: 0
; TotalNumVgprs: 70
; ScratchSize: 0
; MemoryBound: 0
; FloatMode: 240
; IeeeMode: 1
; LDSByteSize: 16384 bytes/workgroup (compile time only)
; SGPRBlocks: 7
; VGPRBlocks: 8
; NumSGPRsForWavesPerEU: 58
; NumVGPRsForWavesPerEU: 70
; AccumOffset: 72
; Occupancy: 7
; WaveLimiterHint : 0
; COMPUTE_PGM_RSRC2:SCRATCH_EN: 0
; COMPUTE_PGM_RSRC2:USER_SGPR: 6
; COMPUTE_PGM_RSRC2:TRAP_HANDLER: 0
; COMPUTE_PGM_RSRC2:TGID_X_EN: 1
; COMPUTE_PGM_RSRC2:TGID_Y_EN: 1
; COMPUTE_PGM_RSRC2:TGID_Z_EN: 1
; COMPUTE_PGM_RSRC2:TIDIG_COMP_CNT: 1
; COMPUTE_PGM_RSRC3_GFX90A:ACCUM_OFFSET: 17
; COMPUTE_PGM_RSRC3_GFX90A:TG_SPLIT: 0
	.section	.text._ZL30rocblas_trmm_outofplace_kernelI19rocblas_complex_numIfELi32ELi2ELb1ELb1ELb1ELb1ES1_KS1_S1_Ev17rocblas_diagonal_iiT6_lPT7_lllS6_lllPT8_llli,"axG",@progbits,_ZL30rocblas_trmm_outofplace_kernelI19rocblas_complex_numIfELi32ELi2ELb1ELb1ELb1ELb1ES1_KS1_S1_Ev17rocblas_diagonal_iiT6_lPT7_lllS6_lllPT8_llli,comdat
	.globl	_ZL30rocblas_trmm_outofplace_kernelI19rocblas_complex_numIfELi32ELi2ELb1ELb1ELb1ELb1ES1_KS1_S1_Ev17rocblas_diagonal_iiT6_lPT7_lllS6_lllPT8_llli ; -- Begin function _ZL30rocblas_trmm_outofplace_kernelI19rocblas_complex_numIfELi32ELi2ELb1ELb1ELb1ELb1ES1_KS1_S1_Ev17rocblas_diagonal_iiT6_lPT7_lllS6_lllPT8_llli
	.p2align	8
	.type	_ZL30rocblas_trmm_outofplace_kernelI19rocblas_complex_numIfELi32ELi2ELb1ELb1ELb1ELb1ES1_KS1_S1_Ev17rocblas_diagonal_iiT6_lPT7_lllS6_lllPT8_llli,@function
_ZL30rocblas_trmm_outofplace_kernelI19rocblas_complex_numIfELi32ELi2ELb1ELb1ELb1ELb1ES1_KS1_S1_Ev17rocblas_diagonal_iiT6_lPT7_lllS6_lllPT8_llli: ; @_ZL30rocblas_trmm_outofplace_kernelI19rocblas_complex_numIfELi32ELi2ELb1ELb1ELb1ELb1ES1_KS1_S1_Ev17rocblas_diagonal_iiT6_lPT7_lllS6_lllPT8_llli
; %bb.0:
	s_load_dwordx4 s[28:31], s[4:5], 0x0
	s_load_dword s35, s[4:5], 0x10
	s_waitcnt lgkmcnt(0)
	s_or_b32 s0, s31, s35
	s_bitset0_b32 s0, 31
	s_cmp_eq_u32 s0, 0
	s_cbranch_scc1 .LBB83_63
; %bb.1:
	s_add_i32 s0, s30, -1
	s_ashr_i32 s1, s0, 31
	s_lshr_b32 s1, s1, 27
	s_add_i32 s0, s0, s1
	s_ashr_i32 s33, s0, 5
	s_cmp_gt_i32 s7, s33
	s_cbranch_scc1 .LBB83_63
; %bb.2:
	s_load_dwordx16 s[12:27], s[4:5], 0x20
	s_load_dwordx8 s[36:43], s[4:5], 0x60
	s_mov_b32 s34, s31
	v_and_b32_e32 v20, 0x3ff, v0
	v_bfe_u32 v16, v0, 10, 10
	s_waitcnt lgkmcnt(0)
	s_mul_i32 s0, s8, s19
	s_mul_hi_u32 s1, s8, s18
	s_add_i32 s1, s1, s0
	s_mul_i32 s0, s8, s18
	s_lshl_b64 s[10:11], s[0:1], 3
	s_add_u32 s0, s12, s10
	s_addc_u32 s1, s13, s11
	s_lshl_b64 s[44:45], s[14:15], 3
	s_add_u32 s2, s0, s44
	s_addc_u32 s3, s1, s45
	s_mul_i32 s0, s8, s43
	s_mul_hi_u32 s1, s8, s42
	s_add_i32 s1, s1, s0
	s_mul_i32 s0, s8, s42
	s_lshl_b64 s[0:1], s[0:1], 3
	s_add_u32 s9, s36, s0
	s_addc_u32 s14, s37, s1
	s_lshl_b64 s[0:1], s[38:39], 3
	s_add_u32 s31, s9, s0
	s_addc_u32 s48, s14, s1
	s_lshl_b32 s49, s6, 5
	v_add_u32_e32 v22, s49, v20
	v_ashrrev_i32_e32 v23, 31, v22
	v_mul_lo_u32 v2, v23, s16
	v_mul_lo_u32 v3, v22, s17
	v_mad_u64_u32 v[0:1], s[0:1], v22, s16, 0
	v_add3_u32 v1, v1, v3, v2
	v_lshlrev_b64 v[0:1], 3, v[0:1]
	v_mov_b32_e32 v2, s3
	v_add_co_u32_e32 v0, vcc, s2, v0
	v_addc_co_u32_e32 v1, vcc, v2, v1, vcc
	v_lshlrev_b32_e32 v2, 3, v16
	v_add_co_u32_e32 v17, vcc, v0, v2
	v_addc_co_u32_e32 v21, vcc, 0, v1, vcc
	v_add_co_u32_e32 v24, vcc, 16, v22
	v_addc_co_u32_e32 v25, vcc, 0, v23, vcc
	v_sub_co_u32_e32 v28, vcc, v22, v16
	s_cmp_gt_i32 s6, -1
	v_subbrev_co_u32_e32 v29, vcc, 0, v23, vcc
	s_cselect_b64 s[18:19], -1, 0
	s_cmpk_eq_i32 s28, 0x84
	v_add_co_u32_e32 v30, vcc, 16, v28
	s_cselect_b64 s[36:37], -1, 0
	s_ashr_i32 s39, s29, 31
	s_ashr_i32 s6, s30, 31
	v_addc_co_u32_e32 v31, vcc, 0, v29, vcc
	s_add_u32 s42, s29, -16
	v_add_co_u32_e32 v32, vcc, -16, v28
	s_addc_u32 s43, s39, -1
	v_addc_co_u32_e32 v33, vcc, -1, v29, vcc
	v_lshlrev_b64 v[34:35], 3, v[22:23]
	s_movk_i32 s28, 0x80
	v_lshlrev_b32_e32 v0, 8, v16
	v_lshlrev_b32_e32 v45, 3, v20
	v_add_co_u32_e32 v3, vcc, s28, v34
	s_add_u32 s10, s44, s10
	v_add_u32_e32 v47, v45, v0
	v_add_u32_e32 v49, 0x2000, v0
	v_addc_co_u32_e32 v0, vcc, 0, v35, vcc
	s_addc_u32 s11, s45, s11
	v_mul_lo_u32 v4, s16, v0
	v_pk_mov_b32 v[0:1], s[10:11], s[10:11] op_sel:[0,1]
	v_mad_u64_u32 v[0:1], s[10:11], s16, v3, v[0:1]
	s_mul_i32 s9, s27, s8
	s_mul_hi_u32 s10, s26, s8
	s_add_i32 s9, s10, s9
	s_mul_i32 s8, s26, s8
	v_mul_lo_u32 v5, s17, v3
	s_lshl_b64 s[8:9], s[8:9], 3
	s_lshl_b64 s[10:11], s[22:23], 3
	v_add3_u32 v1, v5, v1, v4
	v_add_co_u32_e32 v0, vcc, v0, v2
	s_add_u32 s8, s8, s10
	v_addc_co_u32_e32 v1, vcc, 0, v1, vcc
	s_addc_u32 s9, s9, s11
	s_load_dword s50, s[4:5], 0x8c
	v_mov_b32_e32 v2, s13
	v_add_co_u32_e32 v53, vcc, s12, v0
	s_add_u32 s8, s20, s8
	v_addc_co_u32_e32 v55, vcc, v2, v1, vcc
	s_addc_u32 s9, s21, s9
	v_mov_b32_e32 v0, s9
	v_add_co_u32_e32 v1, vcc, s8, v45
	v_addc_co_u32_e32 v0, vcc, 0, v0, vcc
	s_mov_b32 s38, s29
	v_add_u32_e32 v26, 16, v22
	v_add_co_u32_e32 v36, vcc, s28, v1
	v_mov_b32_e32 v19, 0
	v_cmp_le_i32_e64 s[0:1], s29, v22
	v_cmp_le_i64_e64 s[2:3], s[38:39], v[24:25]
	v_add_u32_e32 v51, v49, v45
	v_cmp_gt_i32_e64 s[4:5], s29, v22
	v_cmp_gt_i32_e64 s[14:15], s29, v26
	v_ashrrev_i32_e32 v27, 31, v26
	v_addc_co_u32_e32 v37, vcc, 0, v0, vcc
	s_lshl_b64 s[20:21], s[24:25], 3
	v_lshl_add_u32 v38, s7, 5, v16
	s_waitcnt lgkmcnt(0)
	s_lshl_b32 s51, s50, 5
	v_mov_b32_e32 v18, 1.0
	s_branch .LBB83_4
.LBB83_3:                               ;   in Loop: Header=BB83_4 Depth=1
	s_or_b64 exec, exec, s[8:9]
	s_add_i32 s7, s50, s7
	s_cmp_le_i32 s7, s33
	v_add_u32_e32 v38, s51, v38
	s_cbranch_scc0 .LBB83_63
.LBB83_4:                               ; =>This Loop Header: Depth=1
                                        ;     Child Loop BB83_7 Depth 2
	v_lshl_add_u32 v56, s7, 5, v16
	v_ashrrev_i32_e32 v57, 31, v56
	s_andn2_b64 vcc, exec, s[18:19]
	v_mov_b32_e32 v52, v19
	v_mov_b32_e32 v54, v19
	v_mov_b32_e32 v48, v19
	v_mov_b32_e32 v50, v19
	v_mov_b32_e32 v44, v19
	v_mov_b32_e32 v46, v19
	v_mov_b32_e32 v14, v19
	v_mov_b32_e32 v12, v19
	s_cbranch_vccnz .LBB83_55
; %bb.5:                                ;   in Loop: Header=BB83_4 Depth=1
	v_ashrrev_i32_e32 v39, 31, v38
	v_mad_u64_u32 v[40:41], s[8:9], s20, v38, v[36:37]
	v_mul_lo_u32 v0, s21, v38
	v_mul_lo_u32 v1, s20, v39
	v_add3_u32 v41, v0, v41, v1
	v_lshlrev_b64 v[0:1], 3, v[38:39]
	v_add_co_u32_e32 v0, vcc, 0x80, v0
	v_addc_co_u32_e32 v1, vcc, 0, v1, vcc
	v_mul_lo_u32 v1, s24, v1
	v_mul_lo_u32 v2, s25, v0
	v_mad_u64_u32 v[42:43], s[8:9], s24, v0, v[36:37]
	v_add3_u32 v43, v2, v43, v1
	v_mov_b32_e32 v1, s6
	v_sub_co_u32_e32 v0, vcc, s30, v56
	v_subb_co_u32_e32 v1, vcc, v1, v57, vcc
	s_mov_b64 s[22:23], 0
	v_cmp_lt_i64_e32 vcc, 0, v[0:1]
	v_cmp_lt_i64_e64 s[8:9], 16, v[0:1]
	v_mov_b32_e32 v12, 0
	s_mov_b64 s[26:27], 0
	v_mov_b32_e32 v14, 0
	v_mov_b32_e32 v46, 0
	;; [unrolled: 1-line block ×7, first 2 shown]
	s_branch .LBB83_7
.LBB83_6:                               ;   in Loop: Header=BB83_7 Depth=2
	s_or_b64 exec, exec, s[12:13]
	s_waitcnt lgkmcnt(0)
	s_barrier
	ds_read_b128 v[58:61], v49
	ds_read_b128 v[8:11], v49 offset:16
	ds_read_b128 v[4:7], v49 offset:32
	;; [unrolled: 1-line block ×3, first 2 shown]
	ds_read2_b64 v[62:65], v45 offset1:16
	ds_read_b128 v[66:69], v49 offset:4096
	s_add_u32 s26, s26, 32
	s_addc_u32 s27, s27, 0
	s_sub_i32 s10, s26, 32
	s_waitcnt lgkmcnt(1)
	v_mul_f32_e32 v13, v59, v63
	v_mul_f32_e32 v15, v58, v63
	v_fma_f32 v13, v58, v62, -v13
	v_fmac_f32_e32 v15, v59, v62
	v_add_f32_e32 v39, v52, v13
	v_add_f32_e32 v52, v54, v15
	v_mul_f32_e32 v13, v59, v65
	v_mul_f32_e32 v15, v58, v65
	v_fma_f32 v13, v58, v64, -v13
	v_fmac_f32_e32 v15, v59, v64
	v_add_f32_e32 v48, v48, v13
	v_add_f32_e32 v50, v50, v15
	s_waitcnt lgkmcnt(0)
	v_mul_f32_e32 v13, v67, v63
	v_mul_f32_e32 v15, v66, v63
	v_fma_f32 v13, v66, v62, -v13
	v_fmac_f32_e32 v15, v67, v62
	v_add_f32_e32 v44, v44, v13
	v_add_f32_e32 v46, v46, v15
	v_mul_f32_e32 v13, v67, v65
	v_mul_f32_e32 v15, v66, v65
	v_fma_f32 v13, v66, v64, -v13
	v_fmac_f32_e32 v15, v67, v64
	v_add_f32_e32 v54, v14, v13
	v_add_f32_e32 v58, v12, v15
	ds_read2_b64 v[12:15], v45 offset0:32 offset1:48
	s_add_u32 s22, s22, 0x100
	s_addc_u32 s23, s23, 0
	s_cmp_ge_i32 s10, s49
	s_waitcnt lgkmcnt(0)
	v_mul_f32_e32 v59, v61, v13
	v_fma_f32 v59, v60, v12, -v59
	v_add_f32_e32 v39, v39, v59
	v_mul_f32_e32 v59, v61, v15
	v_fma_f32 v59, v60, v14, -v59
	v_mul_f32_e32 v62, v60, v13
	v_add_f32_e32 v48, v48, v59
	v_mul_f32_e32 v59, v69, v13
	v_mul_f32_e32 v13, v68, v13
	v_fmac_f32_e32 v13, v69, v12
	v_fmac_f32_e32 v62, v61, v12
	v_fma_f32 v59, v68, v12, -v59
	v_add_f32_e32 v46, v46, v13
	v_mul_f32_e32 v12, v69, v15
	v_mul_f32_e32 v13, v68, v15
	;; [unrolled: 1-line block ×3, first 2 shown]
	v_fma_f32 v12, v68, v14, -v12
	v_fmac_f32_e32 v13, v69, v14
	v_add_f32_e32 v52, v52, v62
	v_fmac_f32_e32 v60, v61, v14
	v_add_f32_e32 v54, v54, v12
	v_add_f32_e32 v62, v58, v13
	ds_read2_b64 v[12:15], v45 offset0:64 offset1:80
	v_add_f32_e32 v44, v44, v59
	v_add_f32_e32 v50, v50, v60
	s_waitcnt lgkmcnt(0)
	v_mul_f32_e32 v58, v9, v13
	v_fma_f32 v58, v8, v12, -v58
	v_mul_f32_e32 v59, v8, v13
	v_add_f32_e32 v39, v39, v58
	v_mul_f32_e32 v58, v9, v15
	v_fmac_f32_e32 v59, v9, v12
	v_fma_f32 v58, v8, v14, -v58
	v_mul_f32_e32 v8, v8, v15
	v_add_f32_e32 v52, v52, v59
	v_fmac_f32_e32 v8, v9, v14
	v_add_f32_e32 v9, v48, v58
	ds_read_b128 v[58:61], v49 offset:4112
	v_add_f32_e32 v8, v50, v8
	s_waitcnt lgkmcnt(0)
	v_mul_f32_e32 v48, v59, v13
	v_mul_f32_e32 v13, v58, v13
	v_fmac_f32_e32 v13, v59, v12
	v_fma_f32 v48, v58, v12, -v48
	v_add_f32_e32 v46, v46, v13
	v_mul_f32_e32 v12, v59, v15
	v_mul_f32_e32 v13, v58, v15
	v_fma_f32 v12, v58, v14, -v12
	v_fmac_f32_e32 v13, v59, v14
	v_add_f32_e32 v44, v44, v48
	v_add_f32_e32 v48, v54, v12
	;; [unrolled: 1-line block ×3, first 2 shown]
	ds_read2_b64 v[12:15], v45 offset0:96 offset1:112
	s_waitcnt lgkmcnt(0)
	v_mul_f32_e32 v54, v11, v13
	v_fma_f32 v54, v10, v12, -v54
	v_add_f32_e32 v39, v39, v54
	v_mul_f32_e32 v54, v11, v15
	v_mul_f32_e32 v58, v10, v13
	v_fma_f32 v54, v10, v14, -v54
	v_mul_f32_e32 v10, v10, v15
	v_fmac_f32_e32 v58, v11, v12
	v_fmac_f32_e32 v10, v11, v14
	v_add_f32_e32 v52, v52, v58
	v_add_f32_e32 v54, v9, v54
	;; [unrolled: 1-line block ×3, first 2 shown]
	v_mul_f32_e32 v8, v61, v13
	v_mul_f32_e32 v9, v60, v13
	v_fma_f32 v8, v60, v12, -v8
	v_fmac_f32_e32 v9, v61, v12
	v_add_f32_e32 v44, v44, v8
	v_add_f32_e32 v46, v46, v9
	v_mul_f32_e32 v8, v61, v15
	v_mul_f32_e32 v9, v60, v15
	v_fma_f32 v8, v60, v14, -v8
	v_fmac_f32_e32 v9, v61, v14
	v_add_f32_e32 v48, v48, v8
	v_add_f32_e32 v50, v50, v9
	ds_read2_b64 v[8:11], v45 offset0:128 offset1:144
	s_waitcnt lgkmcnt(0)
	v_mul_f32_e32 v12, v5, v9
	v_fma_f32 v12, v4, v8, -v12
	v_mul_f32_e32 v13, v4, v9
	v_add_f32_e32 v39, v39, v12
	v_mul_f32_e32 v12, v5, v11
	v_fmac_f32_e32 v13, v5, v8
	v_fma_f32 v12, v4, v10, -v12
	v_mul_f32_e32 v4, v4, v11
	v_add_f32_e32 v52, v52, v13
	v_fmac_f32_e32 v4, v5, v10
	v_add_f32_e32 v5, v54, v12
	ds_read_b128 v[12:15], v49 offset:4128
	v_add_f32_e32 v4, v58, v4
	s_waitcnt lgkmcnt(0)
	v_mul_f32_e32 v54, v13, v9
	v_mul_f32_e32 v9, v12, v9
	v_fmac_f32_e32 v9, v13, v8
	v_fma_f32 v54, v12, v8, -v54
	v_add_f32_e32 v46, v46, v9
	v_mul_f32_e32 v8, v13, v11
	v_mul_f32_e32 v9, v12, v11
	v_fma_f32 v8, v12, v10, -v8
	v_fmac_f32_e32 v9, v13, v10
	v_add_f32_e32 v12, v48, v8
	v_add_f32_e32 v13, v50, v9
	ds_read2_b64 v[8:11], v45 offset0:160 offset1:176
	v_add_f32_e32 v44, v44, v54
	s_waitcnt lgkmcnt(0)
	v_mul_f32_e32 v48, v7, v9
	v_mul_f32_e32 v50, v6, v9
	v_fma_f32 v48, v6, v8, -v48
	v_fmac_f32_e32 v50, v7, v8
	v_add_f32_e32 v39, v39, v48
	v_add_f32_e32 v48, v52, v50
	v_mul_f32_e32 v50, v7, v11
	v_fma_f32 v50, v6, v10, -v50
	v_mul_f32_e32 v6, v6, v11
	v_fmac_f32_e32 v6, v7, v10
	v_add_f32_e32 v50, v5, v50
	v_add_f32_e32 v52, v4, v6
	v_mul_f32_e32 v4, v15, v9
	v_mul_f32_e32 v5, v14, v9
	v_fma_f32 v4, v14, v8, -v4
	v_fmac_f32_e32 v5, v15, v8
	v_add_f32_e32 v44, v44, v4
	v_add_f32_e32 v46, v46, v5
	v_mul_f32_e32 v4, v15, v11
	v_mul_f32_e32 v5, v14, v11
	v_fma_f32 v4, v14, v10, -v4
	v_fmac_f32_e32 v5, v15, v10
	v_add_f32_e32 v12, v12, v4
	v_add_f32_e32 v13, v13, v5
	ds_read2_b64 v[4:7], v45 offset0:192 offset1:208
	s_waitcnt lgkmcnt(0)
	v_mul_f32_e32 v8, v1, v5
	v_fma_f32 v8, v0, v4, -v8
	v_mul_f32_e32 v9, v0, v5
	v_add_f32_e32 v14, v39, v8
	v_mul_f32_e32 v8, v1, v7
	v_fmac_f32_e32 v9, v1, v4
	v_fma_f32 v8, v0, v6, -v8
	v_mul_f32_e32 v0, v0, v7
	v_add_f32_e32 v15, v48, v9
	v_fmac_f32_e32 v0, v1, v6
	v_add_f32_e32 v1, v50, v8
	ds_read_b128 v[8:11], v49 offset:4144
	v_add_f32_e32 v0, v52, v0
	s_waitcnt lgkmcnt(0)
	v_mul_f32_e32 v39, v9, v5
	v_mul_f32_e32 v5, v8, v5
	v_fma_f32 v39, v8, v4, -v39
	v_fmac_f32_e32 v5, v9, v4
	v_add_f32_e32 v39, v44, v39
	v_add_f32_e32 v44, v46, v5
	v_mul_f32_e32 v4, v9, v7
	v_mul_f32_e32 v5, v8, v7
	v_fma_f32 v4, v8, v6, -v4
	v_fmac_f32_e32 v5, v9, v6
	v_add_f32_e32 v8, v12, v4
	v_add_f32_e32 v9, v13, v5
	ds_read2_b64 v[4:7], v45 offset0:224 offset1:240
	s_waitcnt lgkmcnt(0)
	v_mul_f32_e32 v12, v3, v5
	v_fma_f32 v12, v2, v4, -v12
	v_add_f32_e32 v12, v14, v12
	v_mul_f32_e32 v14, v3, v7
	v_mul_f32_e32 v13, v2, v5
	v_fma_f32 v14, v2, v6, -v14
	v_mul_f32_e32 v2, v2, v7
	v_fmac_f32_e32 v13, v3, v4
	v_fmac_f32_e32 v2, v3, v6
	v_add_f32_e32 v13, v15, v13
	v_add_f32_e32 v14, v1, v14
	;; [unrolled: 1-line block ×3, first 2 shown]
	v_mul_f32_e32 v0, v11, v5
	v_mul_f32_e32 v1, v10, v5
	v_fma_f32 v0, v10, v4, -v0
	v_fmac_f32_e32 v1, v11, v4
	v_add_f32_e32 v5, v39, v0
	v_add_f32_e32 v39, v44, v1
	v_mul_f32_e32 v0, v11, v7
	v_mul_f32_e32 v1, v10, v7
	v_fma_f32 v0, v10, v6, -v0
	v_fmac_f32_e32 v1, v11, v6
	v_add_u32_e32 v4, 0x800, v45
	v_add_f32_e32 v44, v8, v0
	v_add_f32_e32 v46, v9, v1
	ds_read_b128 v[0:3], v49 offset:64
	ds_read2_b64 v[6:9], v4 offset1:16
	s_waitcnt lgkmcnt(0)
	v_mul_f32_e32 v10, v1, v7
	v_fma_f32 v10, v0, v6, -v10
	v_mul_f32_e32 v11, v0, v7
	v_add_f32_e32 v48, v12, v10
	v_mul_f32_e32 v10, v1, v9
	v_fmac_f32_e32 v11, v1, v6
	v_fma_f32 v10, v0, v8, -v10
	v_mul_f32_e32 v0, v0, v9
	v_add_f32_e32 v50, v13, v11
	v_fmac_f32_e32 v0, v1, v8
	v_add_f32_e32 v1, v14, v10
	ds_read_b128 v[10:13], v49 offset:4160
	v_add_f32_e32 v0, v15, v0
	s_waitcnt lgkmcnt(0)
	v_mul_f32_e32 v14, v11, v7
	v_mul_f32_e32 v7, v10, v7
	v_fma_f32 v14, v10, v6, -v14
	v_fmac_f32_e32 v7, v11, v6
	v_add_f32_e32 v5, v5, v14
	v_add_f32_e32 v14, v39, v7
	v_mul_f32_e32 v6, v11, v9
	v_mul_f32_e32 v7, v10, v9
	v_fma_f32 v6, v10, v8, -v6
	v_fmac_f32_e32 v7, v11, v8
	v_add_f32_e32 v10, v44, v6
	v_add_f32_e32 v11, v46, v7
	ds_read2_b64 v[6:9], v4 offset0:32 offset1:48
	s_waitcnt lgkmcnt(0)
	v_mul_f32_e32 v15, v3, v7
	v_mul_f32_e32 v44, v3, v9
	v_fma_f32 v15, v2, v6, -v15
	v_mul_f32_e32 v39, v2, v7
	v_fma_f32 v44, v2, v8, -v44
	v_mul_f32_e32 v2, v2, v9
	v_fmac_f32_e32 v2, v3, v8
	v_add_f32_e32 v44, v1, v44
	v_add_f32_e32 v46, v0, v2
	v_mul_f32_e32 v0, v13, v7
	v_mul_f32_e32 v1, v12, v7
	v_fma_f32 v0, v12, v6, -v0
	v_fmac_f32_e32 v1, v13, v6
	v_add_f32_e32 v5, v5, v0
	v_add_f32_e32 v14, v14, v1
	v_mul_f32_e32 v0, v13, v9
	v_mul_f32_e32 v1, v12, v9
	v_fmac_f32_e32 v39, v3, v6
	v_fma_f32 v0, v12, v8, -v0
	v_fmac_f32_e32 v1, v13, v8
	v_add_f32_e32 v15, v48, v15
	v_add_f32_e32 v39, v50, v39
	;; [unrolled: 1-line block ×4, first 2 shown]
	ds_read_b128 v[0:3], v49 offset:80
	ds_read2_b64 v[6:9], v4 offset0:64 offset1:80
	s_waitcnt lgkmcnt(0)
	v_mul_f32_e32 v10, v1, v7
	v_fma_f32 v10, v0, v6, -v10
	v_mul_f32_e32 v11, v0, v7
	v_add_f32_e32 v15, v15, v10
	v_mul_f32_e32 v10, v1, v9
	v_fmac_f32_e32 v11, v1, v6
	v_fma_f32 v10, v0, v8, -v10
	v_mul_f32_e32 v0, v0, v9
	v_add_f32_e32 v39, v39, v11
	v_fmac_f32_e32 v0, v1, v8
	v_add_f32_e32 v1, v44, v10
	ds_read_b128 v[10:13], v49 offset:4176
	v_add_f32_e32 v0, v46, v0
	s_waitcnt lgkmcnt(0)
	v_mul_f32_e32 v44, v11, v7
	v_mul_f32_e32 v7, v10, v7
	v_fmac_f32_e32 v7, v11, v6
	v_fma_f32 v44, v10, v6, -v44
	v_add_f32_e32 v14, v14, v7
	v_mul_f32_e32 v6, v11, v9
	v_mul_f32_e32 v7, v10, v9
	v_fma_f32 v6, v10, v8, -v6
	v_fmac_f32_e32 v7, v11, v8
	v_add_f32_e32 v10, v48, v6
	v_add_f32_e32 v11, v50, v7
	ds_read2_b64 v[6:9], v4 offset0:96 offset1:112
	v_add_f32_e32 v5, v5, v44
	s_waitcnt lgkmcnt(0)
	v_mul_f32_e32 v44, v3, v7
	v_fma_f32 v44, v2, v6, -v44
	v_add_f32_e32 v15, v15, v44
	v_mul_f32_e32 v44, v3, v9
	v_mul_f32_e32 v46, v2, v7
	v_fma_f32 v44, v2, v8, -v44
	v_mul_f32_e32 v2, v2, v9
	v_fmac_f32_e32 v46, v3, v6
	v_fmac_f32_e32 v2, v3, v8
	v_add_f32_e32 v39, v39, v46
	v_add_f32_e32 v44, v1, v44
	;; [unrolled: 1-line block ×3, first 2 shown]
	v_mul_f32_e32 v0, v13, v7
	v_mul_f32_e32 v1, v12, v7
	v_fma_f32 v0, v12, v6, -v0
	v_fmac_f32_e32 v1, v13, v6
	v_add_f32_e32 v5, v5, v0
	v_add_f32_e32 v14, v14, v1
	v_mul_f32_e32 v0, v13, v9
	v_mul_f32_e32 v1, v12, v9
	v_fma_f32 v0, v12, v8, -v0
	v_fmac_f32_e32 v1, v13, v8
	v_add_f32_e32 v48, v10, v0
	v_add_f32_e32 v50, v11, v1
	ds_read_b128 v[0:3], v49 offset:96
	ds_read2_b64 v[6:9], v4 offset0:128 offset1:144
	s_waitcnt lgkmcnt(0)
	v_mul_f32_e32 v10, v1, v7
	v_fma_f32 v10, v0, v6, -v10
	v_mul_f32_e32 v11, v0, v7
	v_add_f32_e32 v15, v15, v10
	v_mul_f32_e32 v10, v1, v9
	v_fmac_f32_e32 v11, v1, v6
	v_fma_f32 v10, v0, v8, -v10
	v_mul_f32_e32 v0, v0, v9
	v_add_f32_e32 v39, v39, v11
	v_fmac_f32_e32 v0, v1, v8
	v_add_f32_e32 v1, v44, v10
	ds_read_b128 v[10:13], v49 offset:4192
	v_add_f32_e32 v0, v46, v0
	s_waitcnt lgkmcnt(0)
	v_mul_f32_e32 v44, v11, v7
	v_mul_f32_e32 v7, v10, v7
	v_fmac_f32_e32 v7, v11, v6
	v_fma_f32 v44, v10, v6, -v44
	v_add_f32_e32 v14, v14, v7
	v_mul_f32_e32 v6, v11, v9
	v_mul_f32_e32 v7, v10, v9
	v_fma_f32 v6, v10, v8, -v6
	v_fmac_f32_e32 v7, v11, v8
	v_add_f32_e32 v10, v48, v6
	v_add_f32_e32 v11, v50, v7
	ds_read2_b64 v[6:9], v4 offset0:160 offset1:176
	v_add_f32_e32 v5, v5, v44
	s_waitcnt lgkmcnt(0)
	v_mul_f32_e32 v44, v3, v7
	v_fma_f32 v44, v2, v6, -v44
	v_add_f32_e32 v15, v15, v44
	v_mul_f32_e32 v44, v3, v9
	v_mul_f32_e32 v46, v2, v7
	v_fma_f32 v44, v2, v8, -v44
	v_mul_f32_e32 v2, v2, v9
	v_fmac_f32_e32 v46, v3, v6
	v_fmac_f32_e32 v2, v3, v8
	v_add_f32_e32 v39, v39, v46
	v_add_f32_e32 v44, v1, v44
	;; [unrolled: 1-line block ×3, first 2 shown]
	v_mul_f32_e32 v0, v13, v7
	v_mul_f32_e32 v1, v12, v7
	v_fma_f32 v0, v12, v6, -v0
	v_fmac_f32_e32 v1, v13, v6
	v_add_f32_e32 v5, v5, v0
	v_add_f32_e32 v14, v14, v1
	v_mul_f32_e32 v0, v13, v9
	v_mul_f32_e32 v1, v12, v9
	v_fma_f32 v0, v12, v8, -v0
	v_fmac_f32_e32 v1, v13, v8
	v_add_f32_e32 v48, v10, v0
	v_add_f32_e32 v50, v11, v1
	ds_read_b128 v[0:3], v49 offset:112
	ds_read2_b64 v[6:9], v4 offset0:192 offset1:208
	s_waitcnt lgkmcnt(0)
	v_mul_f32_e32 v10, v1, v7
	v_fma_f32 v10, v0, v6, -v10
	v_mul_f32_e32 v11, v0, v7
	v_add_f32_e32 v15, v15, v10
	v_mul_f32_e32 v10, v1, v9
	v_fmac_f32_e32 v11, v1, v6
	v_fma_f32 v10, v0, v8, -v10
	v_mul_f32_e32 v0, v0, v9
	v_add_f32_e32 v39, v39, v11
	v_fmac_f32_e32 v0, v1, v8
	v_add_f32_e32 v1, v44, v10
	ds_read_b128 v[10:13], v49 offset:4208
	v_add_f32_e32 v0, v46, v0
	s_waitcnt lgkmcnt(0)
	v_mul_f32_e32 v44, v11, v7
	v_fma_f32 v44, v10, v6, -v44
	v_mul_f32_e32 v7, v10, v7
	v_fmac_f32_e32 v7, v11, v6
	v_add_f32_e32 v44, v5, v44
	v_mul_f32_e32 v5, v11, v9
	v_mul_f32_e32 v6, v10, v9
	v_fma_f32 v5, v10, v8, -v5
	v_fmac_f32_e32 v6, v11, v8
	v_add_f32_e32 v14, v14, v7
	v_add_f32_e32 v8, v48, v5
	;; [unrolled: 1-line block ×3, first 2 shown]
	ds_read2_b64 v[4:7], v4 offset0:224 offset1:240
	s_waitcnt lgkmcnt(0)
	v_mul_f32_e32 v10, v3, v5
	v_fma_f32 v10, v2, v4, -v10
	v_add_f32_e32 v10, v15, v10
	v_mul_f32_e32 v15, v3, v7
	v_mul_f32_e32 v11, v2, v5
	v_fma_f32 v15, v2, v6, -v15
	v_mul_f32_e32 v2, v2, v7
	v_fmac_f32_e32 v11, v3, v4
	v_fmac_f32_e32 v2, v3, v6
	v_add_f32_e32 v11, v39, v11
	v_add_f32_e32 v15, v1, v15
	;; [unrolled: 1-line block ×3, first 2 shown]
	v_mul_f32_e32 v0, v13, v5
	v_mul_f32_e32 v1, v12, v5
	v_fma_f32 v0, v12, v4, -v0
	v_fmac_f32_e32 v1, v13, v4
	v_add_f32_e32 v5, v44, v0
	v_add_f32_e32 v14, v14, v1
	v_mul_f32_e32 v0, v13, v7
	v_mul_f32_e32 v1, v12, v7
	v_fma_f32 v0, v12, v6, -v0
	v_fmac_f32_e32 v1, v13, v6
	v_add_u32_e32 v4, 0x1000, v45
	v_add_f32_e32 v44, v8, v0
	v_add_f32_e32 v46, v9, v1
	ds_read_b128 v[0:3], v49 offset:128
	ds_read2_b64 v[6:9], v4 offset1:16
	s_waitcnt lgkmcnt(0)
	v_mul_f32_e32 v12, v1, v7
	v_fma_f32 v12, v0, v6, -v12
	v_mul_f32_e32 v13, v0, v7
	v_add_f32_e32 v48, v10, v12
	v_mul_f32_e32 v10, v1, v9
	v_fmac_f32_e32 v13, v1, v6
	v_fma_f32 v10, v0, v8, -v10
	v_mul_f32_e32 v0, v0, v9
	v_add_f32_e32 v50, v11, v13
	v_fmac_f32_e32 v0, v1, v8
	v_add_f32_e32 v1, v15, v10
	ds_read_b128 v[10:13], v49 offset:4224
	v_add_f32_e32 v0, v39, v0
	s_waitcnt lgkmcnt(0)
	v_mul_f32_e32 v15, v11, v7
	v_mul_f32_e32 v7, v10, v7
	v_fmac_f32_e32 v7, v11, v6
	v_fma_f32 v15, v10, v6, -v15
	v_add_f32_e32 v14, v14, v7
	v_mul_f32_e32 v6, v11, v9
	v_mul_f32_e32 v7, v10, v9
	v_fma_f32 v6, v10, v8, -v6
	v_fmac_f32_e32 v7, v11, v8
	v_add_f32_e32 v10, v44, v6
	v_add_f32_e32 v11, v46, v7
	ds_read2_b64 v[6:9], v4 offset0:32 offset1:48
	v_add_f32_e32 v5, v5, v15
	s_waitcnt lgkmcnt(0)
	v_mul_f32_e32 v15, v3, v7
	v_mul_f32_e32 v44, v3, v9
	v_fma_f32 v15, v2, v6, -v15
	v_mul_f32_e32 v39, v2, v7
	v_fma_f32 v44, v2, v8, -v44
	v_mul_f32_e32 v2, v2, v9
	v_fmac_f32_e32 v2, v3, v8
	v_add_f32_e32 v44, v1, v44
	v_add_f32_e32 v46, v0, v2
	v_mul_f32_e32 v0, v13, v7
	v_mul_f32_e32 v1, v12, v7
	v_fma_f32 v0, v12, v6, -v0
	v_fmac_f32_e32 v1, v13, v6
	v_add_f32_e32 v5, v5, v0
	v_add_f32_e32 v14, v14, v1
	v_mul_f32_e32 v0, v13, v9
	v_mul_f32_e32 v1, v12, v9
	v_fmac_f32_e32 v39, v3, v6
	v_fma_f32 v0, v12, v8, -v0
	v_fmac_f32_e32 v1, v13, v8
	v_add_f32_e32 v15, v48, v15
	v_add_f32_e32 v39, v50, v39
	;; [unrolled: 1-line block ×4, first 2 shown]
	ds_read_b128 v[0:3], v49 offset:144
	ds_read2_b64 v[6:9], v4 offset0:64 offset1:80
	s_waitcnt lgkmcnt(0)
	v_mul_f32_e32 v10, v1, v7
	v_fma_f32 v10, v0, v6, -v10
	v_mul_f32_e32 v11, v0, v7
	v_add_f32_e32 v15, v15, v10
	v_mul_f32_e32 v10, v1, v9
	v_fmac_f32_e32 v11, v1, v6
	v_fma_f32 v10, v0, v8, -v10
	v_mul_f32_e32 v0, v0, v9
	v_add_f32_e32 v39, v39, v11
	v_fmac_f32_e32 v0, v1, v8
	v_add_f32_e32 v1, v44, v10
	ds_read_b128 v[10:13], v49 offset:4240
	v_add_f32_e32 v0, v46, v0
	s_waitcnt lgkmcnt(0)
	v_mul_f32_e32 v44, v11, v7
	v_mul_f32_e32 v7, v10, v7
	v_fmac_f32_e32 v7, v11, v6
	v_fma_f32 v44, v10, v6, -v44
	v_add_f32_e32 v14, v14, v7
	v_mul_f32_e32 v6, v11, v9
	v_mul_f32_e32 v7, v10, v9
	v_fma_f32 v6, v10, v8, -v6
	v_fmac_f32_e32 v7, v11, v8
	v_add_f32_e32 v10, v48, v6
	v_add_f32_e32 v11, v50, v7
	ds_read2_b64 v[6:9], v4 offset0:96 offset1:112
	v_add_f32_e32 v5, v5, v44
	s_waitcnt lgkmcnt(0)
	v_mul_f32_e32 v44, v3, v7
	v_fma_f32 v44, v2, v6, -v44
	v_add_f32_e32 v15, v15, v44
	v_mul_f32_e32 v44, v3, v9
	v_mul_f32_e32 v46, v2, v7
	v_fma_f32 v44, v2, v8, -v44
	v_mul_f32_e32 v2, v2, v9
	v_fmac_f32_e32 v46, v3, v6
	v_fmac_f32_e32 v2, v3, v8
	v_add_f32_e32 v39, v39, v46
	v_add_f32_e32 v44, v1, v44
	;; [unrolled: 1-line block ×3, first 2 shown]
	v_mul_f32_e32 v0, v13, v7
	v_mul_f32_e32 v1, v12, v7
	v_fma_f32 v0, v12, v6, -v0
	v_fmac_f32_e32 v1, v13, v6
	v_add_f32_e32 v5, v5, v0
	v_add_f32_e32 v14, v14, v1
	v_mul_f32_e32 v0, v13, v9
	v_mul_f32_e32 v1, v12, v9
	v_fma_f32 v0, v12, v8, -v0
	v_fmac_f32_e32 v1, v13, v8
	v_add_f32_e32 v48, v10, v0
	v_add_f32_e32 v50, v11, v1
	ds_read_b128 v[0:3], v49 offset:160
	ds_read2_b64 v[6:9], v4 offset0:128 offset1:144
	s_waitcnt lgkmcnt(0)
	v_mul_f32_e32 v10, v1, v7
	v_fma_f32 v10, v0, v6, -v10
	v_mul_f32_e32 v11, v0, v7
	v_add_f32_e32 v15, v15, v10
	v_mul_f32_e32 v10, v1, v9
	v_fmac_f32_e32 v11, v1, v6
	v_fma_f32 v10, v0, v8, -v10
	v_mul_f32_e32 v0, v0, v9
	v_add_f32_e32 v39, v39, v11
	v_fmac_f32_e32 v0, v1, v8
	v_add_f32_e32 v1, v44, v10
	ds_read_b128 v[10:13], v49 offset:4256
	v_add_f32_e32 v0, v46, v0
	s_waitcnt lgkmcnt(0)
	v_mul_f32_e32 v44, v11, v7
	v_mul_f32_e32 v7, v10, v7
	v_fmac_f32_e32 v7, v11, v6
	v_fma_f32 v44, v10, v6, -v44
	v_add_f32_e32 v14, v14, v7
	v_mul_f32_e32 v6, v11, v9
	v_mul_f32_e32 v7, v10, v9
	v_fma_f32 v6, v10, v8, -v6
	v_fmac_f32_e32 v7, v11, v8
	v_add_f32_e32 v10, v48, v6
	v_add_f32_e32 v11, v50, v7
	ds_read2_b64 v[6:9], v4 offset0:160 offset1:176
	v_add_f32_e32 v5, v5, v44
	s_waitcnt lgkmcnt(0)
	v_mul_f32_e32 v44, v3, v7
	v_fma_f32 v44, v2, v6, -v44
	v_add_f32_e32 v15, v15, v44
	v_mul_f32_e32 v44, v3, v9
	v_mul_f32_e32 v46, v2, v7
	v_fma_f32 v44, v2, v8, -v44
	v_mul_f32_e32 v2, v2, v9
	v_fmac_f32_e32 v46, v3, v6
	v_fmac_f32_e32 v2, v3, v8
	v_add_f32_e32 v39, v39, v46
	v_add_f32_e32 v44, v1, v44
	;; [unrolled: 1-line block ×3, first 2 shown]
	v_mul_f32_e32 v0, v13, v7
	v_mul_f32_e32 v1, v12, v7
	v_fma_f32 v0, v12, v6, -v0
	v_fmac_f32_e32 v1, v13, v6
	v_add_f32_e32 v5, v5, v0
	v_add_f32_e32 v14, v14, v1
	v_mul_f32_e32 v0, v13, v9
	v_mul_f32_e32 v1, v12, v9
	v_fma_f32 v0, v12, v8, -v0
	v_fmac_f32_e32 v1, v13, v8
	v_add_f32_e32 v48, v10, v0
	v_add_f32_e32 v50, v11, v1
	ds_read_b128 v[0:3], v49 offset:176
	ds_read2_b64 v[6:9], v4 offset0:192 offset1:208
	s_waitcnt lgkmcnt(0)
	v_mul_f32_e32 v10, v1, v7
	v_fma_f32 v10, v0, v6, -v10
	v_mul_f32_e32 v11, v0, v7
	v_add_f32_e32 v15, v15, v10
	v_mul_f32_e32 v10, v1, v9
	v_fmac_f32_e32 v11, v1, v6
	v_fma_f32 v10, v0, v8, -v10
	v_mul_f32_e32 v0, v0, v9
	v_add_f32_e32 v39, v39, v11
	v_fmac_f32_e32 v0, v1, v8
	v_add_f32_e32 v1, v44, v10
	ds_read_b128 v[10:13], v49 offset:4272
	v_add_f32_e32 v0, v46, v0
	s_waitcnt lgkmcnt(0)
	v_mul_f32_e32 v44, v11, v7
	v_fma_f32 v44, v10, v6, -v44
	v_mul_f32_e32 v7, v10, v7
	v_fmac_f32_e32 v7, v11, v6
	v_add_f32_e32 v44, v5, v44
	v_mul_f32_e32 v5, v11, v9
	v_mul_f32_e32 v6, v10, v9
	v_fma_f32 v5, v10, v8, -v5
	v_fmac_f32_e32 v6, v11, v8
	v_add_f32_e32 v14, v14, v7
	v_add_f32_e32 v8, v48, v5
	;; [unrolled: 1-line block ×3, first 2 shown]
	ds_read2_b64 v[4:7], v4 offset0:224 offset1:240
	s_waitcnt lgkmcnt(0)
	v_mul_f32_e32 v10, v3, v5
	v_fma_f32 v10, v2, v4, -v10
	v_add_f32_e32 v10, v15, v10
	v_mul_f32_e32 v15, v3, v7
	v_mul_f32_e32 v11, v2, v5
	v_fma_f32 v15, v2, v6, -v15
	v_mul_f32_e32 v2, v2, v7
	v_fmac_f32_e32 v11, v3, v4
	v_fmac_f32_e32 v2, v3, v6
	v_add_f32_e32 v11, v39, v11
	v_add_f32_e32 v15, v1, v15
	;; [unrolled: 1-line block ×3, first 2 shown]
	v_mul_f32_e32 v0, v13, v5
	v_mul_f32_e32 v1, v12, v5
	v_fma_f32 v0, v12, v4, -v0
	v_fmac_f32_e32 v1, v13, v4
	v_add_f32_e32 v5, v44, v0
	v_add_f32_e32 v14, v14, v1
	v_mul_f32_e32 v0, v13, v7
	v_mul_f32_e32 v1, v12, v7
	v_fma_f32 v0, v12, v6, -v0
	v_fmac_f32_e32 v1, v13, v6
	v_add_u32_e32 v4, 0x1800, v45
	v_add_f32_e32 v44, v8, v0
	v_add_f32_e32 v46, v9, v1
	ds_read_b128 v[0:3], v49 offset:192
	ds_read2_b64 v[6:9], v4 offset1:16
	s_waitcnt lgkmcnt(0)
	v_mul_f32_e32 v12, v1, v7
	v_fma_f32 v12, v0, v6, -v12
	v_mul_f32_e32 v13, v0, v7
	v_add_f32_e32 v48, v10, v12
	v_mul_f32_e32 v10, v1, v9
	v_fmac_f32_e32 v13, v1, v6
	v_fma_f32 v10, v0, v8, -v10
	v_mul_f32_e32 v0, v0, v9
	v_add_f32_e32 v50, v11, v13
	v_fmac_f32_e32 v0, v1, v8
	v_add_f32_e32 v1, v15, v10
	ds_read_b128 v[10:13], v49 offset:4288
	v_add_f32_e32 v0, v39, v0
	s_waitcnt lgkmcnt(0)
	v_mul_f32_e32 v15, v11, v7
	v_mul_f32_e32 v7, v10, v7
	v_fmac_f32_e32 v7, v11, v6
	v_fma_f32 v15, v10, v6, -v15
	v_add_f32_e32 v14, v14, v7
	v_mul_f32_e32 v6, v11, v9
	v_mul_f32_e32 v7, v10, v9
	v_fma_f32 v6, v10, v8, -v6
	v_fmac_f32_e32 v7, v11, v8
	v_add_f32_e32 v10, v44, v6
	v_add_f32_e32 v11, v46, v7
	ds_read2_b64 v[6:9], v4 offset0:32 offset1:48
	v_add_f32_e32 v5, v5, v15
	s_waitcnt lgkmcnt(0)
	v_mul_f32_e32 v15, v3, v7
	v_mul_f32_e32 v44, v3, v9
	v_fma_f32 v15, v2, v6, -v15
	v_mul_f32_e32 v39, v2, v7
	v_fma_f32 v44, v2, v8, -v44
	v_mul_f32_e32 v2, v2, v9
	v_fmac_f32_e32 v2, v3, v8
	v_add_f32_e32 v44, v1, v44
	v_add_f32_e32 v46, v0, v2
	v_mul_f32_e32 v0, v13, v7
	v_mul_f32_e32 v1, v12, v7
	v_fma_f32 v0, v12, v6, -v0
	v_fmac_f32_e32 v1, v13, v6
	v_add_f32_e32 v5, v5, v0
	v_add_f32_e32 v14, v14, v1
	v_mul_f32_e32 v0, v13, v9
	v_mul_f32_e32 v1, v12, v9
	v_fmac_f32_e32 v39, v3, v6
	v_fma_f32 v0, v12, v8, -v0
	v_fmac_f32_e32 v1, v13, v8
	v_add_f32_e32 v15, v48, v15
	v_add_f32_e32 v39, v50, v39
	v_add_f32_e32 v48, v10, v0
	v_add_f32_e32 v50, v11, v1
	ds_read_b128 v[0:3], v49 offset:208
	ds_read2_b64 v[6:9], v4 offset0:64 offset1:80
	s_waitcnt lgkmcnt(0)
	v_mul_f32_e32 v10, v1, v7
	v_fma_f32 v10, v0, v6, -v10
	v_mul_f32_e32 v11, v0, v7
	v_add_f32_e32 v15, v15, v10
	v_mul_f32_e32 v10, v1, v9
	v_fmac_f32_e32 v11, v1, v6
	v_fma_f32 v10, v0, v8, -v10
	v_mul_f32_e32 v0, v0, v9
	v_add_f32_e32 v39, v39, v11
	v_fmac_f32_e32 v0, v1, v8
	v_add_f32_e32 v1, v44, v10
	ds_read_b128 v[10:13], v49 offset:4304
	v_add_f32_e32 v0, v46, v0
	s_waitcnt lgkmcnt(0)
	v_mul_f32_e32 v44, v11, v7
	v_mul_f32_e32 v7, v10, v7
	v_fmac_f32_e32 v7, v11, v6
	v_fma_f32 v44, v10, v6, -v44
	v_add_f32_e32 v14, v14, v7
	v_mul_f32_e32 v6, v11, v9
	v_mul_f32_e32 v7, v10, v9
	v_fma_f32 v6, v10, v8, -v6
	v_fmac_f32_e32 v7, v11, v8
	v_add_f32_e32 v10, v48, v6
	v_add_f32_e32 v11, v50, v7
	ds_read2_b64 v[6:9], v4 offset0:96 offset1:112
	v_add_f32_e32 v5, v5, v44
	s_waitcnt lgkmcnt(0)
	v_mul_f32_e32 v44, v3, v7
	v_fma_f32 v44, v2, v6, -v44
	v_add_f32_e32 v15, v15, v44
	v_mul_f32_e32 v44, v3, v9
	v_mul_f32_e32 v46, v2, v7
	v_fma_f32 v44, v2, v8, -v44
	v_mul_f32_e32 v2, v2, v9
	v_fmac_f32_e32 v46, v3, v6
	v_fmac_f32_e32 v2, v3, v8
	v_add_f32_e32 v39, v39, v46
	v_add_f32_e32 v44, v1, v44
	;; [unrolled: 1-line block ×3, first 2 shown]
	v_mul_f32_e32 v0, v13, v7
	v_mul_f32_e32 v1, v12, v7
	v_fma_f32 v0, v12, v6, -v0
	v_fmac_f32_e32 v1, v13, v6
	v_add_f32_e32 v5, v5, v0
	v_add_f32_e32 v14, v14, v1
	v_mul_f32_e32 v0, v13, v9
	v_mul_f32_e32 v1, v12, v9
	v_fma_f32 v0, v12, v8, -v0
	v_fmac_f32_e32 v1, v13, v8
	v_add_f32_e32 v48, v10, v0
	v_add_f32_e32 v50, v11, v1
	ds_read_b128 v[0:3], v49 offset:224
	ds_read2_b64 v[6:9], v4 offset0:128 offset1:144
	s_waitcnt lgkmcnt(0)
	v_mul_f32_e32 v10, v1, v7
	v_fma_f32 v10, v0, v6, -v10
	v_mul_f32_e32 v11, v0, v7
	v_add_f32_e32 v15, v15, v10
	v_mul_f32_e32 v10, v1, v9
	v_fmac_f32_e32 v11, v1, v6
	v_fma_f32 v10, v0, v8, -v10
	v_mul_f32_e32 v0, v0, v9
	v_add_f32_e32 v39, v39, v11
	v_fmac_f32_e32 v0, v1, v8
	v_add_f32_e32 v1, v44, v10
	ds_read_b128 v[10:13], v49 offset:4320
	v_add_f32_e32 v0, v46, v0
	s_waitcnt lgkmcnt(0)
	v_mul_f32_e32 v44, v11, v7
	v_mul_f32_e32 v7, v10, v7
	v_fmac_f32_e32 v7, v11, v6
	v_fma_f32 v44, v10, v6, -v44
	v_add_f32_e32 v14, v14, v7
	v_mul_f32_e32 v6, v11, v9
	v_mul_f32_e32 v7, v10, v9
	v_fma_f32 v6, v10, v8, -v6
	v_fmac_f32_e32 v7, v11, v8
	v_add_f32_e32 v10, v48, v6
	v_add_f32_e32 v11, v50, v7
	ds_read2_b64 v[6:9], v4 offset0:160 offset1:176
	v_add_f32_e32 v5, v5, v44
	s_waitcnt lgkmcnt(0)
	v_mul_f32_e32 v44, v3, v7
	v_fma_f32 v44, v2, v6, -v44
	v_add_f32_e32 v15, v15, v44
	v_mul_f32_e32 v44, v3, v9
	v_mul_f32_e32 v46, v2, v7
	v_fma_f32 v44, v2, v8, -v44
	v_mul_f32_e32 v2, v2, v9
	v_fmac_f32_e32 v46, v3, v6
	v_fmac_f32_e32 v2, v3, v8
	v_add_f32_e32 v39, v39, v46
	v_add_f32_e32 v44, v1, v44
	;; [unrolled: 1-line block ×3, first 2 shown]
	v_mul_f32_e32 v0, v13, v7
	v_mul_f32_e32 v1, v12, v7
	v_fma_f32 v0, v12, v6, -v0
	v_fmac_f32_e32 v1, v13, v6
	v_add_f32_e32 v5, v5, v0
	v_add_f32_e32 v14, v14, v1
	v_mul_f32_e32 v0, v13, v9
	v_mul_f32_e32 v1, v12, v9
	v_fma_f32 v0, v12, v8, -v0
	v_fmac_f32_e32 v1, v13, v8
	v_add_f32_e32 v48, v10, v0
	v_add_f32_e32 v50, v11, v1
	ds_read_b128 v[0:3], v49 offset:240
	ds_read2_b64 v[6:9], v4 offset0:192 offset1:208
	s_waitcnt lgkmcnt(0)
	v_mul_f32_e32 v10, v1, v7
	v_fma_f32 v10, v0, v6, -v10
	v_mul_f32_e32 v11, v0, v7
	v_add_f32_e32 v15, v15, v10
	v_mul_f32_e32 v10, v1, v9
	v_fmac_f32_e32 v11, v1, v6
	v_fma_f32 v10, v0, v8, -v10
	v_mul_f32_e32 v0, v0, v9
	v_add_f32_e32 v39, v39, v11
	v_fmac_f32_e32 v0, v1, v8
	v_add_f32_e32 v1, v44, v10
	ds_read_b128 v[10:13], v49 offset:4336
	v_add_f32_e32 v0, v46, v0
	s_waitcnt lgkmcnt(0)
	v_mul_f32_e32 v44, v11, v7
	v_fma_f32 v44, v10, v6, -v44
	v_mul_f32_e32 v7, v10, v7
	v_fmac_f32_e32 v7, v11, v6
	v_add_f32_e32 v44, v5, v44
	v_mul_f32_e32 v5, v11, v9
	v_mul_f32_e32 v6, v10, v9
	v_fma_f32 v5, v10, v8, -v5
	v_fmac_f32_e32 v6, v11, v8
	v_add_f32_e32 v14, v14, v7
	v_add_f32_e32 v8, v48, v5
	;; [unrolled: 1-line block ×3, first 2 shown]
	ds_read2_b64 v[4:7], v4 offset0:224 offset1:240
	s_waitcnt lgkmcnt(0)
	s_barrier
	v_mul_f32_e32 v10, v3, v5
	v_fma_f32 v10, v2, v4, -v10
	v_add_f32_e32 v52, v15, v10
	v_mul_f32_e32 v10, v3, v7
	v_mul_f32_e32 v11, v2, v5
	v_fma_f32 v10, v2, v6, -v10
	v_mul_f32_e32 v2, v2, v7
	v_fmac_f32_e32 v2, v3, v6
	v_add_f32_e32 v48, v1, v10
	v_add_f32_e32 v50, v0, v2
	v_mul_f32_e32 v0, v13, v5
	v_mul_f32_e32 v1, v12, v5
	v_fma_f32 v0, v12, v4, -v0
	v_fmac_f32_e32 v1, v13, v4
	v_add_f32_e32 v44, v44, v0
	v_add_f32_e32 v46, v14, v1
	v_mul_f32_e32 v0, v13, v7
	v_mul_f32_e32 v1, v12, v7
	v_fmac_f32_e32 v11, v3, v4
	v_fma_f32 v0, v12, v6, -v0
	v_fmac_f32_e32 v1, v13, v6
	v_add_f32_e32 v54, v39, v11
	v_add_f32_e32 v14, v8, v0
	;; [unrolled: 1-line block ×3, first 2 shown]
	s_cbranch_scc1 .LBB83_55
.LBB83_7:                               ;   Parent Loop BB83_4 Depth=1
                                        ; =>  This Inner Loop Header: Depth=2
	v_mov_b32_e32 v0, s27
	v_add_co_u32_e64 v2, s[10:11], s26, v16
	v_addc_co_u32_e64 v3, s[10:11], 0, v0, s[10:11]
	v_mov_b32_e32 v1, s23
	v_add_co_u32_e64 v0, s[10:11], s22, v17
	v_addc_co_u32_e64 v1, s[10:11], v21, v1, s[10:11]
	v_cmp_eq_u64_e64 s[10:11], s[26:27], v[28:29]
	v_cmp_le_i64_e64 s[12:13], s[38:39], v[2:3]
	s_and_b64 s[44:45], s[36:37], s[10:11]
	v_cmp_gt_i64_e64 s[10:11], v[2:3], v[22:23]
	s_or_b64 s[16:17], s[12:13], s[10:11]
	s_or_b64 s[16:17], s[16:17], s[44:45]
	s_or_b64 s[16:17], s[0:1], s[16:17]
	s_xor_b64 s[16:17], s[16:17], -1
	s_and_saveexec_b64 s[28:29], s[16:17]
	s_xor_b64 s[16:17], exec, s[28:29]
	s_cbranch_execz .LBB83_9
; %bb.8:                                ;   in Loop: Header=BB83_7 Depth=2
	global_load_dwordx2 v[4:5], v[0:1], off
	s_waitcnt vmcnt(0)
	v_xor_b32_e32 v5, 0x80000000, v5
	ds_write_b64 v47, v[4:5]
.LBB83_9:                               ;   in Loop: Header=BB83_7 Depth=2
	s_or_saveexec_b64 s[16:17], s[16:17]
	s_xor_b64 s[28:29], s[44:45], -1
	s_xor_b64 exec, exec, s[16:17]
	s_cbranch_execz .LBB83_15
; %bb.10:                               ;   in Loop: Header=BB83_7 Depth=2
	s_and_saveexec_b64 s[46:47], s[28:29]
	s_xor_b64 s[46:47], exec, s[46:47]
	s_cbranch_execz .LBB83_12
; %bb.11:                               ;   in Loop: Header=BB83_7 Depth=2
	v_mov_b32_e32 v4, v19
	v_mov_b32_e32 v5, v19
	ds_write_b64 v47, v[4:5]
.LBB83_12:                              ;   in Loop: Header=BB83_7 Depth=2
	s_andn2_saveexec_b64 s[46:47], s[46:47]
	s_cbranch_execz .LBB83_14
; %bb.13:                               ;   in Loop: Header=BB83_7 Depth=2
	ds_write_b64 v47, v[18:19]
.LBB83_14:                              ;   in Loop: Header=BB83_7 Depth=2
	s_or_b64 exec, exec, s[46:47]
.LBB83_15:                              ;   in Loop: Header=BB83_7 Depth=2
	s_or_b64 exec, exec, s[16:17]
	v_cmp_eq_u64_e64 s[16:17], s[26:27], v[30:31]
	s_and_b64 s[46:47], s[36:37], s[16:17]
	v_cmp_lt_i64_e64 s[16:17], v[24:25], v[2:3]
	s_or_b64 s[12:13], s[12:13], s[16:17]
	s_or_b64 s[12:13], s[12:13], s[46:47]
	s_or_b64 s[12:13], s[2:3], s[12:13]
	s_xor_b64 s[12:13], s[12:13], -1
	s_and_saveexec_b64 s[16:17], s[12:13]
	s_xor_b64 s[16:17], exec, s[16:17]
	s_cbranch_execz .LBB83_17
; %bb.16:                               ;   in Loop: Header=BB83_7 Depth=2
	v_mov_b32_e32 v5, s23
	v_add_co_u32_e64 v4, s[12:13], s22, v53
	v_addc_co_u32_e64 v5, s[12:13], v55, v5, s[12:13]
	global_load_dwordx2 v[4:5], v[4:5], off
	s_waitcnt vmcnt(0)
	v_xor_b32_e32 v5, 0x80000000, v5
	ds_write_b64 v47, v[4:5] offset:128
.LBB83_17:                              ;   in Loop: Header=BB83_7 Depth=2
	s_andn2_saveexec_b64 s[12:13], s[16:17]
	s_cbranch_execz .LBB83_23
; %bb.18:                               ;   in Loop: Header=BB83_7 Depth=2
	s_xor_b64 s[16:17], s[46:47], -1
	s_and_saveexec_b64 s[46:47], s[16:17]
	s_xor_b64 s[16:17], exec, s[46:47]
	s_cbranch_execz .LBB83_20
; %bb.19:                               ;   in Loop: Header=BB83_7 Depth=2
	v_mov_b32_e32 v4, v19
	v_mov_b32_e32 v5, v19
	ds_write_b64 v47, v[4:5] offset:128
.LBB83_20:                              ;   in Loop: Header=BB83_7 Depth=2
	s_andn2_saveexec_b64 s[16:17], s[16:17]
	s_cbranch_execz .LBB83_22
; %bb.21:                               ;   in Loop: Header=BB83_7 Depth=2
	ds_write_b64 v47, v[18:19] offset:128
.LBB83_22:                              ;   in Loop: Header=BB83_7 Depth=2
	s_or_b64 exec, exec, s[16:17]
.LBB83_23:                              ;   in Loop: Header=BB83_7 Depth=2
	s_or_b64 exec, exec, s[12:13]
	v_add_co_u32_e64 v2, s[12:13], 16, v2
	v_addc_co_u32_e64 v3, s[12:13], 0, v3, s[12:13]
	v_cmp_eq_u64_e64 s[16:17], s[26:27], v[32:33]
	v_cmp_le_i64_e64 s[12:13], s[38:39], v[2:3]
	s_and_b64 s[46:47], s[36:37], s[16:17]
	v_cmp_gt_i64_e64 s[16:17], v[2:3], v[22:23]
	s_or_b64 s[16:17], s[12:13], s[16:17]
	s_or_b64 s[16:17], s[16:17], s[46:47]
	s_or_b64 s[16:17], s[0:1], s[16:17]
	s_xor_b64 s[16:17], s[16:17], -1
	s_and_saveexec_b64 s[52:53], s[16:17]
	s_xor_b64 s[16:17], exec, s[52:53]
	s_cbranch_execz .LBB83_25
; %bb.24:                               ;   in Loop: Header=BB83_7 Depth=2
	global_load_dwordx2 v[0:1], v[0:1], off offset:128
	s_waitcnt vmcnt(0)
	v_xor_b32_e32 v1, 0x80000000, v1
	ds_write_b64 v47, v[0:1] offset:4096
.LBB83_25:                              ;   in Loop: Header=BB83_7 Depth=2
	s_andn2_saveexec_b64 s[16:17], s[16:17]
	s_cbranch_execz .LBB83_31
; %bb.26:                               ;   in Loop: Header=BB83_7 Depth=2
	s_xor_b64 s[46:47], s[46:47], -1
	s_and_saveexec_b64 s[52:53], s[46:47]
	s_xor_b64 s[46:47], exec, s[52:53]
	s_cbranch_execz .LBB83_28
; %bb.27:                               ;   in Loop: Header=BB83_7 Depth=2
	v_mov_b32_e32 v0, v19
	v_mov_b32_e32 v1, v19
	ds_write_b64 v47, v[0:1] offset:4096
.LBB83_28:                              ;   in Loop: Header=BB83_7 Depth=2
	s_andn2_saveexec_b64 s[46:47], s[46:47]
	s_cbranch_execz .LBB83_30
; %bb.29:                               ;   in Loop: Header=BB83_7 Depth=2
	ds_write_b64 v47, v[18:19] offset:4096
.LBB83_30:                              ;   in Loop: Header=BB83_7 Depth=2
	s_or_b64 exec, exec, s[46:47]
.LBB83_31:                              ;   in Loop: Header=BB83_7 Depth=2
	s_or_b64 exec, exec, s[16:17]
	s_or_b64 s[10:11], s[12:13], s[10:11]
	s_or_b64 s[10:11], s[10:11], s[44:45]
	;; [unrolled: 1-line block ×3, first 2 shown]
	s_xor_b64 s[10:11], s[10:11], -1
	s_and_saveexec_b64 s[12:13], s[10:11]
	s_xor_b64 s[12:13], exec, s[12:13]
	s_cbranch_execz .LBB83_33
; %bb.32:                               ;   in Loop: Header=BB83_7 Depth=2
	v_mov_b32_e32 v1, s23
	v_add_co_u32_e64 v0, s[10:11], s22, v53
	v_addc_co_u32_e64 v1, s[10:11], v55, v1, s[10:11]
	global_load_dwordx2 v[0:1], v[0:1], off offset:128
	s_waitcnt vmcnt(0)
	v_xor_b32_e32 v1, 0x80000000, v1
	ds_write_b64 v47, v[0:1] offset:4224
.LBB83_33:                              ;   in Loop: Header=BB83_7 Depth=2
	s_andn2_saveexec_b64 s[10:11], s[12:13]
	s_cbranch_execz .LBB83_39
; %bb.34:                               ;   in Loop: Header=BB83_7 Depth=2
	s_and_saveexec_b64 s[12:13], s[28:29]
	s_xor_b64 s[12:13], exec, s[12:13]
	s_cbranch_execz .LBB83_36
; %bb.35:                               ;   in Loop: Header=BB83_7 Depth=2
	v_mov_b32_e32 v0, v19
	v_mov_b32_e32 v1, v19
	ds_write_b64 v47, v[0:1] offset:4224
.LBB83_36:                              ;   in Loop: Header=BB83_7 Depth=2
	s_andn2_saveexec_b64 s[12:13], s[12:13]
	s_cbranch_execz .LBB83_38
; %bb.37:                               ;   in Loop: Header=BB83_7 Depth=2
	ds_write_b64 v47, v[18:19] offset:4224
.LBB83_38:                              ;   in Loop: Header=BB83_7 Depth=2
	s_or_b64 exec, exec, s[12:13]
.LBB83_39:                              ;   in Loop: Header=BB83_7 Depth=2
	s_or_b64 exec, exec, s[10:11]
	v_mov_b32_e32 v1, s27
	v_add_co_u32_e64 v0, s[10:11], s26, v20
	v_addc_co_u32_e64 v1, s[10:11], 0, v1, s[10:11]
	v_cmp_gt_i64_e64 s[10:11], s[38:39], v[0:1]
	s_and_b64 s[12:13], vcc, s[10:11]
	s_xor_b64 s[12:13], s[12:13], -1
	s_and_saveexec_b64 s[16:17], s[12:13]
	s_xor_b64 s[12:13], exec, s[16:17]
	s_cbranch_execz .LBB83_41
; %bb.40:                               ;   in Loop: Header=BB83_7 Depth=2
	v_mov_b32_e32 v2, v19
	v_mov_b32_e32 v3, v19
	ds_write_b64 v51, v[2:3]
.LBB83_41:                              ;   in Loop: Header=BB83_7 Depth=2
	s_or_saveexec_b64 s[16:17], s[12:13]
	v_mov_b32_e32 v3, s23
	v_add_co_u32_e64 v2, s[12:13], s22, v40
	v_addc_co_u32_e64 v3, s[12:13], v41, v3, s[12:13]
	s_xor_b64 exec, exec, s[16:17]
	s_cbranch_execz .LBB83_43
; %bb.42:                               ;   in Loop: Header=BB83_7 Depth=2
	global_load_dwordx2 v[4:5], v[2:3], off offset:-128
	s_waitcnt vmcnt(0)
	ds_write_b64 v51, v[4:5]
.LBB83_43:                              ;   in Loop: Header=BB83_7 Depth=2
	s_or_b64 exec, exec, s[16:17]
	v_cmp_gt_i64_e64 s[12:13], s[42:43], v[0:1]
	s_and_b64 s[16:17], vcc, s[12:13]
	s_xor_b64 s[16:17], s[16:17], -1
	s_and_saveexec_b64 s[28:29], s[16:17]
	s_xor_b64 s[16:17], exec, s[28:29]
	s_cbranch_execz .LBB83_45
; %bb.44:                               ;   in Loop: Header=BB83_7 Depth=2
	v_mov_b32_e32 v0, v19
	v_mov_b32_e32 v1, v19
	ds_write_b64 v51, v[0:1] offset:128
                                        ; implicit-def: $vgpr2_vgpr3
.LBB83_45:                              ;   in Loop: Header=BB83_7 Depth=2
	s_andn2_saveexec_b64 s[16:17], s[16:17]
	s_cbranch_execz .LBB83_47
; %bb.46:                               ;   in Loop: Header=BB83_7 Depth=2
	global_load_dwordx2 v[0:1], v[2:3], off
	s_waitcnt vmcnt(0)
	ds_write_b64 v51, v[0:1] offset:128
.LBB83_47:                              ;   in Loop: Header=BB83_7 Depth=2
	s_or_b64 exec, exec, s[16:17]
	s_and_b64 s[10:11], s[8:9], s[10:11]
	s_xor_b64 s[10:11], s[10:11], -1
	s_and_saveexec_b64 s[16:17], s[10:11]
	s_xor_b64 s[10:11], exec, s[16:17]
	s_cbranch_execz .LBB83_49
; %bb.48:                               ;   in Loop: Header=BB83_7 Depth=2
	v_mov_b32_e32 v0, v19
	v_mov_b32_e32 v1, v19
	ds_write_b64 v51, v[0:1] offset:4096
.LBB83_49:                              ;   in Loop: Header=BB83_7 Depth=2
	s_andn2_saveexec_b64 s[16:17], s[10:11]
	s_cbranch_execz .LBB83_51
; %bb.50:                               ;   in Loop: Header=BB83_7 Depth=2
	v_mov_b32_e32 v1, s23
	v_add_co_u32_e64 v0, s[10:11], s22, v42
	v_addc_co_u32_e64 v1, s[10:11], v43, v1, s[10:11]
	global_load_dwordx2 v[0:1], v[0:1], off offset:-128
	s_waitcnt vmcnt(0)
	ds_write_b64 v51, v[0:1] offset:4096
.LBB83_51:                              ;   in Loop: Header=BB83_7 Depth=2
	s_or_b64 exec, exec, s[16:17]
	s_and_b64 s[10:11], s[8:9], s[12:13]
	s_xor_b64 s[10:11], s[10:11], -1
	s_and_saveexec_b64 s[12:13], s[10:11]
	s_xor_b64 s[10:11], exec, s[12:13]
	s_cbranch_execz .LBB83_53
; %bb.52:                               ;   in Loop: Header=BB83_7 Depth=2
	v_mov_b32_e32 v0, v19
	v_mov_b32_e32 v1, v19
	ds_write_b64 v51, v[0:1] offset:4224
.LBB83_53:                              ;   in Loop: Header=BB83_7 Depth=2
	s_andn2_saveexec_b64 s[12:13], s[10:11]
	s_cbranch_execz .LBB83_6
; %bb.54:                               ;   in Loop: Header=BB83_7 Depth=2
	v_mov_b32_e32 v1, s23
	v_add_co_u32_e64 v0, s[10:11], s22, v42
	v_addc_co_u32_e64 v1, s[10:11], v43, v1, s[10:11]
	global_load_dwordx2 v[0:1], v[0:1], off
	s_waitcnt vmcnt(0)
	ds_write_b64 v51, v[0:1] offset:4224
	s_branch .LBB83_6
.LBB83_55:                              ;   in Loop: Header=BB83_4 Depth=1
	v_mul_lo_u32 v2, v57, s40
	v_mul_lo_u32 v3, v56, s41
	v_mad_u64_u32 v[0:1], s[8:9], v56, s40, 0
	v_add3_u32 v1, v1, v3, v2
	v_lshlrev_b64 v[0:1], 3, v[0:1]
	v_mov_b32_e32 v2, s48
	v_add_co_u32_e64 v0, s[8:9], s31, v0
	v_cmp_gt_i32_e32 vcc, s30, v56
	v_addc_co_u32_e64 v1, s[8:9], v2, v1, s[8:9]
	s_and_b64 s[8:9], s[4:5], vcc
	s_and_saveexec_b64 s[10:11], s[8:9]
	s_cbranch_execz .LBB83_57
; %bb.56:                               ;   in Loop: Header=BB83_4 Depth=1
	v_add_co_u32_e64 v2, s[8:9], v0, v34
	v_addc_co_u32_e64 v3, s[8:9], v1, v35, s[8:9]
	global_load_dwordx2 v[4:5], v[2:3], off
	v_pk_mul_f32 v[6:7], v[54:55], s[34:35] op_sel_hi:[0,1]
	v_pk_fma_f32 v[8:9], v[52:53], s[34:35], v[6:7] op_sel:[0,0,1] op_sel_hi:[1,1,0] neg_lo:[0,0,1] neg_hi:[0,0,1]
	v_pk_fma_f32 v[6:7], v[52:53], s[34:35], v[6:7] op_sel:[0,0,1] op_sel_hi:[0,1,0]
	v_mov_b32_e32 v9, v7
	s_waitcnt vmcnt(0)
	v_pk_add_f32 v[4:5], v[4:5], v[8:9]
	global_store_dwordx2 v[2:3], v[4:5], off
.LBB83_57:                              ;   in Loop: Header=BB83_4 Depth=1
	s_or_b64 exec, exec, s[10:11]
	s_and_b64 s[10:11], s[14:15], vcc
	s_and_saveexec_b64 s[8:9], s[10:11]
	s_cbranch_execz .LBB83_59
; %bb.58:                               ;   in Loop: Header=BB83_4 Depth=1
	v_lshlrev_b64 v[2:3], 3, v[26:27]
	v_add_co_u32_e32 v0, vcc, v0, v2
	v_addc_co_u32_e32 v1, vcc, v1, v3, vcc
	global_load_dwordx2 v[2:3], v[0:1], off
	v_pk_mul_f32 v[4:5], v[50:51], s[34:35] op_sel_hi:[0,1]
	v_pk_fma_f32 v[6:7], v[48:49], s[34:35], v[4:5] op_sel:[0,0,1] op_sel_hi:[1,1,0] neg_lo:[0,0,1] neg_hi:[0,0,1]
	v_pk_fma_f32 v[4:5], v[48:49], s[34:35], v[4:5] op_sel:[0,0,1] op_sel_hi:[0,1,0]
	v_mov_b32_e32 v7, v5
	s_waitcnt vmcnt(0)
	v_pk_add_f32 v[2:3], v[2:3], v[6:7]
	global_store_dwordx2 v[0:1], v[2:3], off
.LBB83_59:                              ;   in Loop: Header=BB83_4 Depth=1
	s_or_b64 exec, exec, s[8:9]
	v_add_u32_e32 v0, 16, v56
	v_ashrrev_i32_e32 v1, 31, v0
	v_cmp_gt_i32_e32 vcc, s30, v0
	v_mul_lo_u32 v2, v1, s40
	v_mul_lo_u32 v3, v0, s41
	v_mad_u64_u32 v[0:1], s[8:9], v0, s40, 0
	v_add3_u32 v1, v1, v3, v2
	v_lshlrev_b64 v[0:1], 3, v[0:1]
	v_mov_b32_e32 v2, s48
	v_add_co_u32_e64 v0, s[8:9], s31, v0
	v_addc_co_u32_e64 v1, s[8:9], v2, v1, s[8:9]
	s_and_b64 s[8:9], s[4:5], vcc
	s_and_saveexec_b64 s[10:11], s[8:9]
	s_cbranch_execz .LBB83_61
; %bb.60:                               ;   in Loop: Header=BB83_4 Depth=1
	v_add_co_u32_e64 v2, s[8:9], v0, v34
	v_addc_co_u32_e64 v3, s[8:9], v1, v35, s[8:9]
	global_load_dwordx2 v[4:5], v[2:3], off
	v_pk_mul_f32 v[6:7], v[46:47], s[34:35] op_sel_hi:[0,1]
	v_pk_fma_f32 v[8:9], v[44:45], s[34:35], v[6:7] op_sel:[0,0,1] op_sel_hi:[1,1,0] neg_lo:[0,0,1] neg_hi:[0,0,1]
	v_pk_fma_f32 v[6:7], v[44:45], s[34:35], v[6:7] op_sel:[0,0,1] op_sel_hi:[0,1,0]
	v_mov_b32_e32 v9, v7
	s_waitcnt vmcnt(0)
	v_pk_add_f32 v[4:5], v[4:5], v[8:9]
	global_store_dwordx2 v[2:3], v[4:5], off
.LBB83_61:                              ;   in Loop: Header=BB83_4 Depth=1
	s_or_b64 exec, exec, s[10:11]
	s_and_b64 s[10:11], s[14:15], vcc
	s_and_saveexec_b64 s[8:9], s[10:11]
	s_cbranch_execz .LBB83_3
; %bb.62:                               ;   in Loop: Header=BB83_4 Depth=1
	v_lshlrev_b64 v[2:3], 3, v[26:27]
	v_add_co_u32_e32 v0, vcc, v0, v2
	v_addc_co_u32_e32 v1, vcc, v1, v3, vcc
	global_load_dwordx2 v[2:3], v[0:1], off
	v_pk_mul_f32 v[4:5], v[12:13], s[34:35] op_sel_hi:[0,1]
	v_pk_fma_f32 v[6:7], v[14:15], s[34:35], v[4:5] op_sel:[0,0,1] op_sel_hi:[1,1,0] neg_lo:[0,0,1] neg_hi:[0,0,1]
	v_pk_fma_f32 v[4:5], v[14:15], s[34:35], v[4:5] op_sel:[0,0,1] op_sel_hi:[0,1,0]
	v_mov_b32_e32 v7, v5
	s_waitcnt vmcnt(0)
	v_pk_add_f32 v[2:3], v[2:3], v[6:7]
	global_store_dwordx2 v[0:1], v[2:3], off
	s_branch .LBB83_3
.LBB83_63:
	s_endpgm
	.section	.rodata,"a",@progbits
	.p2align	6, 0x0
	.amdhsa_kernel _ZL30rocblas_trmm_outofplace_kernelI19rocblas_complex_numIfELi32ELi2ELb1ELb1ELb1ELb1ES1_KS1_S1_Ev17rocblas_diagonal_iiT6_lPT7_lllS6_lllPT8_llli
		.amdhsa_group_segment_fixed_size 16384
		.amdhsa_private_segment_fixed_size 0
		.amdhsa_kernarg_size 392
		.amdhsa_user_sgpr_count 6
		.amdhsa_user_sgpr_private_segment_buffer 1
		.amdhsa_user_sgpr_dispatch_ptr 0
		.amdhsa_user_sgpr_queue_ptr 0
		.amdhsa_user_sgpr_kernarg_segment_ptr 1
		.amdhsa_user_sgpr_dispatch_id 0
		.amdhsa_user_sgpr_flat_scratch_init 0
		.amdhsa_user_sgpr_kernarg_preload_length 0
		.amdhsa_user_sgpr_kernarg_preload_offset 0
		.amdhsa_user_sgpr_private_segment_size 0
		.amdhsa_uses_dynamic_stack 0
		.amdhsa_system_sgpr_private_segment_wavefront_offset 0
		.amdhsa_system_sgpr_workgroup_id_x 1
		.amdhsa_system_sgpr_workgroup_id_y 1
		.amdhsa_system_sgpr_workgroup_id_z 1
		.amdhsa_system_sgpr_workgroup_info 0
		.amdhsa_system_vgpr_workitem_id 1
		.amdhsa_next_free_vgpr 70
		.amdhsa_next_free_sgpr 54
		.amdhsa_accum_offset 72
		.amdhsa_reserve_vcc 1
		.amdhsa_reserve_flat_scratch 0
		.amdhsa_float_round_mode_32 0
		.amdhsa_float_round_mode_16_64 0
		.amdhsa_float_denorm_mode_32 3
		.amdhsa_float_denorm_mode_16_64 3
		.amdhsa_dx10_clamp 1
		.amdhsa_ieee_mode 1
		.amdhsa_fp16_overflow 0
		.amdhsa_tg_split 0
		.amdhsa_exception_fp_ieee_invalid_op 0
		.amdhsa_exception_fp_denorm_src 0
		.amdhsa_exception_fp_ieee_div_zero 0
		.amdhsa_exception_fp_ieee_overflow 0
		.amdhsa_exception_fp_ieee_underflow 0
		.amdhsa_exception_fp_ieee_inexact 0
		.amdhsa_exception_int_div_zero 0
	.end_amdhsa_kernel
	.section	.text._ZL30rocblas_trmm_outofplace_kernelI19rocblas_complex_numIfELi32ELi2ELb1ELb1ELb1ELb1ES1_KS1_S1_Ev17rocblas_diagonal_iiT6_lPT7_lllS6_lllPT8_llli,"axG",@progbits,_ZL30rocblas_trmm_outofplace_kernelI19rocblas_complex_numIfELi32ELi2ELb1ELb1ELb1ELb1ES1_KS1_S1_Ev17rocblas_diagonal_iiT6_lPT7_lllS6_lllPT8_llli,comdat
.Lfunc_end83:
	.size	_ZL30rocblas_trmm_outofplace_kernelI19rocblas_complex_numIfELi32ELi2ELb1ELb1ELb1ELb1ES1_KS1_S1_Ev17rocblas_diagonal_iiT6_lPT7_lllS6_lllPT8_llli, .Lfunc_end83-_ZL30rocblas_trmm_outofplace_kernelI19rocblas_complex_numIfELi32ELi2ELb1ELb1ELb1ELb1ES1_KS1_S1_Ev17rocblas_diagonal_iiT6_lPT7_lllS6_lllPT8_llli
                                        ; -- End function
	.section	.AMDGPU.csdata,"",@progbits
; Kernel info:
; codeLenInByte = 6684
; NumSgprs: 58
; NumVgprs: 70
; NumAgprs: 0
; TotalNumVgprs: 70
; ScratchSize: 0
; MemoryBound: 0
; FloatMode: 240
; IeeeMode: 1
; LDSByteSize: 16384 bytes/workgroup (compile time only)
; SGPRBlocks: 7
; VGPRBlocks: 8
; NumSGPRsForWavesPerEU: 58
; NumVGPRsForWavesPerEU: 70
; AccumOffset: 72
; Occupancy: 7
; WaveLimiterHint : 0
; COMPUTE_PGM_RSRC2:SCRATCH_EN: 0
; COMPUTE_PGM_RSRC2:USER_SGPR: 6
; COMPUTE_PGM_RSRC2:TRAP_HANDLER: 0
; COMPUTE_PGM_RSRC2:TGID_X_EN: 1
; COMPUTE_PGM_RSRC2:TGID_Y_EN: 1
; COMPUTE_PGM_RSRC2:TGID_Z_EN: 1
; COMPUTE_PGM_RSRC2:TIDIG_COMP_CNT: 1
; COMPUTE_PGM_RSRC3_GFX90A:ACCUM_OFFSET: 17
; COMPUTE_PGM_RSRC3_GFX90A:TG_SPLIT: 0
	.section	.text._ZL30rocblas_trmm_outofplace_kernelI19rocblas_complex_numIfELi32ELi2ELb0ELb0ELb0ELb0EPKS1_S2_S1_Ev17rocblas_diagonal_iiT6_lPT7_lllS7_lllPT8_llli,"axG",@progbits,_ZL30rocblas_trmm_outofplace_kernelI19rocblas_complex_numIfELi32ELi2ELb0ELb0ELb0ELb0EPKS1_S2_S1_Ev17rocblas_diagonal_iiT6_lPT7_lllS7_lllPT8_llli,comdat
	.globl	_ZL30rocblas_trmm_outofplace_kernelI19rocblas_complex_numIfELi32ELi2ELb0ELb0ELb0ELb0EPKS1_S2_S1_Ev17rocblas_diagonal_iiT6_lPT7_lllS7_lllPT8_llli ; -- Begin function _ZL30rocblas_trmm_outofplace_kernelI19rocblas_complex_numIfELi32ELi2ELb0ELb0ELb0ELb0EPKS1_S2_S1_Ev17rocblas_diagonal_iiT6_lPT7_lllS7_lllPT8_llli
	.p2align	8
	.type	_ZL30rocblas_trmm_outofplace_kernelI19rocblas_complex_numIfELi32ELi2ELb0ELb0ELb0ELb0EPKS1_S2_S1_Ev17rocblas_diagonal_iiT6_lPT7_lllS7_lllPT8_llli,@function
_ZL30rocblas_trmm_outofplace_kernelI19rocblas_complex_numIfELi32ELi2ELb0ELb0ELb0ELb0EPKS1_S2_S1_Ev17rocblas_diagonal_iiT6_lPT7_lllS7_lllPT8_llli: ; @_ZL30rocblas_trmm_outofplace_kernelI19rocblas_complex_numIfELi32ELi2ELb0ELb0ELb0ELb0EPKS1_S2_S1_Ev17rocblas_diagonal_iiT6_lPT7_lllS7_lllPT8_llli
; %bb.0:
	s_load_dwordx16 s[16:31], s[4:5], 0x10
	s_waitcnt lgkmcnt(0)
	s_mul_i32 s0, s8, s19
	s_mul_hi_u32 s1, s8, s18
	s_add_i32 s1, s1, s0
	s_mul_i32 s0, s8, s18
	s_lshl_b64 s[0:1], s[0:1], 3
	s_add_u32 s0, s16, s0
	s_addc_u32 s1, s17, s1
	s_load_dwordx2 s[34:35], s[0:1], 0x0
	s_waitcnt lgkmcnt(0)
	s_or_b32 s0, s34, s35
	s_bitset0_b32 s0, 31
	s_cmp_eq_u32 s0, 0
	s_cbranch_scc1 .LBB84_63
; %bb.1:
	s_load_dwordx4 s[44:47], s[4:5], 0x0
	s_waitcnt lgkmcnt(0)
	s_add_i32 s0, s46, -1
	s_ashr_i32 s1, s0, 31
	s_lshr_b32 s1, s1, 27
	s_add_i32 s0, s0, s1
	s_ashr_i32 s33, s0, 5
	s_cmp_gt_i32 s7, s33
	s_cbranch_scc1 .LBB84_63
; %bb.2:
	s_load_dwordx8 s[36:43], s[4:5], 0x50
	s_load_dwordx4 s[48:51], s[4:5], 0x70
	s_load_dword s52, s[4:5], 0x8c
	v_and_b32_e32 v4, 0x3ff, v0
	v_bfe_u32 v47, v0, 10, 10
	s_waitcnt lgkmcnt(0)
	s_mul_i32 s1, s8, s39
	s_mul_hi_u32 s2, s8, s38
	s_mul_i32 s0, s8, s38
	s_add_i32 s1, s2, s1
	s_lshl_b64 s[0:1], s[0:1], 3
	s_add_u32 s2, s28, s0
	s_addc_u32 s3, s29, s1
	s_lshl_b64 s[0:1], s[30:31], 3
	s_add_u32 s2, s2, s0
	s_addc_u32 s3, s3, s1
	s_mul_i32 s0, s8, s51
	s_mul_hi_u32 s1, s8, s50
	s_add_i32 s1, s1, s0
	s_mul_i32 s0, s8, s50
	s_lshl_b64 s[0:1], s[0:1], 3
	s_add_u32 s4, s40, s0
	s_addc_u32 s5, s41, s1
	s_lshl_b64 s[0:1], s[42:43], 3
	s_add_u32 s53, s4, s0
	s_addc_u32 s54, s5, s1
	s_cmpk_eq_i32 s44, 0x84
	s_cselect_b64 s[28:29], -1, 0
	s_ashr_i32 s47, s46, 31
	s_ashr_i32 s0, s45, 31
	s_lshl_b64 s[30:31], s[36:37], 8
	v_lshl_add_u32 v0, s6, 5, v4
	s_add_u32 s38, s46, -16
	v_ashrrev_i32_e32 v1, 31, v0
	s_addc_u32 s39, s47, -1
	s_lshl_b32 s9, s7, 5
	v_lshlrev_b64 v[12:13], 3, v[0:1]
	v_add_u32_e32 v18, s9, v4
	v_add_u32_e32 v20, s9, v47
	s_mul_i32 s9, s27, s8
	s_mul_hi_u32 s10, s26, s8
	v_mov_b32_e32 v2, s3
	v_add_co_u32_e32 v14, vcc, s2, v12
	s_add_i32 s9, s10, s9
	s_mul_i32 s8, s26, s8
	v_addc_co_u32_e32 v15, vcc, v2, v13, vcc
	s_lshl_b32 s6, s52, 5
	s_lshl_b64 s[40:41], s[36:37], 3
	s_lshl_b64 s[8:9], s[8:9], 3
	;; [unrolled: 1-line block ×3, first 2 shown]
	v_mov_b32_e32 v3, s0
	v_sub_co_u32_e32 v2, vcc, s45, v0
	s_add_u32 s8, s8, s10
	v_subb_co_u32_e32 v3, vcc, v3, v1, vcc
	v_lshlrev_b32_e32 v1, 3, v4
	s_addc_u32 s9, s9, s11
	v_lshlrev_b32_e32 v49, 8, v47
	v_or_b32_e32 v53, 0x2000, v1
	v_add_u32_e32 v16, 16, v0
	s_add_u32 s20, s20, s8
	v_add_u32_e32 v51, v49, v1
	v_cmp_gt_i64_e64 s[0:1], 1, v[2:3]
	v_add_u32_e32 v55, v53, v49
	v_cmp_gt_i64_e64 s[2:3], 17, v[2:3]
	v_cmp_gt_i32_e64 s[4:5], s45, v0
	v_cmp_gt_i32_e64 s[16:17], s45, v16
	v_ashrrev_i32_e32 v17, 31, v16
	v_add_u32_e32 v57, 0x2080, v1
	s_addc_u32 s21, s21, s9
	s_lshl_b64 s[22:23], s[24:25], 3
	s_movk_i32 s55, 0x80
	v_mov_b32_e32 v23, 0
	v_mov_b32_e32 v22, 1.0
	s_branch .LBB84_4
.LBB84_3:                               ;   in Loop: Header=BB84_4 Depth=1
	s_or_b64 exec, exec, s[8:9]
	s_add_i32 s7, s52, s7
	v_add_u32_e32 v18, s6, v18
	s_cmp_le_i32 s7, s33
	v_add_u32_e32 v20, s6, v20
	s_cbranch_scc0 .LBB84_63
.LBB84_4:                               ; =>This Loop Header: Depth=1
                                        ;     Child Loop BB84_7 Depth 2
	s_lshl_b32 s8, s7, 5
	v_add_u32_e32 v24, s8, v47
	s_sub_i32 s56, s46, s8
	v_ashrrev_i32_e32 v19, 31, v18
	v_ashrrev_i32_e32 v21, 31, v20
	;; [unrolled: 1-line block ×3, first 2 shown]
	s_cmp_lt_i32 s56, 1
	v_mov_b32_e32 v58, v23
	v_mov_b32_e32 v60, v23
	;; [unrolled: 1-line block ×8, first 2 shown]
	s_cbranch_scc1 .LBB84_55
; %bb.5:                                ;   in Loop: Header=BB84_4 Depth=1
	v_mov_b32_e32 v0, 0x80
	v_mov_b32_e32 v1, 0
	v_mad_u64_u32 v[28:29], s[8:9], s40, v20, v[0:1]
	v_mul_lo_u32 v2, s40, v21
	v_mul_lo_u32 v3, s41, v20
	v_add3_u32 v29, v3, v29, v2
	v_pk_mov_b32 v[2:3], s[20:21], s[20:21] op_sel:[0,1]
	v_sub_co_u32_e32 v26, vcc, v20, v18
	v_mad_u64_u32 v[32:33], s[8:9], s22, v20, v[2:3]
	v_mul_lo_u32 v4, s22, v21
	v_mul_lo_u32 v5, s23, v20
	v_subb_co_u32_e32 v27, vcc, v21, v19, vcc
	v_add3_u32 v33, v5, v33, v4
	v_lshlrev_b64 v[4:5], 3, v[20:21]
	v_add_co_u32_e32 v4, vcc, s55, v4
	v_addc_co_u32_e32 v5, vcc, 0, v5, vcc
	v_add_co_u32_e32 v38, vcc, 16, v24
	v_addc_co_u32_e32 v39, vcc, 0, v25, vcc
	;; [unrolled: 2-line block ×3, first 2 shown]
	v_mul_lo_u32 v6, s24, v5
	v_mul_lo_u32 v7, s25, v4
	v_mad_u64_u32 v[34:35], s[8:9], s24, v4, v[2:3]
	v_mul_lo_u32 v2, s36, v5
	v_mul_lo_u32 v3, s37, v4
	v_mad_u64_u32 v[36:37], s[8:9], s36, v4, v[0:1]
	v_add_co_u32_e32 v42, vcc, -16, v26
	v_lshlrev_b64 v[30:31], 3, v[18:19]
	v_add3_u32 v35, v7, v35, v6
	v_add3_u32 v37, v3, v37, v2
	v_cmp_le_i32_e64 s[8:9], s46, v24
	v_cmp_le_i64_e64 s[10:11], s[46:47], v[38:39]
	v_addc_co_u32_e32 v43, vcc, -1, v27, vcc
	s_mov_b64 s[26:27], 0
	v_mov_b32_e32 v46, 0
	v_pk_mov_b32 v[44:45], v[14:15], v[14:15] op_sel:[0,1]
	v_mov_b32_e32 v48, 0
	v_mov_b32_e32 v52, 0
	;; [unrolled: 1-line block ×7, first 2 shown]
	s_branch .LBB84_7
.LBB84_6:                               ;   in Loop: Header=BB84_7 Depth=2
	s_or_b64 exec, exec, s[12:13]
	s_waitcnt lgkmcnt(0)
	s_barrier
	ds_read2_b64 v[62:65], v53 offset1:32
	ds_read_b128 v[66:69], v49
	ds_read_b128 v[8:11], v49 offset:16
	ds_read_b128 v[4:7], v49 offset:32
	;; [unrolled: 1-line block ×3, first 2 shown]
	ds_read2_b64 v[70:73], v57 offset1:32
	s_waitcnt lgkmcnt(4)
	v_mul_f32_e32 v59, v67, v63
	v_fma_f32 v59, v66, v62, -v59
	v_mul_f32_e32 v61, v66, v63
	v_fmac_f32_e32 v61, v67, v62
	v_add_f32_e32 v78, v58, v59
	s_waitcnt lgkmcnt(0)
	v_mul_f32_e32 v58, v67, v71
	v_add_f32_e32 v79, v60, v61
	v_fma_f32 v74, v66, v70, -v58
	ds_read_b128 v[58:61], v49 offset:4096
	v_mul_f32_e32 v66, v66, v71
	v_fmac_f32_e32 v66, v67, v70
	v_add_f32_e32 v54, v54, v74
	ds_read_b128 v[74:77], v49 offset:4112
	v_add_f32_e32 v56, v56, v66
	s_waitcnt lgkmcnt(1)
	v_mul_f32_e32 v66, v59, v63
	v_mul_f32_e32 v63, v58, v63
	v_fma_f32 v66, v58, v62, -v66
	v_fmac_f32_e32 v63, v59, v62
	v_mul_f32_e32 v62, v59, v71
	v_fma_f32 v62, v58, v70, -v62
	v_mul_f32_e32 v58, v58, v71
	v_fmac_f32_e32 v58, v59, v70
	v_add_f32_e32 v46, v46, v58
	v_mul_f32_e32 v58, v69, v65
	v_mul_f32_e32 v59, v68, v65
	v_fma_f32 v58, v68, v64, -v58
	v_fmac_f32_e32 v59, v69, v64
	v_add_f32_e32 v50, v50, v66
	v_add_f32_e32 v66, v78, v58
	;; [unrolled: 1-line block ×3, first 2 shown]
	v_mul_f32_e32 v58, v69, v73
	v_mul_f32_e32 v59, v68, v73
	v_fma_f32 v58, v68, v72, -v58
	v_fmac_f32_e32 v59, v69, v72
	v_add_f32_e32 v54, v54, v58
	v_add_f32_e32 v56, v56, v59
	v_mul_f32_e32 v58, v61, v65
	v_mul_f32_e32 v59, v60, v65
	v_add_f32_e32 v52, v52, v63
	v_add_f32_e32 v48, v48, v62
	v_fma_f32 v58, v60, v64, -v58
	v_fmac_f32_e32 v59, v61, v64
	ds_read2_b64 v[62:65], v53 offset0:64 offset1:96
	v_add_f32_e32 v50, v50, v58
	v_mul_f32_e32 v58, v61, v73
	v_add_f32_e32 v52, v52, v59
	v_fma_f32 v58, v60, v72, -v58
	v_mul_f32_e32 v59, v60, v73
	v_fmac_f32_e32 v59, v61, v72
	v_add_f32_e32 v48, v48, v58
	s_waitcnt lgkmcnt(0)
	v_mul_f32_e32 v58, v9, v63
	v_add_f32_e32 v46, v46, v59
	v_fma_f32 v68, v8, v62, -v58
	ds_read2_b64 v[58:61], v57 offset0:64 offset1:96
	v_add_f32_e32 v66, v66, v68
	v_mul_f32_e32 v69, v8, v63
	v_fmac_f32_e32 v69, v9, v62
	v_add_f32_e32 v67, v67, v69
	s_waitcnt lgkmcnt(0)
	v_mul_f32_e32 v68, v9, v59
	v_fma_f32 v68, v8, v58, -v68
	v_mul_f32_e32 v8, v8, v59
	v_fmac_f32_e32 v8, v9, v58
	v_add_f32_e32 v9, v54, v68
	v_mul_f32_e32 v54, v75, v63
	v_add_f32_e32 v8, v56, v8
	v_fma_f32 v54, v74, v62, -v54
	v_mul_f32_e32 v56, v74, v63
	v_fmac_f32_e32 v56, v75, v62
	v_add_f32_e32 v50, v50, v54
	v_mul_f32_e32 v54, v75, v59
	v_add_f32_e32 v52, v52, v56
	v_fma_f32 v54, v74, v58, -v54
	v_mul_f32_e32 v56, v74, v59
	v_fmac_f32_e32 v56, v75, v58
	v_add_f32_e32 v48, v48, v54
	v_mul_f32_e32 v54, v11, v65
	v_mul_f32_e32 v58, v11, v61
	v_add_f32_e32 v46, v46, v56
	v_fma_f32 v54, v10, v64, -v54
	v_mul_f32_e32 v56, v10, v65
	v_fma_f32 v58, v10, v60, -v58
	v_mul_f32_e32 v10, v10, v61
	v_fmac_f32_e32 v56, v11, v64
	v_fmac_f32_e32 v10, v11, v60
	v_add_f32_e32 v56, v67, v56
	v_add_f32_e32 v67, v8, v10
	v_mul_f32_e32 v8, v77, v65
	v_add_f32_e32 v54, v66, v54
	v_add_f32_e32 v66, v9, v58
	v_fma_f32 v8, v76, v64, -v8
	v_mul_f32_e32 v9, v76, v65
	v_fmac_f32_e32 v9, v77, v64
	v_add_f32_e32 v50, v50, v8
	v_mul_f32_e32 v8, v77, v61
	v_add_f32_e32 v52, v52, v9
	v_fma_f32 v58, v76, v60, -v8
	ds_read2_b64 v[8:11], v53 offset0:128 offset1:160
	v_mul_f32_e32 v59, v76, v61
	v_fmac_f32_e32 v59, v77, v60
	v_add_f32_e32 v48, v48, v58
	v_add_f32_e32 v46, v46, v59
	s_waitcnt lgkmcnt(0)
	v_mul_f32_e32 v58, v5, v9
	v_fma_f32 v62, v4, v8, -v58
	ds_read2_b64 v[58:61], v57 offset0:128 offset1:160
	v_mul_f32_e32 v63, v4, v9
	v_fmac_f32_e32 v63, v5, v8
	v_add_f32_e32 v54, v54, v62
	v_add_f32_e32 v56, v56, v63
	s_waitcnt lgkmcnt(0)
	v_mul_f32_e32 v62, v5, v59
	v_fma_f32 v68, v4, v58, -v62
	ds_read_b128 v[62:65], v49 offset:4128
	v_mul_f32_e32 v4, v4, v59
	v_fmac_f32_e32 v4, v5, v58
	v_add_f32_e32 v5, v66, v68
	v_add_f32_e32 v4, v67, v4
	ds_read_b128 v[66:69], v49 offset:4144
	s_waitcnt lgkmcnt(1)
	v_mul_f32_e32 v70, v63, v9
	v_fma_f32 v70, v62, v8, -v70
	v_mul_f32_e32 v9, v62, v9
	v_fmac_f32_e32 v9, v63, v8
	v_add_f32_e32 v8, v50, v70
	v_mul_f32_e32 v50, v63, v59
	v_fma_f32 v50, v62, v58, -v50
	v_add_f32_e32 v48, v48, v50
	v_mul_f32_e32 v50, v7, v11
	v_add_f32_e32 v9, v52, v9
	v_mul_f32_e32 v52, v62, v59
	v_fma_f32 v50, v6, v10, -v50
	v_fmac_f32_e32 v52, v63, v58
	v_add_f32_e32 v50, v54, v50
	v_mul_f32_e32 v54, v7, v61
	v_add_f32_e32 v46, v46, v52
	v_mul_f32_e32 v52, v6, v11
	v_fma_f32 v54, v6, v60, -v54
	v_mul_f32_e32 v6, v6, v61
	v_fmac_f32_e32 v52, v7, v10
	v_fmac_f32_e32 v6, v7, v60
	v_add_f32_e32 v52, v56, v52
	v_add_f32_e32 v56, v4, v6
	v_mul_f32_e32 v4, v65, v11
	v_add_f32_e32 v54, v5, v54
	v_fma_f32 v4, v64, v10, -v4
	v_mul_f32_e32 v5, v64, v11
	v_fmac_f32_e32 v5, v65, v10
	v_add_f32_e32 v58, v8, v4
	v_mul_f32_e32 v4, v65, v61
	v_add_f32_e32 v59, v9, v5
	v_fma_f32 v8, v64, v60, -v4
	ds_read2_b64 v[4:7], v53 offset0:192 offset1:224
	v_mul_f32_e32 v9, v64, v61
	v_fmac_f32_e32 v9, v65, v60
	v_add_f32_e32 v48, v48, v8
	v_add_f32_e32 v46, v46, v9
	s_waitcnt lgkmcnt(0)
	v_mul_f32_e32 v8, v1, v5
	v_fma_f32 v60, v0, v4, -v8
	ds_read2_b64 v[8:11], v57 offset0:192 offset1:224
	v_add_f32_e32 v50, v50, v60
	v_mul_f32_e32 v61, v0, v5
	v_fmac_f32_e32 v61, v1, v4
	v_add_f32_e32 v52, v52, v61
	s_waitcnt lgkmcnt(0)
	v_mul_f32_e32 v60, v1, v9
	v_fma_f32 v60, v0, v8, -v60
	v_mul_f32_e32 v0, v0, v9
	v_fmac_f32_e32 v0, v1, v8
	v_add_f32_e32 v1, v54, v60
	v_mul_f32_e32 v54, v67, v5
	v_fma_f32 v54, v66, v4, -v54
	v_mul_f32_e32 v5, v66, v5
	v_fmac_f32_e32 v5, v67, v4
	v_add_f32_e32 v4, v58, v54
	v_mul_f32_e32 v54, v67, v9
	v_mul_f32_e32 v9, v66, v9
	v_fma_f32 v54, v66, v8, -v54
	v_fmac_f32_e32 v9, v67, v8
	v_mul_f32_e32 v8, v3, v7
	v_fma_f32 v8, v2, v6, -v8
	v_add_f32_e32 v50, v50, v8
	v_mul_f32_e32 v8, v3, v11
	v_add_f32_e32 v46, v46, v9
	v_mul_f32_e32 v9, v2, v7
	v_fma_f32 v8, v2, v10, -v8
	v_mul_f32_e32 v2, v2, v11
	v_add_f32_e32 v0, v56, v0
	v_fmac_f32_e32 v2, v3, v10
	v_add_f32_e32 v56, v0, v2
	v_mul_f32_e32 v0, v69, v7
	v_add_f32_e32 v48, v48, v54
	v_add_f32_e32 v54, v1, v8
	v_fma_f32 v0, v68, v6, -v0
	v_mul_f32_e32 v1, v68, v7
	v_add_f32_e32 v5, v59, v5
	v_fmac_f32_e32 v9, v3, v6
	v_fmac_f32_e32 v1, v69, v6
	v_add_f32_e32 v74, v4, v0
	v_mul_f32_e32 v0, v69, v11
	v_add_u32_e32 v4, 0x800, v53
	v_add_f32_e32 v52, v52, v9
	v_add_f32_e32 v75, v5, v1
	v_fma_f32 v5, v68, v10, -v0
	ds_read2_b64 v[0:3], v4 offset1:32
	ds_read_b128 v[6:9], v49 offset:64
	v_mul_f32_e32 v11, v68, v11
	v_fmac_f32_e32 v11, v69, v10
	v_add_f32_e32 v10, v48, v5
	v_add_f32_e32 v11, v46, v11
	s_waitcnt lgkmcnt(0)
	v_mul_f32_e32 v5, v7, v1
	v_fma_f32 v46, v6, v0, -v5
	v_add_u32_e32 v5, 0x800, v57
	ds_read2_b64 v[62:65], v5 offset1:32
	ds_read_b128 v[58:61], v49 offset:80
	ds_read_b128 v[66:69], v49 offset:4160
	v_add_f32_e32 v46, v50, v46
	v_mul_f32_e32 v48, v6, v1
	s_waitcnt lgkmcnt(2)
	v_mul_f32_e32 v50, v7, v63
	v_fma_f32 v50, v6, v62, -v50
	v_mul_f32_e32 v6, v6, v63
	v_fmac_f32_e32 v48, v7, v0
	v_fmac_f32_e32 v6, v7, v62
	v_add_f32_e32 v7, v54, v50
	s_waitcnt lgkmcnt(0)
	v_mul_f32_e32 v50, v67, v1
	v_fma_f32 v50, v66, v0, -v50
	v_mul_f32_e32 v1, v66, v1
	v_fmac_f32_e32 v1, v67, v0
	v_add_f32_e32 v0, v74, v50
	v_mul_f32_e32 v50, v67, v63
	v_fma_f32 v50, v66, v62, -v50
	v_add_f32_e32 v10, v10, v50
	v_mul_f32_e32 v50, v9, v3
	v_add_f32_e32 v48, v52, v48
	v_mul_f32_e32 v52, v66, v63
	v_fma_f32 v50, v8, v2, -v50
	v_fmac_f32_e32 v52, v67, v62
	v_add_f32_e32 v46, v46, v50
	v_mul_f32_e32 v50, v9, v65
	v_add_f32_e32 v11, v11, v52
	v_mul_f32_e32 v52, v8, v3
	v_fma_f32 v50, v8, v64, -v50
	v_mul_f32_e32 v8, v8, v65
	v_add_f32_e32 v6, v56, v6
	v_fmac_f32_e32 v52, v9, v2
	v_fmac_f32_e32 v8, v9, v64
	v_add_f32_e32 v48, v48, v52
	v_add_f32_e32 v52, v6, v8
	v_mul_f32_e32 v6, v69, v3
	v_fma_f32 v6, v68, v2, -v6
	v_mul_f32_e32 v3, v68, v3
	v_add_f32_e32 v1, v75, v1
	v_fmac_f32_e32 v3, v69, v2
	v_add_f32_e32 v54, v0, v6
	v_mul_f32_e32 v0, v69, v65
	v_add_f32_e32 v56, v1, v3
	v_fma_f32 v6, v68, v64, -v0
	ds_read2_b64 v[0:3], v4 offset0:64 offset1:96
	v_add_f32_e32 v50, v7, v50
	v_mul_f32_e32 v7, v68, v65
	v_fmac_f32_e32 v7, v69, v64
	v_add_f32_e32 v10, v10, v6
	s_waitcnt lgkmcnt(0)
	v_mul_f32_e32 v6, v59, v1
	v_add_f32_e32 v11, v11, v7
	v_fma_f32 v62, v58, v0, -v6
	ds_read2_b64 v[6:9], v5 offset0:64 offset1:96
	ds_read_b128 v[70:73], v49 offset:4176
	v_add_f32_e32 v46, v46, v62
	v_mul_f32_e32 v63, v58, v1
	v_fmac_f32_e32 v63, v59, v0
	s_waitcnt lgkmcnt(1)
	v_mul_f32_e32 v62, v59, v7
	v_fma_f32 v62, v58, v6, -v62
	v_mul_f32_e32 v58, v58, v7
	v_fmac_f32_e32 v58, v59, v6
	v_add_f32_e32 v52, v52, v58
	s_waitcnt lgkmcnt(0)
	v_mul_f32_e32 v58, v71, v1
	v_fma_f32 v58, v70, v0, -v58
	v_mul_f32_e32 v1, v70, v1
	v_fmac_f32_e32 v1, v71, v0
	v_add_f32_e32 v0, v54, v58
	v_mul_f32_e32 v54, v71, v7
	v_fma_f32 v54, v70, v6, -v54
	v_mul_f32_e32 v7, v70, v7
	v_fmac_f32_e32 v7, v71, v6
	v_add_f32_e32 v6, v10, v54
	v_mul_f32_e32 v10, v61, v3
	v_fma_f32 v10, v60, v2, -v10
	v_add_f32_e32 v10, v46, v10
	v_mul_f32_e32 v46, v61, v9
	v_add_f32_e32 v50, v50, v62
	v_add_f32_e32 v7, v11, v7
	v_mul_f32_e32 v11, v60, v3
	v_fma_f32 v46, v60, v8, -v46
	v_add_f32_e32 v48, v48, v63
	v_fmac_f32_e32 v11, v61, v2
	v_add_f32_e32 v46, v50, v46
	v_mul_f32_e32 v50, v73, v3
	v_add_f32_e32 v11, v48, v11
	v_mul_f32_e32 v48, v60, v9
	v_fma_f32 v50, v72, v2, -v50
	v_mul_f32_e32 v3, v72, v3
	v_add_f32_e32 v1, v56, v1
	v_fmac_f32_e32 v48, v61, v8
	v_fmac_f32_e32 v3, v73, v2
	v_add_f32_e32 v50, v0, v50
	v_mul_f32_e32 v0, v73, v9
	v_add_f32_e32 v48, v52, v48
	v_add_f32_e32 v52, v1, v3
	v_fma_f32 v54, v72, v8, -v0
	ds_read2_b64 v[0:3], v4 offset0:128 offset1:160
	ds_read_b128 v[58:61], v49 offset:96
	v_mul_f32_e32 v9, v72, v9
	v_fmac_f32_e32 v9, v73, v8
	v_add_f32_e32 v54, v6, v54
	v_add_f32_e32 v56, v7, v9
	s_waitcnt lgkmcnt(0)
	v_mul_f32_e32 v62, v59, v1
	v_fma_f32 v66, v58, v0, -v62
	ds_read2_b64 v[62:65], v5 offset0:128 offset1:160
	v_mul_f32_e32 v67, v58, v1
	v_fmac_f32_e32 v67, v59, v0
	v_add_f32_e32 v10, v10, v66
	ds_read_b128 v[6:9], v49 offset:112
	s_waitcnt lgkmcnt(1)
	v_mul_f32_e32 v66, v59, v63
	v_add_f32_e32 v11, v11, v67
	v_fma_f32 v70, v58, v62, -v66
	ds_read_b128 v[66:69], v49 offset:4192
	v_mul_f32_e32 v58, v58, v63
	v_fmac_f32_e32 v58, v59, v62
	v_add_f32_e32 v48, v48, v58
	v_add_f32_e32 v46, v46, v70
	s_waitcnt lgkmcnt(0)
	v_mul_f32_e32 v58, v67, v1
	v_fma_f32 v58, v66, v0, -v58
	v_mul_f32_e32 v1, v66, v1
	v_fmac_f32_e32 v1, v67, v0
	v_add_f32_e32 v0, v50, v58
	v_mul_f32_e32 v50, v67, v63
	v_fma_f32 v50, v66, v62, -v50
	v_add_f32_e32 v50, v54, v50
	v_mul_f32_e32 v54, v61, v3
	v_add_f32_e32 v1, v52, v1
	v_mul_f32_e32 v52, v66, v63
	v_fma_f32 v54, v60, v2, -v54
	v_fmac_f32_e32 v52, v67, v62
	v_add_f32_e32 v10, v10, v54
	v_mul_f32_e32 v54, v61, v65
	v_add_f32_e32 v52, v56, v52
	v_mul_f32_e32 v56, v60, v3
	v_fma_f32 v54, v60, v64, -v54
	v_fmac_f32_e32 v56, v61, v2
	v_add_f32_e32 v46, v46, v54
	v_mul_f32_e32 v54, v69, v3
	v_add_f32_e32 v11, v11, v56
	v_mul_f32_e32 v56, v60, v65
	v_fma_f32 v54, v68, v2, -v54
	v_mul_f32_e32 v3, v68, v3
	v_fmac_f32_e32 v56, v61, v64
	v_fmac_f32_e32 v3, v69, v2
	v_add_f32_e32 v54, v0, v54
	v_mul_f32_e32 v0, v69, v65
	v_add_f32_e32 v48, v48, v56
	v_add_f32_e32 v56, v1, v3
	v_fma_f32 v58, v68, v64, -v0
	ds_read2_b64 v[0:3], v4 offset0:192 offset1:224
	v_add_f32_e32 v50, v50, v58
	ds_read2_b64 v[58:61], v5 offset0:192 offset1:224
	ds_read_b128 v[70:73], v49 offset:4208
	v_mul_f32_e32 v4, v68, v65
	s_waitcnt lgkmcnt(2)
	v_mul_f32_e32 v5, v6, v1
	v_fmac_f32_e32 v4, v69, v64
	v_fmac_f32_e32 v5, v7, v0
	v_add_f32_e32 v4, v52, v4
	v_mul_f32_e32 v52, v7, v1
	v_add_f32_e32 v5, v11, v5
	s_waitcnt lgkmcnt(1)
	v_mul_f32_e32 v11, v7, v59
	v_fma_f32 v52, v6, v0, -v52
	v_fma_f32 v11, v6, v58, -v11
	v_mul_f32_e32 v6, v6, v59
	v_fmac_f32_e32 v6, v7, v58
	v_add_f32_e32 v7, v46, v11
	s_waitcnt lgkmcnt(0)
	v_mul_f32_e32 v46, v70, v59
	v_fmac_f32_e32 v46, v71, v58
	v_mul_f32_e32 v11, v71, v1
	v_add_f32_e32 v46, v4, v46
	v_mul_f32_e32 v4, v9, v3
	v_add_f32_e32 v10, v10, v52
	v_fma_f32 v11, v70, v0, -v11
	v_mul_f32_e32 v1, v70, v1
	v_fma_f32 v4, v8, v2, -v4
	v_fmac_f32_e32 v1, v71, v0
	v_add_f32_e32 v0, v54, v11
	v_mul_f32_e32 v11, v71, v59
	v_add_f32_e32 v10, v10, v4
	v_mul_f32_e32 v4, v9, v61
	v_add_f32_e32 v6, v48, v6
	v_fma_f32 v11, v70, v58, -v11
	v_mul_f32_e32 v48, v8, v3
	v_fma_f32 v4, v8, v60, -v4
	v_add_f32_e32 v11, v50, v11
	v_fmac_f32_e32 v48, v9, v2
	v_add_f32_e32 v50, v7, v4
	v_mul_f32_e32 v4, v73, v3
	v_add_f32_e32 v48, v5, v48
	v_mul_f32_e32 v5, v8, v61
	v_fma_f32 v4, v72, v2, -v4
	v_mul_f32_e32 v3, v72, v3
	v_add_f32_e32 v1, v56, v1
	v_fmac_f32_e32 v5, v9, v60
	v_fmac_f32_e32 v3, v73, v2
	v_add_f32_e32 v54, v0, v4
	v_mul_f32_e32 v0, v73, v61
	v_add_u32_e32 v4, 0x1000, v53
	v_add_f32_e32 v52, v6, v5
	v_add_f32_e32 v56, v1, v3
	v_fma_f32 v5, v72, v60, -v0
	ds_read2_b64 v[0:3], v4 offset1:32
	ds_read_b128 v[6:9], v49 offset:128
	v_add_f32_e32 v11, v11, v5
	v_mul_f32_e32 v58, v72, v61
	v_fmac_f32_e32 v58, v73, v60
	v_add_f32_e32 v46, v46, v58
	s_waitcnt lgkmcnt(0)
	v_mul_f32_e32 v5, v7, v1
	v_fma_f32 v66, v6, v0, -v5
	v_add_u32_e32 v5, 0x1000, v57
	ds_read2_b64 v[62:65], v5 offset1:32
	v_mul_f32_e32 v67, v6, v1
	v_fmac_f32_e32 v67, v7, v0
	v_add_f32_e32 v10, v10, v66
	ds_read_b128 v[58:61], v49 offset:144
	s_waitcnt lgkmcnt(1)
	v_mul_f32_e32 v66, v7, v63
	v_add_f32_e32 v48, v48, v67
	v_fma_f32 v70, v6, v62, -v66
	ds_read_b128 v[66:69], v49 offset:4224
	v_mul_f32_e32 v6, v6, v63
	v_fmac_f32_e32 v6, v7, v62
	v_add_f32_e32 v7, v50, v70
	v_add_f32_e32 v6, v52, v6
	s_waitcnt lgkmcnt(0)
	v_mul_f32_e32 v50, v67, v1
	v_fma_f32 v50, v66, v0, -v50
	v_mul_f32_e32 v1, v66, v1
	v_fmac_f32_e32 v1, v67, v0
	v_add_f32_e32 v0, v54, v50
	v_mul_f32_e32 v50, v67, v63
	v_fma_f32 v50, v66, v62, -v50
	v_add_f32_e32 v11, v11, v50
	v_mul_f32_e32 v50, v9, v3
	v_mul_f32_e32 v52, v66, v63
	v_fma_f32 v50, v8, v2, -v50
	v_fmac_f32_e32 v52, v67, v62
	v_add_f32_e32 v10, v10, v50
	v_mul_f32_e32 v50, v9, v65
	v_add_f32_e32 v46, v46, v52
	v_mul_f32_e32 v52, v8, v3
	v_fma_f32 v50, v8, v64, -v50
	v_mul_f32_e32 v8, v8, v65
	v_fmac_f32_e32 v52, v9, v2
	v_fmac_f32_e32 v8, v9, v64
	v_add_f32_e32 v48, v48, v52
	v_add_f32_e32 v52, v6, v8
	v_mul_f32_e32 v6, v69, v3
	v_fma_f32 v6, v68, v2, -v6
	v_mul_f32_e32 v3, v68, v3
	v_add_f32_e32 v1, v56, v1
	v_fmac_f32_e32 v3, v69, v2
	v_add_f32_e32 v54, v0, v6
	v_mul_f32_e32 v0, v69, v65
	v_add_f32_e32 v56, v1, v3
	v_fma_f32 v6, v68, v64, -v0
	ds_read2_b64 v[0:3], v4 offset0:64 offset1:96
	v_add_f32_e32 v50, v7, v50
	v_mul_f32_e32 v7, v68, v65
	v_fmac_f32_e32 v7, v69, v64
	v_add_f32_e32 v11, v11, v6
	s_waitcnt lgkmcnt(0)
	v_mul_f32_e32 v6, v59, v1
	v_add_f32_e32 v46, v46, v7
	v_fma_f32 v62, v58, v0, -v6
	ds_read2_b64 v[6:9], v5 offset0:64 offset1:96
	ds_read_b128 v[70:73], v49 offset:4240
	v_add_f32_e32 v10, v10, v62
	v_mul_f32_e32 v63, v58, v1
	v_fmac_f32_e32 v63, v59, v0
	s_waitcnt lgkmcnt(1)
	v_mul_f32_e32 v62, v59, v7
	v_fma_f32 v62, v58, v6, -v62
	v_mul_f32_e32 v58, v58, v7
	v_fmac_f32_e32 v58, v59, v6
	v_add_f32_e32 v52, v52, v58
	s_waitcnt lgkmcnt(0)
	v_mul_f32_e32 v58, v71, v1
	v_fma_f32 v58, v70, v0, -v58
	v_mul_f32_e32 v1, v70, v1
	v_fmac_f32_e32 v1, v71, v0
	v_add_f32_e32 v0, v54, v58
	v_mul_f32_e32 v54, v71, v7
	v_mul_f32_e32 v7, v70, v7
	v_fma_f32 v54, v70, v6, -v54
	v_fmac_f32_e32 v7, v71, v6
	v_add_f32_e32 v6, v11, v54
	v_add_f32_e32 v7, v46, v7
	v_mul_f32_e32 v11, v61, v3
	v_mul_f32_e32 v46, v60, v3
	v_add_f32_e32 v48, v48, v63
	v_fma_f32 v11, v60, v2, -v11
	v_fmac_f32_e32 v46, v61, v2
	v_add_f32_e32 v10, v10, v11
	v_add_f32_e32 v11, v48, v46
	v_mul_f32_e32 v46, v61, v9
	v_add_f32_e32 v50, v50, v62
	v_fma_f32 v46, v60, v8, -v46
	v_add_f32_e32 v46, v50, v46
	v_mul_f32_e32 v50, v73, v3
	v_mul_f32_e32 v48, v60, v9
	v_fma_f32 v50, v72, v2, -v50
	v_mul_f32_e32 v3, v72, v3
	v_add_f32_e32 v1, v56, v1
	v_fmac_f32_e32 v48, v61, v8
	v_fmac_f32_e32 v3, v73, v2
	v_add_f32_e32 v50, v0, v50
	v_mul_f32_e32 v0, v73, v9
	v_add_f32_e32 v48, v52, v48
	v_add_f32_e32 v52, v1, v3
	v_fma_f32 v54, v72, v8, -v0
	ds_read2_b64 v[0:3], v4 offset0:128 offset1:160
	ds_read_b128 v[58:61], v49 offset:160
	v_mul_f32_e32 v9, v72, v9
	v_fmac_f32_e32 v9, v73, v8
	v_add_f32_e32 v54, v6, v54
	v_add_f32_e32 v56, v7, v9
	s_waitcnt lgkmcnt(0)
	v_mul_f32_e32 v62, v59, v1
	v_fma_f32 v66, v58, v0, -v62
	ds_read2_b64 v[62:65], v5 offset0:128 offset1:160
	v_mul_f32_e32 v67, v58, v1
	v_fmac_f32_e32 v67, v59, v0
	v_add_f32_e32 v10, v10, v66
	ds_read_b128 v[6:9], v49 offset:176
	s_waitcnt lgkmcnt(1)
	v_mul_f32_e32 v66, v59, v63
	v_add_f32_e32 v11, v11, v67
	v_fma_f32 v70, v58, v62, -v66
	ds_read_b128 v[66:69], v49 offset:4256
	v_mul_f32_e32 v58, v58, v63
	v_fmac_f32_e32 v58, v59, v62
	v_add_f32_e32 v48, v48, v58
	v_add_f32_e32 v46, v46, v70
	s_waitcnt lgkmcnt(0)
	v_mul_f32_e32 v58, v67, v1
	v_fma_f32 v58, v66, v0, -v58
	v_mul_f32_e32 v1, v66, v1
	v_fmac_f32_e32 v1, v67, v0
	v_add_f32_e32 v0, v50, v58
	v_mul_f32_e32 v50, v67, v63
	v_fma_f32 v50, v66, v62, -v50
	v_add_f32_e32 v50, v54, v50
	v_mul_f32_e32 v54, v61, v3
	v_add_f32_e32 v1, v52, v1
	v_mul_f32_e32 v52, v66, v63
	v_fma_f32 v54, v60, v2, -v54
	v_fmac_f32_e32 v52, v67, v62
	v_add_f32_e32 v10, v10, v54
	v_mul_f32_e32 v54, v61, v65
	v_add_f32_e32 v52, v56, v52
	v_mul_f32_e32 v56, v60, v3
	v_fma_f32 v54, v60, v64, -v54
	v_fmac_f32_e32 v56, v61, v2
	v_add_f32_e32 v46, v46, v54
	v_mul_f32_e32 v54, v69, v3
	v_add_f32_e32 v11, v11, v56
	v_mul_f32_e32 v56, v60, v65
	v_fma_f32 v54, v68, v2, -v54
	v_mul_f32_e32 v3, v68, v3
	v_fmac_f32_e32 v56, v61, v64
	v_fmac_f32_e32 v3, v69, v2
	v_add_f32_e32 v54, v0, v54
	v_mul_f32_e32 v0, v69, v65
	v_add_f32_e32 v48, v48, v56
	v_add_f32_e32 v56, v1, v3
	v_fma_f32 v58, v68, v64, -v0
	ds_read2_b64 v[0:3], v4 offset0:192 offset1:224
	v_add_f32_e32 v50, v50, v58
	ds_read2_b64 v[58:61], v5 offset0:192 offset1:224
	ds_read_b128 v[70:73], v49 offset:4272
	v_mul_f32_e32 v4, v68, v65
	s_waitcnt lgkmcnt(2)
	v_mul_f32_e32 v5, v6, v1
	v_fmac_f32_e32 v4, v69, v64
	v_fmac_f32_e32 v5, v7, v0
	v_add_f32_e32 v4, v52, v4
	v_mul_f32_e32 v52, v7, v1
	v_add_f32_e32 v5, v11, v5
	s_waitcnt lgkmcnt(1)
	v_mul_f32_e32 v11, v7, v59
	v_fma_f32 v52, v6, v0, -v52
	v_fma_f32 v11, v6, v58, -v11
	v_mul_f32_e32 v6, v6, v59
	v_fmac_f32_e32 v6, v7, v58
	v_add_f32_e32 v7, v46, v11
	s_waitcnt lgkmcnt(0)
	v_mul_f32_e32 v46, v70, v59
	v_fmac_f32_e32 v46, v71, v58
	v_mul_f32_e32 v11, v71, v1
	v_add_f32_e32 v46, v4, v46
	v_mul_f32_e32 v4, v9, v3
	v_add_f32_e32 v10, v10, v52
	v_fma_f32 v11, v70, v0, -v11
	v_mul_f32_e32 v1, v70, v1
	v_fma_f32 v4, v8, v2, -v4
	v_fmac_f32_e32 v1, v71, v0
	v_add_f32_e32 v0, v54, v11
	v_mul_f32_e32 v11, v71, v59
	v_add_f32_e32 v10, v10, v4
	v_mul_f32_e32 v4, v9, v61
	v_add_f32_e32 v6, v48, v6
	v_fma_f32 v11, v70, v58, -v11
	v_mul_f32_e32 v48, v8, v3
	v_fma_f32 v4, v8, v60, -v4
	v_add_f32_e32 v11, v50, v11
	v_fmac_f32_e32 v48, v9, v2
	v_add_f32_e32 v50, v7, v4
	v_mul_f32_e32 v4, v73, v3
	v_add_f32_e32 v48, v5, v48
	v_mul_f32_e32 v5, v8, v61
	v_fma_f32 v4, v72, v2, -v4
	v_mul_f32_e32 v3, v72, v3
	v_add_f32_e32 v1, v56, v1
	v_fmac_f32_e32 v5, v9, v60
	v_fmac_f32_e32 v3, v73, v2
	v_add_f32_e32 v54, v0, v4
	v_mul_f32_e32 v0, v73, v61
	v_add_u32_e32 v4, 0x1800, v53
	v_add_f32_e32 v52, v6, v5
	v_add_f32_e32 v56, v1, v3
	v_fma_f32 v5, v72, v60, -v0
	ds_read2_b64 v[0:3], v4 offset1:32
	ds_read_b128 v[6:9], v49 offset:192
	v_add_f32_e32 v11, v11, v5
	v_mul_f32_e32 v58, v72, v61
	v_fmac_f32_e32 v58, v73, v60
	v_add_f32_e32 v46, v46, v58
	s_waitcnt lgkmcnt(0)
	v_mul_f32_e32 v5, v7, v1
	v_fma_f32 v66, v6, v0, -v5
	v_add_u32_e32 v5, 0x1800, v57
	ds_read2_b64 v[62:65], v5 offset1:32
	v_mul_f32_e32 v67, v6, v1
	v_fmac_f32_e32 v67, v7, v0
	v_add_f32_e32 v10, v10, v66
	ds_read_b128 v[58:61], v49 offset:208
	s_waitcnt lgkmcnt(1)
	v_mul_f32_e32 v66, v7, v63
	v_add_f32_e32 v48, v48, v67
	v_fma_f32 v70, v6, v62, -v66
	ds_read_b128 v[66:69], v49 offset:4288
	v_mul_f32_e32 v6, v6, v63
	v_fmac_f32_e32 v6, v7, v62
	v_add_f32_e32 v7, v50, v70
	v_add_f32_e32 v6, v52, v6
	s_waitcnt lgkmcnt(0)
	v_mul_f32_e32 v50, v67, v1
	v_fma_f32 v50, v66, v0, -v50
	v_mul_f32_e32 v1, v66, v1
	v_fmac_f32_e32 v1, v67, v0
	v_add_f32_e32 v0, v54, v50
	v_mul_f32_e32 v50, v67, v63
	v_fma_f32 v50, v66, v62, -v50
	v_add_f32_e32 v11, v11, v50
	v_mul_f32_e32 v50, v9, v3
	v_mul_f32_e32 v52, v66, v63
	v_fma_f32 v50, v8, v2, -v50
	v_fmac_f32_e32 v52, v67, v62
	v_add_f32_e32 v10, v10, v50
	v_mul_f32_e32 v50, v9, v65
	v_add_f32_e32 v46, v46, v52
	v_mul_f32_e32 v52, v8, v3
	v_fma_f32 v50, v8, v64, -v50
	v_mul_f32_e32 v8, v8, v65
	v_fmac_f32_e32 v52, v9, v2
	v_fmac_f32_e32 v8, v9, v64
	v_add_f32_e32 v48, v48, v52
	v_add_f32_e32 v52, v6, v8
	v_mul_f32_e32 v6, v69, v3
	v_fma_f32 v6, v68, v2, -v6
	v_mul_f32_e32 v3, v68, v3
	v_add_f32_e32 v1, v56, v1
	v_fmac_f32_e32 v3, v69, v2
	v_add_f32_e32 v54, v0, v6
	v_mul_f32_e32 v0, v69, v65
	v_add_f32_e32 v56, v1, v3
	v_fma_f32 v6, v68, v64, -v0
	ds_read2_b64 v[0:3], v4 offset0:64 offset1:96
	v_add_f32_e32 v50, v7, v50
	v_mul_f32_e32 v7, v68, v65
	v_fmac_f32_e32 v7, v69, v64
	v_add_f32_e32 v11, v11, v6
	s_waitcnt lgkmcnt(0)
	v_mul_f32_e32 v6, v59, v1
	v_add_f32_e32 v46, v46, v7
	v_fma_f32 v62, v58, v0, -v6
	ds_read2_b64 v[6:9], v5 offset0:64 offset1:96
	ds_read_b128 v[70:73], v49 offset:4304
	v_add_f32_e32 v10, v10, v62
	v_mul_f32_e32 v63, v58, v1
	v_fmac_f32_e32 v63, v59, v0
	s_waitcnt lgkmcnt(1)
	v_mul_f32_e32 v62, v59, v7
	v_fma_f32 v62, v58, v6, -v62
	v_mul_f32_e32 v58, v58, v7
	v_fmac_f32_e32 v58, v59, v6
	v_add_f32_e32 v52, v52, v58
	s_waitcnt lgkmcnt(0)
	v_mul_f32_e32 v58, v71, v1
	v_fma_f32 v58, v70, v0, -v58
	v_mul_f32_e32 v1, v70, v1
	v_fmac_f32_e32 v1, v71, v0
	v_add_f32_e32 v0, v54, v58
	v_mul_f32_e32 v54, v71, v7
	v_mul_f32_e32 v7, v70, v7
	v_fma_f32 v54, v70, v6, -v54
	v_fmac_f32_e32 v7, v71, v6
	v_add_f32_e32 v6, v11, v54
	v_add_f32_e32 v7, v46, v7
	v_mul_f32_e32 v11, v61, v3
	v_mul_f32_e32 v46, v60, v3
	v_add_f32_e32 v48, v48, v63
	v_fma_f32 v11, v60, v2, -v11
	v_fmac_f32_e32 v46, v61, v2
	v_add_f32_e32 v10, v10, v11
	v_add_f32_e32 v11, v48, v46
	v_mul_f32_e32 v46, v61, v9
	v_add_f32_e32 v50, v50, v62
	v_fma_f32 v46, v60, v8, -v46
	v_add_f32_e32 v46, v50, v46
	v_mul_f32_e32 v50, v73, v3
	v_mul_f32_e32 v48, v60, v9
	v_fma_f32 v50, v72, v2, -v50
	v_mul_f32_e32 v3, v72, v3
	v_add_f32_e32 v1, v56, v1
	v_fmac_f32_e32 v48, v61, v8
	v_fmac_f32_e32 v3, v73, v2
	v_add_f32_e32 v50, v0, v50
	v_mul_f32_e32 v0, v73, v9
	v_add_f32_e32 v48, v52, v48
	v_add_f32_e32 v52, v1, v3
	v_fma_f32 v54, v72, v8, -v0
	ds_read2_b64 v[0:3], v4 offset0:128 offset1:160
	ds_read_b128 v[58:61], v49 offset:224
	v_mul_f32_e32 v9, v72, v9
	v_fmac_f32_e32 v9, v73, v8
	v_add_f32_e32 v54, v6, v54
	v_add_f32_e32 v56, v7, v9
	s_waitcnt lgkmcnt(0)
	v_mul_f32_e32 v62, v59, v1
	v_fma_f32 v66, v58, v0, -v62
	ds_read2_b64 v[62:65], v5 offset0:128 offset1:160
	v_mul_f32_e32 v67, v58, v1
	v_fmac_f32_e32 v67, v59, v0
	v_add_f32_e32 v10, v10, v66
	ds_read_b128 v[6:9], v49 offset:240
	s_waitcnt lgkmcnt(1)
	v_mul_f32_e32 v66, v59, v63
	v_add_f32_e32 v11, v11, v67
	v_fma_f32 v70, v58, v62, -v66
	ds_read_b128 v[66:69], v49 offset:4320
	v_mul_f32_e32 v58, v58, v63
	v_fmac_f32_e32 v58, v59, v62
	v_add_f32_e32 v48, v48, v58
	v_add_f32_e32 v46, v46, v70
	s_waitcnt lgkmcnt(0)
	v_mul_f32_e32 v58, v67, v1
	v_fma_f32 v58, v66, v0, -v58
	v_mul_f32_e32 v1, v66, v1
	v_fmac_f32_e32 v1, v67, v0
	v_add_f32_e32 v0, v50, v58
	v_mul_f32_e32 v50, v67, v63
	v_fma_f32 v50, v66, v62, -v50
	v_add_f32_e32 v50, v54, v50
	v_mul_f32_e32 v54, v61, v3
	v_add_f32_e32 v1, v52, v1
	v_mul_f32_e32 v52, v66, v63
	v_fma_f32 v54, v60, v2, -v54
	v_fmac_f32_e32 v52, v67, v62
	v_add_f32_e32 v10, v10, v54
	v_mul_f32_e32 v54, v61, v65
	v_add_f32_e32 v52, v56, v52
	v_mul_f32_e32 v56, v60, v3
	v_fma_f32 v54, v60, v64, -v54
	v_fmac_f32_e32 v56, v61, v2
	v_add_f32_e32 v46, v46, v54
	v_mul_f32_e32 v54, v69, v3
	v_add_f32_e32 v11, v11, v56
	v_mul_f32_e32 v56, v60, v65
	v_fma_f32 v54, v68, v2, -v54
	v_mul_f32_e32 v3, v68, v3
	v_fmac_f32_e32 v56, v61, v64
	v_fmac_f32_e32 v3, v69, v2
	v_add_f32_e32 v54, v0, v54
	v_mul_f32_e32 v0, v69, v65
	v_add_f32_e32 v48, v48, v56
	v_add_f32_e32 v56, v1, v3
	v_fma_f32 v58, v68, v64, -v0
	ds_read2_b64 v[0:3], v4 offset0:192 offset1:224
	ds_read2_b64 v[60:63], v5 offset0:192 offset1:224
	ds_read_b128 v[70:73], v49 offset:4336
	v_mul_f32_e32 v4, v68, v65
	v_fmac_f32_e32 v4, v69, v64
	s_waitcnt lgkmcnt(2)
	v_mul_f32_e32 v5, v6, v1
	v_fmac_f32_e32 v5, v7, v0
	v_add_f32_e32 v4, v52, v4
	v_mul_f32_e32 v52, v7, v1
	v_add_f32_e32 v5, v11, v5
	s_waitcnt lgkmcnt(1)
	v_mul_f32_e32 v11, v7, v61
	v_fma_f32 v52, v6, v0, -v52
	v_fma_f32 v11, v6, v60, -v11
	v_mul_f32_e32 v6, v6, v61
	v_fmac_f32_e32 v6, v7, v60
	v_add_f32_e32 v7, v46, v11
	s_waitcnt lgkmcnt(0)
	v_mul_f32_e32 v11, v71, v1
	v_add_f32_e32 v6, v48, v6
	v_fma_f32 v11, v70, v0, -v11
	v_mul_f32_e32 v1, v70, v1
	v_mul_f32_e32 v48, v8, v3
	v_fmac_f32_e32 v1, v71, v0
	v_add_f32_e32 v0, v54, v11
	v_mul_f32_e32 v11, v71, v61
	v_mul_f32_e32 v46, v70, v61
	v_fmac_f32_e32 v48, v9, v2
	v_fma_f32 v11, v70, v60, -v11
	v_fmac_f32_e32 v46, v71, v60
	v_add_f32_e32 v60, v5, v48
	v_mul_f32_e32 v5, v9, v63
	v_fma_f32 v5, v8, v62, -v5
	v_add_f32_e32 v54, v7, v5
	v_mul_f32_e32 v5, v73, v3
	v_add_f32_e32 v50, v50, v58
	v_fma_f32 v5, v72, v2, -v5
	v_add_f32_e32 v11, v50, v11
	v_add_f32_e32 v50, v0, v5
	v_mul_f32_e32 v0, v73, v63
	v_fma_f32 v0, v72, v62, -v0
	v_add_f32_e32 v48, v11, v0
	v_mov_b32_e32 v0, s31
	v_add_co_u32_e32 v44, vcc, s30, v44
	v_add_f32_e32 v4, v4, v46
	v_mul_f32_e32 v46, v9, v3
	v_mul_f32_e32 v3, v72, v3
	v_addc_co_u32_e32 v45, vcc, v45, v0, vcc
	v_add_f32_e32 v1, v56, v1
	v_fmac_f32_e32 v3, v73, v2
	v_add_co_u32_e32 v32, vcc, 0x100, v32
	v_add_f32_e32 v10, v10, v52
	v_fma_f32 v46, v8, v2, -v46
	v_mul_f32_e32 v8, v8, v63
	v_add_f32_e32 v52, v1, v3
	v_mul_f32_e32 v1, v72, v63
	s_add_u32 s26, s26, 32
	v_addc_co_u32_e32 v33, vcc, 0, v33, vcc
	v_fmac_f32_e32 v8, v9, v62
	v_fmac_f32_e32 v1, v73, v62
	s_addc_u32 s27, s27, 0
	v_add_co_u32_e32 v34, vcc, 0x100, v34
	v_add_f32_e32 v58, v10, v46
	v_add_f32_e32 v56, v6, v8
	;; [unrolled: 1-line block ×3, first 2 shown]
	s_cmp_ge_i32 s26, s56
	v_addc_co_u32_e32 v35, vcc, 0, v35, vcc
	s_barrier
	s_cbranch_scc1 .LBB84_55
.LBB84_7:                               ;   Parent Loop BB84_4 Depth=1
                                        ; =>  This Inner Loop Header: Depth=2
	v_mov_b32_e32 v1, s27
	v_add_co_u32_e32 v0, vcc, s26, v18
	v_addc_co_u32_e32 v1, vcc, v19, v1, vcc
	v_add_co_u32_e32 v2, vcc, v32, v30
	v_addc_co_u32_e32 v3, vcc, v33, v31, vcc
	v_cmp_eq_u64_e32 vcc, s[26:27], v[26:27]
	s_and_b64 s[44:45], s[28:29], vcc
	v_cmp_lt_i64_e32 vcc, v[0:1], v[24:25]
	v_cmp_le_i64_e64 s[12:13], s[46:47], v[0:1]
	s_or_b64 s[14:15], s[8:9], vcc
	s_or_b64 s[14:15], s[12:13], s[14:15]
	s_or_b64 s[14:15], s[14:15], s[44:45]
	s_xor_b64 s[14:15], s[14:15], -1
	s_and_saveexec_b64 s[18:19], s[14:15]
	s_xor_b64 s[14:15], exec, s[18:19]
	s_cbranch_execz .LBB84_9
; %bb.8:                                ;   in Loop: Header=BB84_7 Depth=2
	global_load_dwordx2 v[4:5], v[2:3], off
	s_waitcnt vmcnt(0)
	ds_write_b64 v51, v[4:5]
.LBB84_9:                               ;   in Loop: Header=BB84_7 Depth=2
	s_or_saveexec_b64 s[14:15], s[14:15]
	s_xor_b64 s[42:43], s[44:45], -1
	s_xor_b64 exec, exec, s[14:15]
	s_cbranch_execz .LBB84_15
; %bb.10:                               ;   in Loop: Header=BB84_7 Depth=2
	s_and_saveexec_b64 s[18:19], s[42:43]
	s_xor_b64 s[18:19], exec, s[18:19]
	s_cbranch_execz .LBB84_12
; %bb.11:                               ;   in Loop: Header=BB84_7 Depth=2
	v_mov_b32_e32 v4, v23
	v_mov_b32_e32 v5, v23
	ds_write_b64 v51, v[4:5]
.LBB84_12:                              ;   in Loop: Header=BB84_7 Depth=2
	s_andn2_saveexec_b64 s[18:19], s[18:19]
	s_cbranch_execz .LBB84_14
; %bb.13:                               ;   in Loop: Header=BB84_7 Depth=2
	ds_write_b64 v51, v[22:23]
.LBB84_14:                              ;   in Loop: Header=BB84_7 Depth=2
	s_or_b64 exec, exec, s[18:19]
.LBB84_15:                              ;   in Loop: Header=BB84_7 Depth=2
	s_or_b64 exec, exec, s[14:15]
	v_add_co_u32_e64 v4, s[14:15], 16, v0
	v_addc_co_u32_e64 v5, s[14:15], 0, v1, s[14:15]
	v_cmp_eq_u64_e64 s[14:15], s[26:27], v[42:43]
	v_cmp_lt_i64_e64 s[18:19], v[4:5], v[24:25]
	s_and_b64 s[50:51], s[28:29], s[14:15]
	v_cmp_le_i64_e64 s[14:15], s[46:47], v[4:5]
	s_or_b64 s[18:19], s[8:9], s[18:19]
	s_or_b64 s[18:19], s[14:15], s[18:19]
	;; [unrolled: 1-line block ×3, first 2 shown]
	s_xor_b64 s[18:19], s[18:19], -1
	s_and_saveexec_b64 s[58:59], s[18:19]
	s_xor_b64 s[18:19], exec, s[58:59]
	s_cbranch_execz .LBB84_17
; %bb.16:                               ;   in Loop: Header=BB84_7 Depth=2
	global_load_dwordx2 v[2:3], v[2:3], off offset:128
	s_waitcnt vmcnt(0)
	ds_write_b64 v51, v[2:3] offset:128
.LBB84_17:                              ;   in Loop: Header=BB84_7 Depth=2
	s_andn2_saveexec_b64 s[18:19], s[18:19]
	s_cbranch_execz .LBB84_23
; %bb.18:                               ;   in Loop: Header=BB84_7 Depth=2
	s_xor_b64 s[50:51], s[50:51], -1
	s_and_saveexec_b64 s[58:59], s[50:51]
	s_xor_b64 s[50:51], exec, s[58:59]
	s_cbranch_execz .LBB84_20
; %bb.19:                               ;   in Loop: Header=BB84_7 Depth=2
	v_mov_b32_e32 v2, v23
	v_mov_b32_e32 v3, v23
	ds_write_b64 v51, v[2:3] offset:128
.LBB84_20:                              ;   in Loop: Header=BB84_7 Depth=2
	s_andn2_saveexec_b64 s[50:51], s[50:51]
	s_cbranch_execz .LBB84_22
; %bb.21:                               ;   in Loop: Header=BB84_7 Depth=2
	ds_write_b64 v51, v[22:23] offset:128
.LBB84_22:                              ;   in Loop: Header=BB84_7 Depth=2
	s_or_b64 exec, exec, s[50:51]
.LBB84_23:                              ;   in Loop: Header=BB84_7 Depth=2
	s_or_b64 exec, exec, s[18:19]
	v_cmp_eq_u64_e64 s[18:19], s[26:27], v[40:41]
	s_and_b64 s[50:51], s[28:29], s[18:19]
	v_cmp_lt_i64_e64 s[18:19], v[0:1], v[38:39]
	s_or_b64 s[18:19], s[10:11], s[18:19]
	s_or_b64 s[18:19], s[18:19], s[50:51]
	;; [unrolled: 1-line block ×3, first 2 shown]
	s_xor_b64 s[12:13], s[12:13], -1
	s_and_saveexec_b64 s[18:19], s[12:13]
	s_xor_b64 s[18:19], exec, s[18:19]
	s_cbranch_execz .LBB84_25
; %bb.24:                               ;   in Loop: Header=BB84_7 Depth=2
	v_add_co_u32_e64 v0, s[12:13], v34, v30
	v_addc_co_u32_e64 v1, s[12:13], v35, v31, s[12:13]
	global_load_dwordx2 v[0:1], v[0:1], off
	s_waitcnt vmcnt(0)
	ds_write_b64 v51, v[0:1] offset:4096
.LBB84_25:                              ;   in Loop: Header=BB84_7 Depth=2
	s_andn2_saveexec_b64 s[12:13], s[18:19]
	s_cbranch_execz .LBB84_31
; %bb.26:                               ;   in Loop: Header=BB84_7 Depth=2
	s_xor_b64 s[18:19], s[50:51], -1
	s_and_saveexec_b64 s[50:51], s[18:19]
	s_xor_b64 s[18:19], exec, s[50:51]
	s_cbranch_execz .LBB84_28
; %bb.27:                               ;   in Loop: Header=BB84_7 Depth=2
	v_mov_b32_e32 v0, v23
	v_mov_b32_e32 v1, v23
	ds_write_b64 v51, v[0:1] offset:4096
.LBB84_28:                              ;   in Loop: Header=BB84_7 Depth=2
	s_andn2_saveexec_b64 s[18:19], s[18:19]
	s_cbranch_execz .LBB84_30
; %bb.29:                               ;   in Loop: Header=BB84_7 Depth=2
	ds_write_b64 v51, v[22:23] offset:4096
.LBB84_30:                              ;   in Loop: Header=BB84_7 Depth=2
	s_or_b64 exec, exec, s[18:19]
.LBB84_31:                              ;   in Loop: Header=BB84_7 Depth=2
	s_or_b64 exec, exec, s[12:13]
	s_or_b64 s[12:13], s[10:11], vcc
	s_or_b64 s[12:13], s[14:15], s[12:13]
	s_or_b64 s[12:13], s[12:13], s[44:45]
	s_xor_b64 s[12:13], s[12:13], -1
	s_and_saveexec_b64 s[14:15], s[12:13]
	s_xor_b64 s[12:13], exec, s[14:15]
	s_cbranch_execz .LBB84_33
; %bb.32:                               ;   in Loop: Header=BB84_7 Depth=2
	v_add_co_u32_e32 v0, vcc, v34, v30
	v_addc_co_u32_e32 v1, vcc, v35, v31, vcc
	global_load_dwordx2 v[0:1], v[0:1], off offset:128
	s_waitcnt vmcnt(0)
	ds_write_b64 v51, v[0:1] offset:4224
.LBB84_33:                              ;   in Loop: Header=BB84_7 Depth=2
	s_andn2_saveexec_b64 s[12:13], s[12:13]
	s_cbranch_execz .LBB84_39
; %bb.34:                               ;   in Loop: Header=BB84_7 Depth=2
	s_and_saveexec_b64 s[14:15], s[42:43]
	s_xor_b64 s[14:15], exec, s[14:15]
	s_cbranch_execz .LBB84_36
; %bb.35:                               ;   in Loop: Header=BB84_7 Depth=2
	v_mov_b32_e32 v0, v23
	v_mov_b32_e32 v1, v23
	ds_write_b64 v51, v[0:1] offset:4224
.LBB84_36:                              ;   in Loop: Header=BB84_7 Depth=2
	s_andn2_saveexec_b64 s[14:15], s[14:15]
	s_cbranch_execz .LBB84_38
; %bb.37:                               ;   in Loop: Header=BB84_7 Depth=2
	ds_write_b64 v51, v[22:23] offset:4224
.LBB84_38:                              ;   in Loop: Header=BB84_7 Depth=2
	s_or_b64 exec, exec, s[14:15]
.LBB84_39:                              ;   in Loop: Header=BB84_7 Depth=2
	s_or_b64 exec, exec, s[12:13]
	v_mov_b32_e32 v1, s27
	v_add_co_u32_e32 v0, vcc, s26, v20
	v_addc_co_u32_e32 v1, vcc, v21, v1, vcc
	v_add_co_u32_e32 v2, vcc, v44, v28
	v_addc_co_u32_e32 v3, vcc, v45, v29, vcc
	v_cmp_le_i64_e32 vcc, s[46:47], v[0:1]
	s_or_b64 s[12:13], vcc, s[0:1]
	s_xor_b64 s[12:13], s[12:13], -1
	s_and_saveexec_b64 s[14:15], s[12:13]
	s_xor_b64 s[12:13], exec, s[14:15]
	s_cbranch_execz .LBB84_41
; %bb.40:                               ;   in Loop: Header=BB84_7 Depth=2
	global_load_dwordx2 v[4:5], v[2:3], off offset:-128
	s_waitcnt vmcnt(0)
	ds_write_b64 v55, v[4:5]
.LBB84_41:                              ;   in Loop: Header=BB84_7 Depth=2
	s_andn2_saveexec_b64 s[12:13], s[12:13]
	s_cbranch_execz .LBB84_43
; %bb.42:                               ;   in Loop: Header=BB84_7 Depth=2
	v_mov_b32_e32 v4, v23
	v_mov_b32_e32 v5, v23
	ds_write_b64 v55, v[4:5]
.LBB84_43:                              ;   in Loop: Header=BB84_7 Depth=2
	s_or_b64 exec, exec, s[12:13]
	s_or_b64 s[12:13], vcc, s[2:3]
	s_xor_b64 s[12:13], s[12:13], -1
	s_and_saveexec_b64 s[14:15], s[12:13]
	s_xor_b64 s[12:13], exec, s[14:15]
	s_cbranch_execz .LBB84_45
; %bb.44:                               ;   in Loop: Header=BB84_7 Depth=2
	global_load_dwordx2 v[2:3], v[2:3], off
	s_waitcnt vmcnt(0)
	ds_write_b64 v55, v[2:3] offset:128
.LBB84_45:                              ;   in Loop: Header=BB84_7 Depth=2
	s_andn2_saveexec_b64 s[12:13], s[12:13]
	s_cbranch_execz .LBB84_47
; %bb.46:                               ;   in Loop: Header=BB84_7 Depth=2
	v_mov_b32_e32 v2, v23
	v_mov_b32_e32 v3, v23
	ds_write_b64 v55, v[2:3] offset:128
.LBB84_47:                              ;   in Loop: Header=BB84_7 Depth=2
	s_or_b64 exec, exec, s[12:13]
	v_cmp_le_i64_e32 vcc, s[38:39], v[0:1]
	s_or_b64 s[12:13], vcc, s[0:1]
	s_xor_b64 s[12:13], s[12:13], -1
	s_and_saveexec_b64 s[14:15], s[12:13]
	s_xor_b64 s[14:15], exec, s[14:15]
	s_cbranch_execz .LBB84_49
; %bb.48:                               ;   in Loop: Header=BB84_7 Depth=2
	v_add_co_u32_e64 v0, s[12:13], v44, v36
	v_addc_co_u32_e64 v1, s[12:13], v45, v37, s[12:13]
	global_load_dwordx2 v[0:1], v[0:1], off offset:-128
	s_waitcnt vmcnt(0)
	ds_write_b64 v55, v[0:1] offset:4096
.LBB84_49:                              ;   in Loop: Header=BB84_7 Depth=2
	s_andn2_saveexec_b64 s[12:13], s[14:15]
	s_cbranch_execz .LBB84_51
; %bb.50:                               ;   in Loop: Header=BB84_7 Depth=2
	v_mov_b32_e32 v0, v23
	v_mov_b32_e32 v1, v23
	ds_write_b64 v55, v[0:1] offset:4096
.LBB84_51:                              ;   in Loop: Header=BB84_7 Depth=2
	s_or_b64 exec, exec, s[12:13]
	s_or_b64 s[12:13], vcc, s[2:3]
	s_xor_b64 s[12:13], s[12:13], -1
	s_and_saveexec_b64 s[14:15], s[12:13]
	s_xor_b64 s[12:13], exec, s[14:15]
	s_cbranch_execz .LBB84_53
; %bb.52:                               ;   in Loop: Header=BB84_7 Depth=2
	v_add_co_u32_e32 v0, vcc, v44, v36
	v_addc_co_u32_e32 v1, vcc, v45, v37, vcc
	global_load_dwordx2 v[0:1], v[0:1], off
	s_waitcnt vmcnt(0)
	ds_write_b64 v55, v[0:1] offset:4224
.LBB84_53:                              ;   in Loop: Header=BB84_7 Depth=2
	s_andn2_saveexec_b64 s[12:13], s[12:13]
	s_cbranch_execz .LBB84_6
; %bb.54:                               ;   in Loop: Header=BB84_7 Depth=2
	v_mov_b32_e32 v0, v23
	v_mov_b32_e32 v1, v23
	ds_write_b64 v55, v[0:1] offset:4224
	s_branch .LBB84_6
.LBB84_55:                              ;   in Loop: Header=BB84_4 Depth=1
	v_mul_lo_u32 v2, v25, s48
	v_mul_lo_u32 v3, v24, s49
	v_mad_u64_u32 v[0:1], s[8:9], v24, s48, 0
	v_add3_u32 v1, v1, v3, v2
	v_lshlrev_b64 v[0:1], 3, v[0:1]
	v_mov_b32_e32 v2, s54
	v_add_co_u32_e64 v0, s[8:9], s53, v0
	v_cmp_gt_i32_e32 vcc, s46, v24
	v_addc_co_u32_e64 v1, s[8:9], v2, v1, s[8:9]
	s_and_b64 s[8:9], s[4:5], vcc
	s_and_saveexec_b64 s[10:11], s[8:9]
	s_cbranch_execz .LBB84_57
; %bb.56:                               ;   in Loop: Header=BB84_4 Depth=1
	v_add_co_u32_e64 v2, s[8:9], v0, v12
	v_addc_co_u32_e64 v3, s[8:9], v1, v13, s[8:9]
	global_load_dwordx2 v[4:5], v[2:3], off
	v_pk_mul_f32 v[6:7], v[60:61], s[34:35] op_sel_hi:[0,1]
	v_pk_fma_f32 v[8:9], v[58:59], s[34:35], v[6:7] op_sel:[0,0,1] op_sel_hi:[1,1,0] neg_lo:[0,0,1] neg_hi:[0,0,1]
	v_pk_fma_f32 v[6:7], v[58:59], s[34:35], v[6:7] op_sel:[0,0,1] op_sel_hi:[0,1,0]
	v_mov_b32_e32 v9, v7
	s_waitcnt vmcnt(0)
	v_pk_add_f32 v[4:5], v[4:5], v[8:9]
	global_store_dwordx2 v[2:3], v[4:5], off
.LBB84_57:                              ;   in Loop: Header=BB84_4 Depth=1
	s_or_b64 exec, exec, s[10:11]
	s_and_b64 s[10:11], s[16:17], vcc
	s_and_saveexec_b64 s[8:9], s[10:11]
	s_cbranch_execz .LBB84_59
; %bb.58:                               ;   in Loop: Header=BB84_4 Depth=1
	v_lshlrev_b64 v[2:3], 3, v[16:17]
	v_add_co_u32_e32 v0, vcc, v0, v2
	v_addc_co_u32_e32 v1, vcc, v1, v3, vcc
	global_load_dwordx2 v[2:3], v[0:1], off
	v_pk_mul_f32 v[4:5], v[56:57], s[34:35] op_sel_hi:[0,1]
	v_pk_fma_f32 v[6:7], v[54:55], s[34:35], v[4:5] op_sel:[0,0,1] op_sel_hi:[1,1,0] neg_lo:[0,0,1] neg_hi:[0,0,1]
	v_pk_fma_f32 v[4:5], v[54:55], s[34:35], v[4:5] op_sel:[0,0,1] op_sel_hi:[0,1,0]
	v_mov_b32_e32 v7, v5
	s_waitcnt vmcnt(0)
	v_pk_add_f32 v[2:3], v[2:3], v[6:7]
	global_store_dwordx2 v[0:1], v[2:3], off
.LBB84_59:                              ;   in Loop: Header=BB84_4 Depth=1
	s_or_b64 exec, exec, s[8:9]
	v_add_u32_e32 v0, 16, v24
	v_ashrrev_i32_e32 v1, 31, v0
	v_cmp_gt_i32_e32 vcc, s46, v0
	v_mul_lo_u32 v2, v1, s48
	v_mul_lo_u32 v3, v0, s49
	v_mad_u64_u32 v[0:1], s[8:9], v0, s48, 0
	v_add3_u32 v1, v1, v3, v2
	v_lshlrev_b64 v[0:1], 3, v[0:1]
	v_mov_b32_e32 v2, s54
	v_add_co_u32_e64 v0, s[8:9], s53, v0
	v_addc_co_u32_e64 v1, s[8:9], v2, v1, s[8:9]
	s_and_b64 s[8:9], s[4:5], vcc
	s_and_saveexec_b64 s[10:11], s[8:9]
	s_cbranch_execz .LBB84_61
; %bb.60:                               ;   in Loop: Header=BB84_4 Depth=1
	v_add_co_u32_e64 v2, s[8:9], v0, v12
	v_addc_co_u32_e64 v3, s[8:9], v1, v13, s[8:9]
	global_load_dwordx2 v[4:5], v[2:3], off
	v_pk_mul_f32 v[6:7], v[52:53], s[34:35] op_sel_hi:[0,1]
	v_pk_fma_f32 v[8:9], v[50:51], s[34:35], v[6:7] op_sel:[0,0,1] op_sel_hi:[1,1,0] neg_lo:[0,0,1] neg_hi:[0,0,1]
	v_pk_fma_f32 v[6:7], v[50:51], s[34:35], v[6:7] op_sel:[0,0,1] op_sel_hi:[0,1,0]
	v_mov_b32_e32 v9, v7
	s_waitcnt vmcnt(0)
	v_pk_add_f32 v[4:5], v[4:5], v[8:9]
	global_store_dwordx2 v[2:3], v[4:5], off
.LBB84_61:                              ;   in Loop: Header=BB84_4 Depth=1
	s_or_b64 exec, exec, s[10:11]
	s_and_b64 s[10:11], s[16:17], vcc
	s_and_saveexec_b64 s[8:9], s[10:11]
	s_cbranch_execz .LBB84_3
; %bb.62:                               ;   in Loop: Header=BB84_4 Depth=1
	v_lshlrev_b64 v[2:3], 3, v[16:17]
	v_add_co_u32_e32 v0, vcc, v0, v2
	v_addc_co_u32_e32 v1, vcc, v1, v3, vcc
	global_load_dwordx2 v[2:3], v[0:1], off
	v_pk_mul_f32 v[4:5], v[46:47], s[34:35] op_sel_hi:[0,1]
	v_pk_fma_f32 v[6:7], v[48:49], s[34:35], v[4:5] op_sel:[0,0,1] op_sel_hi:[1,1,0] neg_lo:[0,0,1] neg_hi:[0,0,1]
	v_pk_fma_f32 v[4:5], v[48:49], s[34:35], v[4:5] op_sel:[0,0,1] op_sel_hi:[0,1,0]
	v_mov_b32_e32 v7, v5
	s_waitcnt vmcnt(0)
	v_pk_add_f32 v[2:3], v[2:3], v[6:7]
	global_store_dwordx2 v[0:1], v[2:3], off
	s_branch .LBB84_3
.LBB84_63:
	s_endpgm
	.section	.rodata,"a",@progbits
	.p2align	6, 0x0
	.amdhsa_kernel _ZL30rocblas_trmm_outofplace_kernelI19rocblas_complex_numIfELi32ELi2ELb0ELb0ELb0ELb0EPKS1_S2_S1_Ev17rocblas_diagonal_iiT6_lPT7_lllS7_lllPT8_llli
		.amdhsa_group_segment_fixed_size 16384
		.amdhsa_private_segment_fixed_size 0
		.amdhsa_kernarg_size 392
		.amdhsa_user_sgpr_count 6
		.amdhsa_user_sgpr_private_segment_buffer 1
		.amdhsa_user_sgpr_dispatch_ptr 0
		.amdhsa_user_sgpr_queue_ptr 0
		.amdhsa_user_sgpr_kernarg_segment_ptr 1
		.amdhsa_user_sgpr_dispatch_id 0
		.amdhsa_user_sgpr_flat_scratch_init 0
		.amdhsa_user_sgpr_kernarg_preload_length 0
		.amdhsa_user_sgpr_kernarg_preload_offset 0
		.amdhsa_user_sgpr_private_segment_size 0
		.amdhsa_uses_dynamic_stack 0
		.amdhsa_system_sgpr_private_segment_wavefront_offset 0
		.amdhsa_system_sgpr_workgroup_id_x 1
		.amdhsa_system_sgpr_workgroup_id_y 1
		.amdhsa_system_sgpr_workgroup_id_z 1
		.amdhsa_system_sgpr_workgroup_info 0
		.amdhsa_system_vgpr_workitem_id 1
		.amdhsa_next_free_vgpr 80
		.amdhsa_next_free_sgpr 60
		.amdhsa_accum_offset 80
		.amdhsa_reserve_vcc 1
		.amdhsa_reserve_flat_scratch 0
		.amdhsa_float_round_mode_32 0
		.amdhsa_float_round_mode_16_64 0
		.amdhsa_float_denorm_mode_32 3
		.amdhsa_float_denorm_mode_16_64 3
		.amdhsa_dx10_clamp 1
		.amdhsa_ieee_mode 1
		.amdhsa_fp16_overflow 0
		.amdhsa_tg_split 0
		.amdhsa_exception_fp_ieee_invalid_op 0
		.amdhsa_exception_fp_denorm_src 0
		.amdhsa_exception_fp_ieee_div_zero 0
		.amdhsa_exception_fp_ieee_overflow 0
		.amdhsa_exception_fp_ieee_underflow 0
		.amdhsa_exception_fp_ieee_inexact 0
		.amdhsa_exception_int_div_zero 0
	.end_amdhsa_kernel
	.section	.text._ZL30rocblas_trmm_outofplace_kernelI19rocblas_complex_numIfELi32ELi2ELb0ELb0ELb0ELb0EPKS1_S2_S1_Ev17rocblas_diagonal_iiT6_lPT7_lllS7_lllPT8_llli,"axG",@progbits,_ZL30rocblas_trmm_outofplace_kernelI19rocblas_complex_numIfELi32ELi2ELb0ELb0ELb0ELb0EPKS1_S2_S1_Ev17rocblas_diagonal_iiT6_lPT7_lllS7_lllPT8_llli,comdat
.Lfunc_end84:
	.size	_ZL30rocblas_trmm_outofplace_kernelI19rocblas_complex_numIfELi32ELi2ELb0ELb0ELb0ELb0EPKS1_S2_S1_Ev17rocblas_diagonal_iiT6_lPT7_lllS7_lllPT8_llli, .Lfunc_end84-_ZL30rocblas_trmm_outofplace_kernelI19rocblas_complex_numIfELi32ELi2ELb0ELb0ELb0ELb0EPKS1_S2_S1_Ev17rocblas_diagonal_iiT6_lPT7_lllS7_lllPT8_llli
                                        ; -- End function
	.section	.AMDGPU.csdata,"",@progbits
; Kernel info:
; codeLenInByte = 6600
; NumSgprs: 64
; NumVgprs: 80
; NumAgprs: 0
; TotalNumVgprs: 80
; ScratchSize: 0
; MemoryBound: 1
; FloatMode: 240
; IeeeMode: 1
; LDSByteSize: 16384 bytes/workgroup (compile time only)
; SGPRBlocks: 7
; VGPRBlocks: 9
; NumSGPRsForWavesPerEU: 64
; NumVGPRsForWavesPerEU: 80
; AccumOffset: 80
; Occupancy: 6
; WaveLimiterHint : 0
; COMPUTE_PGM_RSRC2:SCRATCH_EN: 0
; COMPUTE_PGM_RSRC2:USER_SGPR: 6
; COMPUTE_PGM_RSRC2:TRAP_HANDLER: 0
; COMPUTE_PGM_RSRC2:TGID_X_EN: 1
; COMPUTE_PGM_RSRC2:TGID_Y_EN: 1
; COMPUTE_PGM_RSRC2:TGID_Z_EN: 1
; COMPUTE_PGM_RSRC2:TIDIG_COMP_CNT: 1
; COMPUTE_PGM_RSRC3_GFX90A:ACCUM_OFFSET: 19
; COMPUTE_PGM_RSRC3_GFX90A:TG_SPLIT: 0
	.section	.text._ZL30rocblas_trmm_outofplace_kernelI19rocblas_complex_numIfELi32ELi2ELb0ELb0ELb0ELb0ES1_KS1_S1_Ev17rocblas_diagonal_iiT6_lPT7_lllS6_lllPT8_llli,"axG",@progbits,_ZL30rocblas_trmm_outofplace_kernelI19rocblas_complex_numIfELi32ELi2ELb0ELb0ELb0ELb0ES1_KS1_S1_Ev17rocblas_diagonal_iiT6_lPT7_lllS6_lllPT8_llli,comdat
	.globl	_ZL30rocblas_trmm_outofplace_kernelI19rocblas_complex_numIfELi32ELi2ELb0ELb0ELb0ELb0ES1_KS1_S1_Ev17rocblas_diagonal_iiT6_lPT7_lllS6_lllPT8_llli ; -- Begin function _ZL30rocblas_trmm_outofplace_kernelI19rocblas_complex_numIfELi32ELi2ELb0ELb0ELb0ELb0ES1_KS1_S1_Ev17rocblas_diagonal_iiT6_lPT7_lllS6_lllPT8_llli
	.p2align	8
	.type	_ZL30rocblas_trmm_outofplace_kernelI19rocblas_complex_numIfELi32ELi2ELb0ELb0ELb0ELb0ES1_KS1_S1_Ev17rocblas_diagonal_iiT6_lPT7_lllS6_lllPT8_llli,@function
_ZL30rocblas_trmm_outofplace_kernelI19rocblas_complex_numIfELi32ELi2ELb0ELb0ELb0ELb0ES1_KS1_S1_Ev17rocblas_diagonal_iiT6_lPT7_lllS6_lllPT8_llli: ; @_ZL30rocblas_trmm_outofplace_kernelI19rocblas_complex_numIfELi32ELi2ELb0ELb0ELb0ELb0ES1_KS1_S1_Ev17rocblas_diagonal_iiT6_lPT7_lllS6_lllPT8_llli
; %bb.0:
	s_load_dwordx4 s[24:27], s[4:5], 0x0
	s_load_dword s29, s[4:5], 0x10
	s_waitcnt lgkmcnt(0)
	s_or_b32 s0, s27, s29
	s_bitset0_b32 s0, 31
	s_cmp_eq_u32 s0, 0
	s_cbranch_scc1 .LBB85_63
; %bb.1:
	s_add_i32 s0, s26, -1
	s_ashr_i32 s1, s0, 31
	s_lshr_b32 s1, s1, 27
	s_add_i32 s0, s0, s1
	s_ashr_i32 s33, s0, 5
	s_cmp_gt_i32 s7, s33
	s_cbranch_scc1 .LBB85_63
; %bb.2:
	s_load_dwordx16 s[36:51], s[4:5], 0x20
	s_load_dwordx8 s[16:23], s[4:5], 0x60
	v_and_b32_e32 v4, 0x3ff, v0
	s_mov_b32 s28, s27
	v_bfe_u32 v47, v0, 10, 10
	s_waitcnt lgkmcnt(0)
	s_mul_i32 s0, s8, s51
	s_mul_hi_u32 s1, s8, s50
	s_add_i32 s1, s1, s0
	s_mul_i32 s0, s8, s50
	s_lshl_b64 s[0:1], s[0:1], 3
	s_add_u32 s2, s44, s0
	s_addc_u32 s3, s45, s1
	s_lshl_b64 s[0:1], s[46:47], 3
	s_add_u32 s2, s2, s0
	s_addc_u32 s3, s3, s1
	s_mul_i32 s0, s8, s23
	s_mul_hi_u32 s1, s8, s22
	s_add_i32 s1, s1, s0
	s_mul_i32 s0, s8, s22
	s_lshl_b64 s[0:1], s[0:1], 3
	s_add_u32 s9, s16, s0
	s_addc_u32 s10, s17, s1
	s_lshl_b64 s[0:1], s[18:19], 3
	s_add_u32 s52, s9, s0
	s_addc_u32 s53, s10, s1
	s_cmpk_eq_i32 s24, 0x84
	v_lshl_add_u32 v0, s6, 5, v4
	s_cselect_b64 s[22:23], -1, 0
	s_ashr_i32 s27, s26, 31
	s_ashr_i32 s0, s25, 31
	s_lshl_b64 s[30:31], s[48:49], 8
	s_load_dword s6, s[4:5], 0x8c
	v_ashrrev_i32_e32 v1, 31, v0
	s_add_u32 s34, s26, -16
	v_lshlrev_b64 v[12:13], 3, v[0:1]
	s_addc_u32 s35, s27, -1
	s_lshl_b32 s9, s7, 5
	v_mov_b32_e32 v2, s3
	v_add_co_u32_e32 v14, vcc, s2, v12
	v_add_u32_e32 v18, s9, v4
	v_add_u32_e32 v20, s9, v47
	s_mul_i32 s9, s43, s8
	s_mul_hi_u32 s10, s42, s8
	v_addc_co_u32_e32 v15, vcc, v2, v13, vcc
	v_add_u32_e32 v16, 16, v0
	s_add_i32 s9, s10, s9
	s_mul_i32 s8, s42, s8
	v_sub_co_u32_e32 v2, vcc, s25, v0
	v_cmp_gt_i32_e64 s[4:5], s25, v0
	v_cmp_gt_i32_e64 s[16:17], s25, v16
	s_waitcnt lgkmcnt(0)
	s_lshl_b32 s54, s6, 5
	s_lshl_b64 s[24:25], s[48:49], 3
	s_lshl_b64 s[8:9], s[8:9], 3
	;; [unrolled: 1-line block ×3, first 2 shown]
	v_mov_b32_e32 v3, s0
	s_add_u32 s8, s8, s10
	v_subb_co_u32_e32 v3, vcc, v3, v1, vcc
	v_lshlrev_b32_e32 v1, 3, v4
	s_addc_u32 s9, s9, s11
	v_lshlrev_b32_e32 v49, 8, v47
	v_or_b32_e32 v53, 0x2000, v1
	s_add_u32 s36, s36, s8
	v_add_u32_e32 v51, v49, v1
	v_cmp_gt_i64_e64 s[0:1], 1, v[2:3]
	v_add_u32_e32 v55, v53, v49
	v_cmp_gt_i64_e64 s[2:3], 17, v[2:3]
	v_ashrrev_i32_e32 v17, 31, v16
	v_add_u32_e32 v57, 0x2080, v1
	s_addc_u32 s37, s37, s9
	s_lshl_b64 s[38:39], s[40:41], 3
	s_movk_i32 s55, 0x80
	v_mov_b32_e32 v23, 0
	v_mov_b32_e32 v22, 1.0
	s_branch .LBB85_4
.LBB85_3:                               ;   in Loop: Header=BB85_4 Depth=1
	s_or_b64 exec, exec, s[8:9]
	s_add_i32 s7, s6, s7
	v_add_u32_e32 v18, s54, v18
	s_cmp_le_i32 s7, s33
	v_add_u32_e32 v20, s54, v20
	s_cbranch_scc0 .LBB85_63
.LBB85_4:                               ; =>This Loop Header: Depth=1
                                        ;     Child Loop BB85_7 Depth 2
	s_lshl_b32 s8, s7, 5
	v_add_u32_e32 v24, s8, v47
	s_sub_i32 s56, s26, s8
	v_ashrrev_i32_e32 v19, 31, v18
	v_ashrrev_i32_e32 v21, 31, v20
	;; [unrolled: 1-line block ×3, first 2 shown]
	s_cmp_lt_i32 s56, 1
	v_mov_b32_e32 v58, v23
	v_mov_b32_e32 v60, v23
	;; [unrolled: 1-line block ×8, first 2 shown]
	s_cbranch_scc1 .LBB85_55
; %bb.5:                                ;   in Loop: Header=BB85_4 Depth=1
	v_mov_b32_e32 v0, 0x80
	v_mov_b32_e32 v1, 0
	v_mad_u64_u32 v[28:29], s[8:9], s24, v20, v[0:1]
	v_mul_lo_u32 v2, s24, v21
	v_mul_lo_u32 v3, s25, v20
	v_add3_u32 v29, v3, v29, v2
	v_pk_mov_b32 v[2:3], s[36:37], s[36:37] op_sel:[0,1]
	v_sub_co_u32_e32 v26, vcc, v20, v18
	v_mad_u64_u32 v[32:33], s[8:9], s38, v20, v[2:3]
	v_mul_lo_u32 v4, s38, v21
	v_mul_lo_u32 v5, s39, v20
	v_subb_co_u32_e32 v27, vcc, v21, v19, vcc
	v_add3_u32 v33, v5, v33, v4
	v_lshlrev_b64 v[4:5], 3, v[20:21]
	v_add_co_u32_e32 v4, vcc, s55, v4
	v_addc_co_u32_e32 v5, vcc, 0, v5, vcc
	v_add_co_u32_e32 v38, vcc, 16, v24
	v_addc_co_u32_e32 v39, vcc, 0, v25, vcc
	;; [unrolled: 2-line block ×3, first 2 shown]
	v_mul_lo_u32 v6, s40, v5
	v_mul_lo_u32 v7, s41, v4
	v_mad_u64_u32 v[34:35], s[8:9], s40, v4, v[2:3]
	v_mul_lo_u32 v2, s48, v5
	v_mul_lo_u32 v3, s49, v4
	v_mad_u64_u32 v[36:37], s[8:9], s48, v4, v[0:1]
	v_add_co_u32_e32 v42, vcc, -16, v26
	v_lshlrev_b64 v[30:31], 3, v[18:19]
	v_add3_u32 v35, v7, v35, v6
	v_add3_u32 v37, v3, v37, v2
	v_cmp_le_i32_e64 s[8:9], s26, v24
	v_cmp_le_i64_e64 s[10:11], s[26:27], v[38:39]
	v_addc_co_u32_e32 v43, vcc, -1, v27, vcc
	s_mov_b64 s[42:43], 0
	v_mov_b32_e32 v46, 0
	v_pk_mov_b32 v[44:45], v[14:15], v[14:15] op_sel:[0,1]
	v_mov_b32_e32 v48, 0
	v_mov_b32_e32 v52, 0
	;; [unrolled: 1-line block ×7, first 2 shown]
	s_branch .LBB85_7
.LBB85_6:                               ;   in Loop: Header=BB85_7 Depth=2
	s_or_b64 exec, exec, s[12:13]
	s_waitcnt lgkmcnt(0)
	s_barrier
	ds_read2_b64 v[62:65], v53 offset1:32
	ds_read_b128 v[66:69], v49
	ds_read_b128 v[8:11], v49 offset:16
	ds_read_b128 v[4:7], v49 offset:32
	;; [unrolled: 1-line block ×3, first 2 shown]
	ds_read2_b64 v[70:73], v57 offset1:32
	s_waitcnt lgkmcnt(4)
	v_mul_f32_e32 v59, v67, v63
	v_fma_f32 v59, v66, v62, -v59
	v_mul_f32_e32 v61, v66, v63
	v_fmac_f32_e32 v61, v67, v62
	v_add_f32_e32 v78, v58, v59
	s_waitcnt lgkmcnt(0)
	v_mul_f32_e32 v58, v67, v71
	v_add_f32_e32 v79, v60, v61
	v_fma_f32 v74, v66, v70, -v58
	ds_read_b128 v[58:61], v49 offset:4096
	v_mul_f32_e32 v66, v66, v71
	v_fmac_f32_e32 v66, v67, v70
	v_add_f32_e32 v54, v54, v74
	ds_read_b128 v[74:77], v49 offset:4112
	v_add_f32_e32 v56, v56, v66
	s_waitcnt lgkmcnt(1)
	v_mul_f32_e32 v66, v59, v63
	v_mul_f32_e32 v63, v58, v63
	v_fma_f32 v66, v58, v62, -v66
	v_fmac_f32_e32 v63, v59, v62
	v_mul_f32_e32 v62, v59, v71
	v_fma_f32 v62, v58, v70, -v62
	v_mul_f32_e32 v58, v58, v71
	v_fmac_f32_e32 v58, v59, v70
	v_add_f32_e32 v46, v46, v58
	v_mul_f32_e32 v58, v69, v65
	v_mul_f32_e32 v59, v68, v65
	v_fma_f32 v58, v68, v64, -v58
	v_fmac_f32_e32 v59, v69, v64
	v_add_f32_e32 v50, v50, v66
	v_add_f32_e32 v66, v78, v58
	;; [unrolled: 1-line block ×3, first 2 shown]
	v_mul_f32_e32 v58, v69, v73
	v_mul_f32_e32 v59, v68, v73
	v_fma_f32 v58, v68, v72, -v58
	v_fmac_f32_e32 v59, v69, v72
	v_add_f32_e32 v54, v54, v58
	v_add_f32_e32 v56, v56, v59
	v_mul_f32_e32 v58, v61, v65
	v_mul_f32_e32 v59, v60, v65
	v_add_f32_e32 v52, v52, v63
	v_add_f32_e32 v48, v48, v62
	v_fma_f32 v58, v60, v64, -v58
	v_fmac_f32_e32 v59, v61, v64
	ds_read2_b64 v[62:65], v53 offset0:64 offset1:96
	v_add_f32_e32 v50, v50, v58
	v_mul_f32_e32 v58, v61, v73
	v_add_f32_e32 v52, v52, v59
	v_fma_f32 v58, v60, v72, -v58
	v_mul_f32_e32 v59, v60, v73
	v_fmac_f32_e32 v59, v61, v72
	v_add_f32_e32 v48, v48, v58
	s_waitcnt lgkmcnt(0)
	v_mul_f32_e32 v58, v9, v63
	v_add_f32_e32 v46, v46, v59
	v_fma_f32 v68, v8, v62, -v58
	ds_read2_b64 v[58:61], v57 offset0:64 offset1:96
	v_add_f32_e32 v66, v66, v68
	v_mul_f32_e32 v69, v8, v63
	v_fmac_f32_e32 v69, v9, v62
	v_add_f32_e32 v67, v67, v69
	s_waitcnt lgkmcnt(0)
	v_mul_f32_e32 v68, v9, v59
	v_fma_f32 v68, v8, v58, -v68
	v_mul_f32_e32 v8, v8, v59
	v_fmac_f32_e32 v8, v9, v58
	v_add_f32_e32 v9, v54, v68
	v_mul_f32_e32 v54, v75, v63
	v_add_f32_e32 v8, v56, v8
	v_fma_f32 v54, v74, v62, -v54
	v_mul_f32_e32 v56, v74, v63
	v_fmac_f32_e32 v56, v75, v62
	v_add_f32_e32 v50, v50, v54
	v_mul_f32_e32 v54, v75, v59
	v_add_f32_e32 v52, v52, v56
	v_fma_f32 v54, v74, v58, -v54
	v_mul_f32_e32 v56, v74, v59
	v_fmac_f32_e32 v56, v75, v58
	v_add_f32_e32 v48, v48, v54
	v_mul_f32_e32 v54, v11, v65
	v_mul_f32_e32 v58, v11, v61
	v_add_f32_e32 v46, v46, v56
	v_fma_f32 v54, v10, v64, -v54
	v_mul_f32_e32 v56, v10, v65
	v_fma_f32 v58, v10, v60, -v58
	v_mul_f32_e32 v10, v10, v61
	v_fmac_f32_e32 v56, v11, v64
	v_fmac_f32_e32 v10, v11, v60
	v_add_f32_e32 v56, v67, v56
	v_add_f32_e32 v67, v8, v10
	v_mul_f32_e32 v8, v77, v65
	v_add_f32_e32 v54, v66, v54
	v_add_f32_e32 v66, v9, v58
	v_fma_f32 v8, v76, v64, -v8
	v_mul_f32_e32 v9, v76, v65
	v_fmac_f32_e32 v9, v77, v64
	v_add_f32_e32 v50, v50, v8
	v_mul_f32_e32 v8, v77, v61
	v_add_f32_e32 v52, v52, v9
	v_fma_f32 v58, v76, v60, -v8
	ds_read2_b64 v[8:11], v53 offset0:128 offset1:160
	v_mul_f32_e32 v59, v76, v61
	v_fmac_f32_e32 v59, v77, v60
	v_add_f32_e32 v48, v48, v58
	v_add_f32_e32 v46, v46, v59
	s_waitcnt lgkmcnt(0)
	v_mul_f32_e32 v58, v5, v9
	v_fma_f32 v62, v4, v8, -v58
	ds_read2_b64 v[58:61], v57 offset0:128 offset1:160
	v_mul_f32_e32 v63, v4, v9
	v_fmac_f32_e32 v63, v5, v8
	v_add_f32_e32 v54, v54, v62
	v_add_f32_e32 v56, v56, v63
	s_waitcnt lgkmcnt(0)
	v_mul_f32_e32 v62, v5, v59
	v_fma_f32 v68, v4, v58, -v62
	ds_read_b128 v[62:65], v49 offset:4128
	v_mul_f32_e32 v4, v4, v59
	v_fmac_f32_e32 v4, v5, v58
	v_add_f32_e32 v5, v66, v68
	v_add_f32_e32 v4, v67, v4
	ds_read_b128 v[66:69], v49 offset:4144
	s_waitcnt lgkmcnt(1)
	v_mul_f32_e32 v70, v63, v9
	v_fma_f32 v70, v62, v8, -v70
	v_mul_f32_e32 v9, v62, v9
	v_fmac_f32_e32 v9, v63, v8
	v_add_f32_e32 v8, v50, v70
	v_mul_f32_e32 v50, v63, v59
	v_fma_f32 v50, v62, v58, -v50
	v_add_f32_e32 v48, v48, v50
	v_mul_f32_e32 v50, v7, v11
	v_add_f32_e32 v9, v52, v9
	v_mul_f32_e32 v52, v62, v59
	v_fma_f32 v50, v6, v10, -v50
	v_fmac_f32_e32 v52, v63, v58
	v_add_f32_e32 v50, v54, v50
	v_mul_f32_e32 v54, v7, v61
	v_add_f32_e32 v46, v46, v52
	v_mul_f32_e32 v52, v6, v11
	v_fma_f32 v54, v6, v60, -v54
	v_mul_f32_e32 v6, v6, v61
	v_fmac_f32_e32 v52, v7, v10
	v_fmac_f32_e32 v6, v7, v60
	v_add_f32_e32 v52, v56, v52
	v_add_f32_e32 v56, v4, v6
	v_mul_f32_e32 v4, v65, v11
	v_add_f32_e32 v54, v5, v54
	v_fma_f32 v4, v64, v10, -v4
	v_mul_f32_e32 v5, v64, v11
	v_fmac_f32_e32 v5, v65, v10
	v_add_f32_e32 v58, v8, v4
	v_mul_f32_e32 v4, v65, v61
	v_add_f32_e32 v59, v9, v5
	v_fma_f32 v8, v64, v60, -v4
	ds_read2_b64 v[4:7], v53 offset0:192 offset1:224
	v_mul_f32_e32 v9, v64, v61
	v_fmac_f32_e32 v9, v65, v60
	v_add_f32_e32 v48, v48, v8
	v_add_f32_e32 v46, v46, v9
	s_waitcnt lgkmcnt(0)
	v_mul_f32_e32 v8, v1, v5
	v_fma_f32 v60, v0, v4, -v8
	ds_read2_b64 v[8:11], v57 offset0:192 offset1:224
	v_add_f32_e32 v50, v50, v60
	v_mul_f32_e32 v61, v0, v5
	v_fmac_f32_e32 v61, v1, v4
	v_add_f32_e32 v52, v52, v61
	s_waitcnt lgkmcnt(0)
	v_mul_f32_e32 v60, v1, v9
	v_fma_f32 v60, v0, v8, -v60
	v_mul_f32_e32 v0, v0, v9
	v_fmac_f32_e32 v0, v1, v8
	v_add_f32_e32 v1, v54, v60
	v_mul_f32_e32 v54, v67, v5
	v_fma_f32 v54, v66, v4, -v54
	v_mul_f32_e32 v5, v66, v5
	v_fmac_f32_e32 v5, v67, v4
	v_add_f32_e32 v4, v58, v54
	v_mul_f32_e32 v54, v67, v9
	v_mul_f32_e32 v9, v66, v9
	v_fma_f32 v54, v66, v8, -v54
	v_fmac_f32_e32 v9, v67, v8
	v_mul_f32_e32 v8, v3, v7
	v_fma_f32 v8, v2, v6, -v8
	v_add_f32_e32 v50, v50, v8
	v_mul_f32_e32 v8, v3, v11
	v_add_f32_e32 v46, v46, v9
	v_mul_f32_e32 v9, v2, v7
	v_fma_f32 v8, v2, v10, -v8
	v_mul_f32_e32 v2, v2, v11
	v_add_f32_e32 v0, v56, v0
	v_fmac_f32_e32 v2, v3, v10
	v_add_f32_e32 v56, v0, v2
	v_mul_f32_e32 v0, v69, v7
	v_add_f32_e32 v48, v48, v54
	v_add_f32_e32 v54, v1, v8
	v_fma_f32 v0, v68, v6, -v0
	v_mul_f32_e32 v1, v68, v7
	v_add_f32_e32 v5, v59, v5
	v_fmac_f32_e32 v9, v3, v6
	v_fmac_f32_e32 v1, v69, v6
	v_add_f32_e32 v74, v4, v0
	v_mul_f32_e32 v0, v69, v11
	v_add_u32_e32 v4, 0x800, v53
	v_add_f32_e32 v52, v52, v9
	v_add_f32_e32 v75, v5, v1
	v_fma_f32 v5, v68, v10, -v0
	ds_read2_b64 v[0:3], v4 offset1:32
	ds_read_b128 v[6:9], v49 offset:64
	v_mul_f32_e32 v11, v68, v11
	v_fmac_f32_e32 v11, v69, v10
	v_add_f32_e32 v10, v48, v5
	v_add_f32_e32 v11, v46, v11
	s_waitcnt lgkmcnt(0)
	v_mul_f32_e32 v5, v7, v1
	v_fma_f32 v46, v6, v0, -v5
	v_add_u32_e32 v5, 0x800, v57
	ds_read2_b64 v[62:65], v5 offset1:32
	ds_read_b128 v[58:61], v49 offset:80
	ds_read_b128 v[66:69], v49 offset:4160
	v_add_f32_e32 v46, v50, v46
	v_mul_f32_e32 v48, v6, v1
	s_waitcnt lgkmcnt(2)
	v_mul_f32_e32 v50, v7, v63
	v_fma_f32 v50, v6, v62, -v50
	v_mul_f32_e32 v6, v6, v63
	v_fmac_f32_e32 v48, v7, v0
	v_fmac_f32_e32 v6, v7, v62
	v_add_f32_e32 v7, v54, v50
	s_waitcnt lgkmcnt(0)
	v_mul_f32_e32 v50, v67, v1
	v_fma_f32 v50, v66, v0, -v50
	v_mul_f32_e32 v1, v66, v1
	v_fmac_f32_e32 v1, v67, v0
	v_add_f32_e32 v0, v74, v50
	v_mul_f32_e32 v50, v67, v63
	v_fma_f32 v50, v66, v62, -v50
	v_add_f32_e32 v10, v10, v50
	v_mul_f32_e32 v50, v9, v3
	v_add_f32_e32 v48, v52, v48
	v_mul_f32_e32 v52, v66, v63
	v_fma_f32 v50, v8, v2, -v50
	v_fmac_f32_e32 v52, v67, v62
	v_add_f32_e32 v46, v46, v50
	v_mul_f32_e32 v50, v9, v65
	v_add_f32_e32 v11, v11, v52
	v_mul_f32_e32 v52, v8, v3
	v_fma_f32 v50, v8, v64, -v50
	v_mul_f32_e32 v8, v8, v65
	v_add_f32_e32 v6, v56, v6
	v_fmac_f32_e32 v52, v9, v2
	v_fmac_f32_e32 v8, v9, v64
	v_add_f32_e32 v48, v48, v52
	v_add_f32_e32 v52, v6, v8
	v_mul_f32_e32 v6, v69, v3
	v_fma_f32 v6, v68, v2, -v6
	v_mul_f32_e32 v3, v68, v3
	v_add_f32_e32 v1, v75, v1
	v_fmac_f32_e32 v3, v69, v2
	v_add_f32_e32 v54, v0, v6
	v_mul_f32_e32 v0, v69, v65
	v_add_f32_e32 v56, v1, v3
	v_fma_f32 v6, v68, v64, -v0
	ds_read2_b64 v[0:3], v4 offset0:64 offset1:96
	v_add_f32_e32 v50, v7, v50
	v_mul_f32_e32 v7, v68, v65
	v_fmac_f32_e32 v7, v69, v64
	v_add_f32_e32 v10, v10, v6
	s_waitcnt lgkmcnt(0)
	v_mul_f32_e32 v6, v59, v1
	v_add_f32_e32 v11, v11, v7
	v_fma_f32 v62, v58, v0, -v6
	ds_read2_b64 v[6:9], v5 offset0:64 offset1:96
	ds_read_b128 v[70:73], v49 offset:4176
	v_add_f32_e32 v46, v46, v62
	v_mul_f32_e32 v63, v58, v1
	v_fmac_f32_e32 v63, v59, v0
	s_waitcnt lgkmcnt(1)
	v_mul_f32_e32 v62, v59, v7
	v_fma_f32 v62, v58, v6, -v62
	v_mul_f32_e32 v58, v58, v7
	v_fmac_f32_e32 v58, v59, v6
	v_add_f32_e32 v52, v52, v58
	s_waitcnt lgkmcnt(0)
	v_mul_f32_e32 v58, v71, v1
	v_fma_f32 v58, v70, v0, -v58
	v_mul_f32_e32 v1, v70, v1
	v_fmac_f32_e32 v1, v71, v0
	v_add_f32_e32 v0, v54, v58
	v_mul_f32_e32 v54, v71, v7
	v_fma_f32 v54, v70, v6, -v54
	v_mul_f32_e32 v7, v70, v7
	v_fmac_f32_e32 v7, v71, v6
	v_add_f32_e32 v6, v10, v54
	v_mul_f32_e32 v10, v61, v3
	v_fma_f32 v10, v60, v2, -v10
	v_add_f32_e32 v10, v46, v10
	v_mul_f32_e32 v46, v61, v9
	v_add_f32_e32 v50, v50, v62
	v_add_f32_e32 v7, v11, v7
	v_mul_f32_e32 v11, v60, v3
	v_fma_f32 v46, v60, v8, -v46
	v_add_f32_e32 v48, v48, v63
	v_fmac_f32_e32 v11, v61, v2
	v_add_f32_e32 v46, v50, v46
	v_mul_f32_e32 v50, v73, v3
	v_add_f32_e32 v11, v48, v11
	v_mul_f32_e32 v48, v60, v9
	v_fma_f32 v50, v72, v2, -v50
	v_mul_f32_e32 v3, v72, v3
	v_add_f32_e32 v1, v56, v1
	v_fmac_f32_e32 v48, v61, v8
	v_fmac_f32_e32 v3, v73, v2
	v_add_f32_e32 v50, v0, v50
	v_mul_f32_e32 v0, v73, v9
	v_add_f32_e32 v48, v52, v48
	v_add_f32_e32 v52, v1, v3
	v_fma_f32 v54, v72, v8, -v0
	ds_read2_b64 v[0:3], v4 offset0:128 offset1:160
	ds_read_b128 v[58:61], v49 offset:96
	v_mul_f32_e32 v9, v72, v9
	v_fmac_f32_e32 v9, v73, v8
	v_add_f32_e32 v54, v6, v54
	v_add_f32_e32 v56, v7, v9
	s_waitcnt lgkmcnt(0)
	v_mul_f32_e32 v62, v59, v1
	v_fma_f32 v66, v58, v0, -v62
	ds_read2_b64 v[62:65], v5 offset0:128 offset1:160
	v_mul_f32_e32 v67, v58, v1
	v_fmac_f32_e32 v67, v59, v0
	v_add_f32_e32 v10, v10, v66
	ds_read_b128 v[6:9], v49 offset:112
	s_waitcnt lgkmcnt(1)
	v_mul_f32_e32 v66, v59, v63
	v_add_f32_e32 v11, v11, v67
	v_fma_f32 v70, v58, v62, -v66
	ds_read_b128 v[66:69], v49 offset:4192
	v_mul_f32_e32 v58, v58, v63
	v_fmac_f32_e32 v58, v59, v62
	v_add_f32_e32 v48, v48, v58
	v_add_f32_e32 v46, v46, v70
	s_waitcnt lgkmcnt(0)
	v_mul_f32_e32 v58, v67, v1
	v_fma_f32 v58, v66, v0, -v58
	v_mul_f32_e32 v1, v66, v1
	v_fmac_f32_e32 v1, v67, v0
	v_add_f32_e32 v0, v50, v58
	v_mul_f32_e32 v50, v67, v63
	v_fma_f32 v50, v66, v62, -v50
	v_add_f32_e32 v50, v54, v50
	v_mul_f32_e32 v54, v61, v3
	v_add_f32_e32 v1, v52, v1
	v_mul_f32_e32 v52, v66, v63
	v_fma_f32 v54, v60, v2, -v54
	v_fmac_f32_e32 v52, v67, v62
	v_add_f32_e32 v10, v10, v54
	v_mul_f32_e32 v54, v61, v65
	v_add_f32_e32 v52, v56, v52
	v_mul_f32_e32 v56, v60, v3
	v_fma_f32 v54, v60, v64, -v54
	v_fmac_f32_e32 v56, v61, v2
	v_add_f32_e32 v46, v46, v54
	v_mul_f32_e32 v54, v69, v3
	v_add_f32_e32 v11, v11, v56
	v_mul_f32_e32 v56, v60, v65
	v_fma_f32 v54, v68, v2, -v54
	v_mul_f32_e32 v3, v68, v3
	v_fmac_f32_e32 v56, v61, v64
	v_fmac_f32_e32 v3, v69, v2
	v_add_f32_e32 v54, v0, v54
	v_mul_f32_e32 v0, v69, v65
	v_add_f32_e32 v48, v48, v56
	v_add_f32_e32 v56, v1, v3
	v_fma_f32 v58, v68, v64, -v0
	ds_read2_b64 v[0:3], v4 offset0:192 offset1:224
	v_add_f32_e32 v50, v50, v58
	ds_read2_b64 v[58:61], v5 offset0:192 offset1:224
	ds_read_b128 v[70:73], v49 offset:4208
	v_mul_f32_e32 v4, v68, v65
	s_waitcnt lgkmcnt(2)
	v_mul_f32_e32 v5, v6, v1
	v_fmac_f32_e32 v4, v69, v64
	v_fmac_f32_e32 v5, v7, v0
	v_add_f32_e32 v4, v52, v4
	v_mul_f32_e32 v52, v7, v1
	v_add_f32_e32 v5, v11, v5
	s_waitcnt lgkmcnt(1)
	v_mul_f32_e32 v11, v7, v59
	v_fma_f32 v52, v6, v0, -v52
	v_fma_f32 v11, v6, v58, -v11
	v_mul_f32_e32 v6, v6, v59
	v_fmac_f32_e32 v6, v7, v58
	v_add_f32_e32 v7, v46, v11
	s_waitcnt lgkmcnt(0)
	v_mul_f32_e32 v46, v70, v59
	v_fmac_f32_e32 v46, v71, v58
	v_mul_f32_e32 v11, v71, v1
	v_add_f32_e32 v46, v4, v46
	v_mul_f32_e32 v4, v9, v3
	v_add_f32_e32 v10, v10, v52
	v_fma_f32 v11, v70, v0, -v11
	v_mul_f32_e32 v1, v70, v1
	v_fma_f32 v4, v8, v2, -v4
	v_fmac_f32_e32 v1, v71, v0
	v_add_f32_e32 v0, v54, v11
	v_mul_f32_e32 v11, v71, v59
	v_add_f32_e32 v10, v10, v4
	v_mul_f32_e32 v4, v9, v61
	v_add_f32_e32 v6, v48, v6
	v_fma_f32 v11, v70, v58, -v11
	v_mul_f32_e32 v48, v8, v3
	v_fma_f32 v4, v8, v60, -v4
	v_add_f32_e32 v11, v50, v11
	v_fmac_f32_e32 v48, v9, v2
	v_add_f32_e32 v50, v7, v4
	v_mul_f32_e32 v4, v73, v3
	v_add_f32_e32 v48, v5, v48
	v_mul_f32_e32 v5, v8, v61
	v_fma_f32 v4, v72, v2, -v4
	v_mul_f32_e32 v3, v72, v3
	v_add_f32_e32 v1, v56, v1
	v_fmac_f32_e32 v5, v9, v60
	v_fmac_f32_e32 v3, v73, v2
	v_add_f32_e32 v54, v0, v4
	v_mul_f32_e32 v0, v73, v61
	v_add_u32_e32 v4, 0x1000, v53
	v_add_f32_e32 v52, v6, v5
	v_add_f32_e32 v56, v1, v3
	v_fma_f32 v5, v72, v60, -v0
	ds_read2_b64 v[0:3], v4 offset1:32
	ds_read_b128 v[6:9], v49 offset:128
	v_add_f32_e32 v11, v11, v5
	v_mul_f32_e32 v58, v72, v61
	v_fmac_f32_e32 v58, v73, v60
	v_add_f32_e32 v46, v46, v58
	s_waitcnt lgkmcnt(0)
	v_mul_f32_e32 v5, v7, v1
	v_fma_f32 v66, v6, v0, -v5
	v_add_u32_e32 v5, 0x1000, v57
	ds_read2_b64 v[62:65], v5 offset1:32
	v_mul_f32_e32 v67, v6, v1
	v_fmac_f32_e32 v67, v7, v0
	v_add_f32_e32 v10, v10, v66
	ds_read_b128 v[58:61], v49 offset:144
	s_waitcnt lgkmcnt(1)
	v_mul_f32_e32 v66, v7, v63
	v_add_f32_e32 v48, v48, v67
	v_fma_f32 v70, v6, v62, -v66
	ds_read_b128 v[66:69], v49 offset:4224
	v_mul_f32_e32 v6, v6, v63
	v_fmac_f32_e32 v6, v7, v62
	v_add_f32_e32 v7, v50, v70
	v_add_f32_e32 v6, v52, v6
	s_waitcnt lgkmcnt(0)
	v_mul_f32_e32 v50, v67, v1
	v_fma_f32 v50, v66, v0, -v50
	v_mul_f32_e32 v1, v66, v1
	v_fmac_f32_e32 v1, v67, v0
	v_add_f32_e32 v0, v54, v50
	v_mul_f32_e32 v50, v67, v63
	v_fma_f32 v50, v66, v62, -v50
	v_add_f32_e32 v11, v11, v50
	v_mul_f32_e32 v50, v9, v3
	v_mul_f32_e32 v52, v66, v63
	v_fma_f32 v50, v8, v2, -v50
	v_fmac_f32_e32 v52, v67, v62
	v_add_f32_e32 v10, v10, v50
	v_mul_f32_e32 v50, v9, v65
	v_add_f32_e32 v46, v46, v52
	v_mul_f32_e32 v52, v8, v3
	v_fma_f32 v50, v8, v64, -v50
	v_mul_f32_e32 v8, v8, v65
	v_fmac_f32_e32 v52, v9, v2
	v_fmac_f32_e32 v8, v9, v64
	v_add_f32_e32 v48, v48, v52
	v_add_f32_e32 v52, v6, v8
	v_mul_f32_e32 v6, v69, v3
	v_fma_f32 v6, v68, v2, -v6
	v_mul_f32_e32 v3, v68, v3
	v_add_f32_e32 v1, v56, v1
	v_fmac_f32_e32 v3, v69, v2
	v_add_f32_e32 v54, v0, v6
	v_mul_f32_e32 v0, v69, v65
	v_add_f32_e32 v56, v1, v3
	v_fma_f32 v6, v68, v64, -v0
	ds_read2_b64 v[0:3], v4 offset0:64 offset1:96
	v_add_f32_e32 v50, v7, v50
	v_mul_f32_e32 v7, v68, v65
	v_fmac_f32_e32 v7, v69, v64
	v_add_f32_e32 v11, v11, v6
	s_waitcnt lgkmcnt(0)
	v_mul_f32_e32 v6, v59, v1
	v_add_f32_e32 v46, v46, v7
	v_fma_f32 v62, v58, v0, -v6
	ds_read2_b64 v[6:9], v5 offset0:64 offset1:96
	ds_read_b128 v[70:73], v49 offset:4240
	v_add_f32_e32 v10, v10, v62
	v_mul_f32_e32 v63, v58, v1
	v_fmac_f32_e32 v63, v59, v0
	s_waitcnt lgkmcnt(1)
	v_mul_f32_e32 v62, v59, v7
	v_fma_f32 v62, v58, v6, -v62
	v_mul_f32_e32 v58, v58, v7
	v_fmac_f32_e32 v58, v59, v6
	v_add_f32_e32 v52, v52, v58
	s_waitcnt lgkmcnt(0)
	v_mul_f32_e32 v58, v71, v1
	v_fma_f32 v58, v70, v0, -v58
	v_mul_f32_e32 v1, v70, v1
	v_fmac_f32_e32 v1, v71, v0
	v_add_f32_e32 v0, v54, v58
	v_mul_f32_e32 v54, v71, v7
	v_mul_f32_e32 v7, v70, v7
	v_fma_f32 v54, v70, v6, -v54
	v_fmac_f32_e32 v7, v71, v6
	v_add_f32_e32 v6, v11, v54
	v_add_f32_e32 v7, v46, v7
	v_mul_f32_e32 v11, v61, v3
	v_mul_f32_e32 v46, v60, v3
	v_add_f32_e32 v48, v48, v63
	v_fma_f32 v11, v60, v2, -v11
	v_fmac_f32_e32 v46, v61, v2
	v_add_f32_e32 v10, v10, v11
	v_add_f32_e32 v11, v48, v46
	v_mul_f32_e32 v46, v61, v9
	v_add_f32_e32 v50, v50, v62
	v_fma_f32 v46, v60, v8, -v46
	v_add_f32_e32 v46, v50, v46
	v_mul_f32_e32 v50, v73, v3
	v_mul_f32_e32 v48, v60, v9
	v_fma_f32 v50, v72, v2, -v50
	v_mul_f32_e32 v3, v72, v3
	v_add_f32_e32 v1, v56, v1
	v_fmac_f32_e32 v48, v61, v8
	v_fmac_f32_e32 v3, v73, v2
	v_add_f32_e32 v50, v0, v50
	v_mul_f32_e32 v0, v73, v9
	v_add_f32_e32 v48, v52, v48
	v_add_f32_e32 v52, v1, v3
	v_fma_f32 v54, v72, v8, -v0
	ds_read2_b64 v[0:3], v4 offset0:128 offset1:160
	ds_read_b128 v[58:61], v49 offset:160
	v_mul_f32_e32 v9, v72, v9
	v_fmac_f32_e32 v9, v73, v8
	v_add_f32_e32 v54, v6, v54
	v_add_f32_e32 v56, v7, v9
	s_waitcnt lgkmcnt(0)
	v_mul_f32_e32 v62, v59, v1
	v_fma_f32 v66, v58, v0, -v62
	ds_read2_b64 v[62:65], v5 offset0:128 offset1:160
	v_mul_f32_e32 v67, v58, v1
	v_fmac_f32_e32 v67, v59, v0
	v_add_f32_e32 v10, v10, v66
	ds_read_b128 v[6:9], v49 offset:176
	s_waitcnt lgkmcnt(1)
	v_mul_f32_e32 v66, v59, v63
	v_add_f32_e32 v11, v11, v67
	v_fma_f32 v70, v58, v62, -v66
	ds_read_b128 v[66:69], v49 offset:4256
	v_mul_f32_e32 v58, v58, v63
	v_fmac_f32_e32 v58, v59, v62
	v_add_f32_e32 v48, v48, v58
	v_add_f32_e32 v46, v46, v70
	s_waitcnt lgkmcnt(0)
	v_mul_f32_e32 v58, v67, v1
	v_fma_f32 v58, v66, v0, -v58
	v_mul_f32_e32 v1, v66, v1
	v_fmac_f32_e32 v1, v67, v0
	v_add_f32_e32 v0, v50, v58
	v_mul_f32_e32 v50, v67, v63
	v_fma_f32 v50, v66, v62, -v50
	v_add_f32_e32 v50, v54, v50
	v_mul_f32_e32 v54, v61, v3
	v_add_f32_e32 v1, v52, v1
	v_mul_f32_e32 v52, v66, v63
	v_fma_f32 v54, v60, v2, -v54
	v_fmac_f32_e32 v52, v67, v62
	v_add_f32_e32 v10, v10, v54
	v_mul_f32_e32 v54, v61, v65
	v_add_f32_e32 v52, v56, v52
	v_mul_f32_e32 v56, v60, v3
	v_fma_f32 v54, v60, v64, -v54
	v_fmac_f32_e32 v56, v61, v2
	v_add_f32_e32 v46, v46, v54
	v_mul_f32_e32 v54, v69, v3
	v_add_f32_e32 v11, v11, v56
	v_mul_f32_e32 v56, v60, v65
	v_fma_f32 v54, v68, v2, -v54
	v_mul_f32_e32 v3, v68, v3
	v_fmac_f32_e32 v56, v61, v64
	v_fmac_f32_e32 v3, v69, v2
	v_add_f32_e32 v54, v0, v54
	v_mul_f32_e32 v0, v69, v65
	v_add_f32_e32 v48, v48, v56
	v_add_f32_e32 v56, v1, v3
	v_fma_f32 v58, v68, v64, -v0
	ds_read2_b64 v[0:3], v4 offset0:192 offset1:224
	v_add_f32_e32 v50, v50, v58
	ds_read2_b64 v[58:61], v5 offset0:192 offset1:224
	ds_read_b128 v[70:73], v49 offset:4272
	v_mul_f32_e32 v4, v68, v65
	s_waitcnt lgkmcnt(2)
	v_mul_f32_e32 v5, v6, v1
	v_fmac_f32_e32 v4, v69, v64
	v_fmac_f32_e32 v5, v7, v0
	v_add_f32_e32 v4, v52, v4
	v_mul_f32_e32 v52, v7, v1
	v_add_f32_e32 v5, v11, v5
	s_waitcnt lgkmcnt(1)
	v_mul_f32_e32 v11, v7, v59
	v_fma_f32 v52, v6, v0, -v52
	v_fma_f32 v11, v6, v58, -v11
	v_mul_f32_e32 v6, v6, v59
	v_fmac_f32_e32 v6, v7, v58
	v_add_f32_e32 v7, v46, v11
	s_waitcnt lgkmcnt(0)
	v_mul_f32_e32 v46, v70, v59
	v_fmac_f32_e32 v46, v71, v58
	v_mul_f32_e32 v11, v71, v1
	v_add_f32_e32 v46, v4, v46
	v_mul_f32_e32 v4, v9, v3
	v_add_f32_e32 v10, v10, v52
	v_fma_f32 v11, v70, v0, -v11
	v_mul_f32_e32 v1, v70, v1
	v_fma_f32 v4, v8, v2, -v4
	v_fmac_f32_e32 v1, v71, v0
	v_add_f32_e32 v0, v54, v11
	v_mul_f32_e32 v11, v71, v59
	v_add_f32_e32 v10, v10, v4
	v_mul_f32_e32 v4, v9, v61
	v_add_f32_e32 v6, v48, v6
	v_fma_f32 v11, v70, v58, -v11
	v_mul_f32_e32 v48, v8, v3
	v_fma_f32 v4, v8, v60, -v4
	v_add_f32_e32 v11, v50, v11
	v_fmac_f32_e32 v48, v9, v2
	v_add_f32_e32 v50, v7, v4
	v_mul_f32_e32 v4, v73, v3
	v_add_f32_e32 v48, v5, v48
	v_mul_f32_e32 v5, v8, v61
	v_fma_f32 v4, v72, v2, -v4
	v_mul_f32_e32 v3, v72, v3
	v_add_f32_e32 v1, v56, v1
	v_fmac_f32_e32 v5, v9, v60
	v_fmac_f32_e32 v3, v73, v2
	v_add_f32_e32 v54, v0, v4
	v_mul_f32_e32 v0, v73, v61
	v_add_u32_e32 v4, 0x1800, v53
	v_add_f32_e32 v52, v6, v5
	v_add_f32_e32 v56, v1, v3
	v_fma_f32 v5, v72, v60, -v0
	ds_read2_b64 v[0:3], v4 offset1:32
	ds_read_b128 v[6:9], v49 offset:192
	v_add_f32_e32 v11, v11, v5
	v_mul_f32_e32 v58, v72, v61
	v_fmac_f32_e32 v58, v73, v60
	v_add_f32_e32 v46, v46, v58
	s_waitcnt lgkmcnt(0)
	v_mul_f32_e32 v5, v7, v1
	v_fma_f32 v66, v6, v0, -v5
	v_add_u32_e32 v5, 0x1800, v57
	ds_read2_b64 v[62:65], v5 offset1:32
	v_mul_f32_e32 v67, v6, v1
	v_fmac_f32_e32 v67, v7, v0
	v_add_f32_e32 v10, v10, v66
	ds_read_b128 v[58:61], v49 offset:208
	s_waitcnt lgkmcnt(1)
	v_mul_f32_e32 v66, v7, v63
	v_add_f32_e32 v48, v48, v67
	v_fma_f32 v70, v6, v62, -v66
	ds_read_b128 v[66:69], v49 offset:4288
	v_mul_f32_e32 v6, v6, v63
	v_fmac_f32_e32 v6, v7, v62
	v_add_f32_e32 v7, v50, v70
	v_add_f32_e32 v6, v52, v6
	s_waitcnt lgkmcnt(0)
	v_mul_f32_e32 v50, v67, v1
	v_fma_f32 v50, v66, v0, -v50
	v_mul_f32_e32 v1, v66, v1
	v_fmac_f32_e32 v1, v67, v0
	v_add_f32_e32 v0, v54, v50
	v_mul_f32_e32 v50, v67, v63
	v_fma_f32 v50, v66, v62, -v50
	v_add_f32_e32 v11, v11, v50
	v_mul_f32_e32 v50, v9, v3
	v_mul_f32_e32 v52, v66, v63
	v_fma_f32 v50, v8, v2, -v50
	v_fmac_f32_e32 v52, v67, v62
	v_add_f32_e32 v10, v10, v50
	v_mul_f32_e32 v50, v9, v65
	v_add_f32_e32 v46, v46, v52
	v_mul_f32_e32 v52, v8, v3
	v_fma_f32 v50, v8, v64, -v50
	v_mul_f32_e32 v8, v8, v65
	v_fmac_f32_e32 v52, v9, v2
	v_fmac_f32_e32 v8, v9, v64
	v_add_f32_e32 v48, v48, v52
	v_add_f32_e32 v52, v6, v8
	v_mul_f32_e32 v6, v69, v3
	v_fma_f32 v6, v68, v2, -v6
	v_mul_f32_e32 v3, v68, v3
	v_add_f32_e32 v1, v56, v1
	v_fmac_f32_e32 v3, v69, v2
	v_add_f32_e32 v54, v0, v6
	v_mul_f32_e32 v0, v69, v65
	v_add_f32_e32 v56, v1, v3
	v_fma_f32 v6, v68, v64, -v0
	ds_read2_b64 v[0:3], v4 offset0:64 offset1:96
	v_add_f32_e32 v50, v7, v50
	v_mul_f32_e32 v7, v68, v65
	v_fmac_f32_e32 v7, v69, v64
	v_add_f32_e32 v11, v11, v6
	s_waitcnt lgkmcnt(0)
	v_mul_f32_e32 v6, v59, v1
	v_add_f32_e32 v46, v46, v7
	v_fma_f32 v62, v58, v0, -v6
	ds_read2_b64 v[6:9], v5 offset0:64 offset1:96
	ds_read_b128 v[70:73], v49 offset:4304
	v_add_f32_e32 v10, v10, v62
	v_mul_f32_e32 v63, v58, v1
	v_fmac_f32_e32 v63, v59, v0
	s_waitcnt lgkmcnt(1)
	v_mul_f32_e32 v62, v59, v7
	v_fma_f32 v62, v58, v6, -v62
	v_mul_f32_e32 v58, v58, v7
	v_fmac_f32_e32 v58, v59, v6
	v_add_f32_e32 v52, v52, v58
	s_waitcnt lgkmcnt(0)
	v_mul_f32_e32 v58, v71, v1
	v_fma_f32 v58, v70, v0, -v58
	v_mul_f32_e32 v1, v70, v1
	v_fmac_f32_e32 v1, v71, v0
	v_add_f32_e32 v0, v54, v58
	v_mul_f32_e32 v54, v71, v7
	v_mul_f32_e32 v7, v70, v7
	v_fma_f32 v54, v70, v6, -v54
	v_fmac_f32_e32 v7, v71, v6
	v_add_f32_e32 v6, v11, v54
	v_add_f32_e32 v7, v46, v7
	v_mul_f32_e32 v11, v61, v3
	v_mul_f32_e32 v46, v60, v3
	v_add_f32_e32 v48, v48, v63
	v_fma_f32 v11, v60, v2, -v11
	v_fmac_f32_e32 v46, v61, v2
	v_add_f32_e32 v10, v10, v11
	v_add_f32_e32 v11, v48, v46
	v_mul_f32_e32 v46, v61, v9
	v_add_f32_e32 v50, v50, v62
	v_fma_f32 v46, v60, v8, -v46
	v_add_f32_e32 v46, v50, v46
	v_mul_f32_e32 v50, v73, v3
	v_mul_f32_e32 v48, v60, v9
	v_fma_f32 v50, v72, v2, -v50
	v_mul_f32_e32 v3, v72, v3
	v_add_f32_e32 v1, v56, v1
	v_fmac_f32_e32 v48, v61, v8
	v_fmac_f32_e32 v3, v73, v2
	v_add_f32_e32 v50, v0, v50
	v_mul_f32_e32 v0, v73, v9
	v_add_f32_e32 v48, v52, v48
	v_add_f32_e32 v52, v1, v3
	v_fma_f32 v54, v72, v8, -v0
	ds_read2_b64 v[0:3], v4 offset0:128 offset1:160
	ds_read_b128 v[58:61], v49 offset:224
	v_mul_f32_e32 v9, v72, v9
	v_fmac_f32_e32 v9, v73, v8
	v_add_f32_e32 v54, v6, v54
	v_add_f32_e32 v56, v7, v9
	s_waitcnt lgkmcnt(0)
	v_mul_f32_e32 v62, v59, v1
	v_fma_f32 v66, v58, v0, -v62
	ds_read2_b64 v[62:65], v5 offset0:128 offset1:160
	v_mul_f32_e32 v67, v58, v1
	v_fmac_f32_e32 v67, v59, v0
	v_add_f32_e32 v10, v10, v66
	ds_read_b128 v[6:9], v49 offset:240
	s_waitcnt lgkmcnt(1)
	v_mul_f32_e32 v66, v59, v63
	v_add_f32_e32 v11, v11, v67
	v_fma_f32 v70, v58, v62, -v66
	ds_read_b128 v[66:69], v49 offset:4320
	v_mul_f32_e32 v58, v58, v63
	v_fmac_f32_e32 v58, v59, v62
	v_add_f32_e32 v48, v48, v58
	v_add_f32_e32 v46, v46, v70
	s_waitcnt lgkmcnt(0)
	v_mul_f32_e32 v58, v67, v1
	v_fma_f32 v58, v66, v0, -v58
	v_mul_f32_e32 v1, v66, v1
	v_fmac_f32_e32 v1, v67, v0
	v_add_f32_e32 v0, v50, v58
	v_mul_f32_e32 v50, v67, v63
	v_fma_f32 v50, v66, v62, -v50
	v_add_f32_e32 v50, v54, v50
	v_mul_f32_e32 v54, v61, v3
	v_add_f32_e32 v1, v52, v1
	v_mul_f32_e32 v52, v66, v63
	v_fma_f32 v54, v60, v2, -v54
	v_fmac_f32_e32 v52, v67, v62
	v_add_f32_e32 v10, v10, v54
	v_mul_f32_e32 v54, v61, v65
	v_add_f32_e32 v52, v56, v52
	v_mul_f32_e32 v56, v60, v3
	v_fma_f32 v54, v60, v64, -v54
	v_fmac_f32_e32 v56, v61, v2
	v_add_f32_e32 v46, v46, v54
	v_mul_f32_e32 v54, v69, v3
	v_add_f32_e32 v11, v11, v56
	v_mul_f32_e32 v56, v60, v65
	v_fma_f32 v54, v68, v2, -v54
	v_mul_f32_e32 v3, v68, v3
	v_fmac_f32_e32 v56, v61, v64
	v_fmac_f32_e32 v3, v69, v2
	v_add_f32_e32 v54, v0, v54
	v_mul_f32_e32 v0, v69, v65
	v_add_f32_e32 v48, v48, v56
	v_add_f32_e32 v56, v1, v3
	v_fma_f32 v58, v68, v64, -v0
	ds_read2_b64 v[0:3], v4 offset0:192 offset1:224
	ds_read2_b64 v[60:63], v5 offset0:192 offset1:224
	ds_read_b128 v[70:73], v49 offset:4336
	v_mul_f32_e32 v4, v68, v65
	v_fmac_f32_e32 v4, v69, v64
	s_waitcnt lgkmcnt(2)
	v_mul_f32_e32 v5, v6, v1
	v_fmac_f32_e32 v5, v7, v0
	v_add_f32_e32 v4, v52, v4
	v_mul_f32_e32 v52, v7, v1
	v_add_f32_e32 v5, v11, v5
	s_waitcnt lgkmcnt(1)
	v_mul_f32_e32 v11, v7, v61
	v_fma_f32 v52, v6, v0, -v52
	v_fma_f32 v11, v6, v60, -v11
	v_mul_f32_e32 v6, v6, v61
	v_fmac_f32_e32 v6, v7, v60
	v_add_f32_e32 v7, v46, v11
	s_waitcnt lgkmcnt(0)
	v_mul_f32_e32 v11, v71, v1
	v_add_f32_e32 v6, v48, v6
	v_fma_f32 v11, v70, v0, -v11
	v_mul_f32_e32 v1, v70, v1
	v_mul_f32_e32 v48, v8, v3
	v_fmac_f32_e32 v1, v71, v0
	v_add_f32_e32 v0, v54, v11
	v_mul_f32_e32 v11, v71, v61
	v_mul_f32_e32 v46, v70, v61
	v_fmac_f32_e32 v48, v9, v2
	v_fma_f32 v11, v70, v60, -v11
	v_fmac_f32_e32 v46, v71, v60
	v_add_f32_e32 v60, v5, v48
	v_mul_f32_e32 v5, v9, v63
	v_fma_f32 v5, v8, v62, -v5
	v_add_f32_e32 v54, v7, v5
	v_mul_f32_e32 v5, v73, v3
	v_add_f32_e32 v50, v50, v58
	v_fma_f32 v5, v72, v2, -v5
	v_add_f32_e32 v11, v50, v11
	v_add_f32_e32 v50, v0, v5
	v_mul_f32_e32 v0, v73, v63
	v_fma_f32 v0, v72, v62, -v0
	v_add_f32_e32 v48, v11, v0
	v_mov_b32_e32 v0, s31
	v_add_co_u32_e32 v44, vcc, s30, v44
	v_add_f32_e32 v4, v4, v46
	v_mul_f32_e32 v46, v9, v3
	v_mul_f32_e32 v3, v72, v3
	v_addc_co_u32_e32 v45, vcc, v45, v0, vcc
	v_add_f32_e32 v1, v56, v1
	v_fmac_f32_e32 v3, v73, v2
	v_add_co_u32_e32 v32, vcc, 0x100, v32
	v_add_f32_e32 v10, v10, v52
	v_fma_f32 v46, v8, v2, -v46
	v_mul_f32_e32 v8, v8, v63
	v_add_f32_e32 v52, v1, v3
	v_mul_f32_e32 v1, v72, v63
	s_add_u32 s42, s42, 32
	v_addc_co_u32_e32 v33, vcc, 0, v33, vcc
	v_fmac_f32_e32 v8, v9, v62
	v_fmac_f32_e32 v1, v73, v62
	s_addc_u32 s43, s43, 0
	v_add_co_u32_e32 v34, vcc, 0x100, v34
	v_add_f32_e32 v58, v10, v46
	v_add_f32_e32 v56, v6, v8
	;; [unrolled: 1-line block ×3, first 2 shown]
	s_cmp_ge_i32 s42, s56
	v_addc_co_u32_e32 v35, vcc, 0, v35, vcc
	s_barrier
	s_cbranch_scc1 .LBB85_55
.LBB85_7:                               ;   Parent Loop BB85_4 Depth=1
                                        ; =>  This Inner Loop Header: Depth=2
	v_mov_b32_e32 v1, s43
	v_add_co_u32_e32 v0, vcc, s42, v18
	v_addc_co_u32_e32 v1, vcc, v19, v1, vcc
	v_add_co_u32_e32 v2, vcc, v32, v30
	v_addc_co_u32_e32 v3, vcc, v33, v31, vcc
	v_cmp_eq_u64_e32 vcc, s[42:43], v[26:27]
	s_and_b64 s[46:47], s[22:23], vcc
	v_cmp_lt_i64_e32 vcc, v[0:1], v[24:25]
	v_cmp_le_i64_e64 s[12:13], s[26:27], v[0:1]
	s_or_b64 s[14:15], s[8:9], vcc
	s_or_b64 s[14:15], s[12:13], s[14:15]
	s_or_b64 s[14:15], s[14:15], s[46:47]
	s_xor_b64 s[14:15], s[14:15], -1
	s_and_saveexec_b64 s[18:19], s[14:15]
	s_xor_b64 s[14:15], exec, s[18:19]
	s_cbranch_execz .LBB85_9
; %bb.8:                                ;   in Loop: Header=BB85_7 Depth=2
	global_load_dwordx2 v[4:5], v[2:3], off
	s_waitcnt vmcnt(0)
	ds_write_b64 v51, v[4:5]
.LBB85_9:                               ;   in Loop: Header=BB85_7 Depth=2
	s_or_saveexec_b64 s[14:15], s[14:15]
	s_xor_b64 s[44:45], s[46:47], -1
	s_xor_b64 exec, exec, s[14:15]
	s_cbranch_execz .LBB85_15
; %bb.10:                               ;   in Loop: Header=BB85_7 Depth=2
	s_and_saveexec_b64 s[18:19], s[44:45]
	s_xor_b64 s[18:19], exec, s[18:19]
	s_cbranch_execz .LBB85_12
; %bb.11:                               ;   in Loop: Header=BB85_7 Depth=2
	v_mov_b32_e32 v4, v23
	v_mov_b32_e32 v5, v23
	ds_write_b64 v51, v[4:5]
.LBB85_12:                              ;   in Loop: Header=BB85_7 Depth=2
	s_andn2_saveexec_b64 s[18:19], s[18:19]
	s_cbranch_execz .LBB85_14
; %bb.13:                               ;   in Loop: Header=BB85_7 Depth=2
	ds_write_b64 v51, v[22:23]
.LBB85_14:                              ;   in Loop: Header=BB85_7 Depth=2
	s_or_b64 exec, exec, s[18:19]
.LBB85_15:                              ;   in Loop: Header=BB85_7 Depth=2
	s_or_b64 exec, exec, s[14:15]
	v_add_co_u32_e64 v4, s[14:15], 16, v0
	v_addc_co_u32_e64 v5, s[14:15], 0, v1, s[14:15]
	v_cmp_eq_u64_e64 s[14:15], s[42:43], v[42:43]
	v_cmp_lt_i64_e64 s[18:19], v[4:5], v[24:25]
	s_and_b64 s[50:51], s[22:23], s[14:15]
	v_cmp_le_i64_e64 s[14:15], s[26:27], v[4:5]
	s_or_b64 s[18:19], s[8:9], s[18:19]
	s_or_b64 s[18:19], s[14:15], s[18:19]
	;; [unrolled: 1-line block ×3, first 2 shown]
	s_xor_b64 s[18:19], s[18:19], -1
	s_and_saveexec_b64 s[58:59], s[18:19]
	s_xor_b64 s[18:19], exec, s[58:59]
	s_cbranch_execz .LBB85_17
; %bb.16:                               ;   in Loop: Header=BB85_7 Depth=2
	global_load_dwordx2 v[2:3], v[2:3], off offset:128
	s_waitcnt vmcnt(0)
	ds_write_b64 v51, v[2:3] offset:128
.LBB85_17:                              ;   in Loop: Header=BB85_7 Depth=2
	s_andn2_saveexec_b64 s[18:19], s[18:19]
	s_cbranch_execz .LBB85_23
; %bb.18:                               ;   in Loop: Header=BB85_7 Depth=2
	s_xor_b64 s[50:51], s[50:51], -1
	s_and_saveexec_b64 s[58:59], s[50:51]
	s_xor_b64 s[50:51], exec, s[58:59]
	s_cbranch_execz .LBB85_20
; %bb.19:                               ;   in Loop: Header=BB85_7 Depth=2
	v_mov_b32_e32 v2, v23
	v_mov_b32_e32 v3, v23
	ds_write_b64 v51, v[2:3] offset:128
.LBB85_20:                              ;   in Loop: Header=BB85_7 Depth=2
	s_andn2_saveexec_b64 s[50:51], s[50:51]
	s_cbranch_execz .LBB85_22
; %bb.21:                               ;   in Loop: Header=BB85_7 Depth=2
	ds_write_b64 v51, v[22:23] offset:128
.LBB85_22:                              ;   in Loop: Header=BB85_7 Depth=2
	s_or_b64 exec, exec, s[50:51]
.LBB85_23:                              ;   in Loop: Header=BB85_7 Depth=2
	s_or_b64 exec, exec, s[18:19]
	v_cmp_eq_u64_e64 s[18:19], s[42:43], v[40:41]
	s_and_b64 s[50:51], s[22:23], s[18:19]
	v_cmp_lt_i64_e64 s[18:19], v[0:1], v[38:39]
	s_or_b64 s[18:19], s[10:11], s[18:19]
	s_or_b64 s[18:19], s[18:19], s[50:51]
	;; [unrolled: 1-line block ×3, first 2 shown]
	s_xor_b64 s[12:13], s[12:13], -1
	s_and_saveexec_b64 s[18:19], s[12:13]
	s_xor_b64 s[18:19], exec, s[18:19]
	s_cbranch_execz .LBB85_25
; %bb.24:                               ;   in Loop: Header=BB85_7 Depth=2
	v_add_co_u32_e64 v0, s[12:13], v34, v30
	v_addc_co_u32_e64 v1, s[12:13], v35, v31, s[12:13]
	global_load_dwordx2 v[0:1], v[0:1], off
	s_waitcnt vmcnt(0)
	ds_write_b64 v51, v[0:1] offset:4096
.LBB85_25:                              ;   in Loop: Header=BB85_7 Depth=2
	s_andn2_saveexec_b64 s[12:13], s[18:19]
	s_cbranch_execz .LBB85_31
; %bb.26:                               ;   in Loop: Header=BB85_7 Depth=2
	s_xor_b64 s[18:19], s[50:51], -1
	s_and_saveexec_b64 s[50:51], s[18:19]
	s_xor_b64 s[18:19], exec, s[50:51]
	s_cbranch_execz .LBB85_28
; %bb.27:                               ;   in Loop: Header=BB85_7 Depth=2
	v_mov_b32_e32 v0, v23
	v_mov_b32_e32 v1, v23
	ds_write_b64 v51, v[0:1] offset:4096
.LBB85_28:                              ;   in Loop: Header=BB85_7 Depth=2
	s_andn2_saveexec_b64 s[18:19], s[18:19]
	s_cbranch_execz .LBB85_30
; %bb.29:                               ;   in Loop: Header=BB85_7 Depth=2
	ds_write_b64 v51, v[22:23] offset:4096
.LBB85_30:                              ;   in Loop: Header=BB85_7 Depth=2
	s_or_b64 exec, exec, s[18:19]
.LBB85_31:                              ;   in Loop: Header=BB85_7 Depth=2
	s_or_b64 exec, exec, s[12:13]
	s_or_b64 s[12:13], s[10:11], vcc
	s_or_b64 s[12:13], s[14:15], s[12:13]
	s_or_b64 s[12:13], s[12:13], s[46:47]
	s_xor_b64 s[12:13], s[12:13], -1
	s_and_saveexec_b64 s[14:15], s[12:13]
	s_xor_b64 s[12:13], exec, s[14:15]
	s_cbranch_execz .LBB85_33
; %bb.32:                               ;   in Loop: Header=BB85_7 Depth=2
	v_add_co_u32_e32 v0, vcc, v34, v30
	v_addc_co_u32_e32 v1, vcc, v35, v31, vcc
	global_load_dwordx2 v[0:1], v[0:1], off offset:128
	s_waitcnt vmcnt(0)
	ds_write_b64 v51, v[0:1] offset:4224
.LBB85_33:                              ;   in Loop: Header=BB85_7 Depth=2
	s_andn2_saveexec_b64 s[12:13], s[12:13]
	s_cbranch_execz .LBB85_39
; %bb.34:                               ;   in Loop: Header=BB85_7 Depth=2
	s_and_saveexec_b64 s[14:15], s[44:45]
	s_xor_b64 s[14:15], exec, s[14:15]
	s_cbranch_execz .LBB85_36
; %bb.35:                               ;   in Loop: Header=BB85_7 Depth=2
	v_mov_b32_e32 v0, v23
	v_mov_b32_e32 v1, v23
	ds_write_b64 v51, v[0:1] offset:4224
.LBB85_36:                              ;   in Loop: Header=BB85_7 Depth=2
	s_andn2_saveexec_b64 s[14:15], s[14:15]
	s_cbranch_execz .LBB85_38
; %bb.37:                               ;   in Loop: Header=BB85_7 Depth=2
	ds_write_b64 v51, v[22:23] offset:4224
.LBB85_38:                              ;   in Loop: Header=BB85_7 Depth=2
	s_or_b64 exec, exec, s[14:15]
.LBB85_39:                              ;   in Loop: Header=BB85_7 Depth=2
	s_or_b64 exec, exec, s[12:13]
	v_mov_b32_e32 v1, s43
	v_add_co_u32_e32 v0, vcc, s42, v20
	v_addc_co_u32_e32 v1, vcc, v21, v1, vcc
	v_add_co_u32_e32 v2, vcc, v44, v28
	v_addc_co_u32_e32 v3, vcc, v45, v29, vcc
	v_cmp_le_i64_e32 vcc, s[26:27], v[0:1]
	s_or_b64 s[12:13], vcc, s[0:1]
	s_xor_b64 s[12:13], s[12:13], -1
	s_and_saveexec_b64 s[14:15], s[12:13]
	s_xor_b64 s[12:13], exec, s[14:15]
	s_cbranch_execz .LBB85_41
; %bb.40:                               ;   in Loop: Header=BB85_7 Depth=2
	global_load_dwordx2 v[4:5], v[2:3], off offset:-128
	s_waitcnt vmcnt(0)
	ds_write_b64 v55, v[4:5]
.LBB85_41:                              ;   in Loop: Header=BB85_7 Depth=2
	s_andn2_saveexec_b64 s[12:13], s[12:13]
	s_cbranch_execz .LBB85_43
; %bb.42:                               ;   in Loop: Header=BB85_7 Depth=2
	v_mov_b32_e32 v4, v23
	v_mov_b32_e32 v5, v23
	ds_write_b64 v55, v[4:5]
.LBB85_43:                              ;   in Loop: Header=BB85_7 Depth=2
	s_or_b64 exec, exec, s[12:13]
	s_or_b64 s[12:13], vcc, s[2:3]
	s_xor_b64 s[12:13], s[12:13], -1
	s_and_saveexec_b64 s[14:15], s[12:13]
	s_xor_b64 s[12:13], exec, s[14:15]
	s_cbranch_execz .LBB85_45
; %bb.44:                               ;   in Loop: Header=BB85_7 Depth=2
	global_load_dwordx2 v[2:3], v[2:3], off
	s_waitcnt vmcnt(0)
	ds_write_b64 v55, v[2:3] offset:128
.LBB85_45:                              ;   in Loop: Header=BB85_7 Depth=2
	s_andn2_saveexec_b64 s[12:13], s[12:13]
	s_cbranch_execz .LBB85_47
; %bb.46:                               ;   in Loop: Header=BB85_7 Depth=2
	v_mov_b32_e32 v2, v23
	v_mov_b32_e32 v3, v23
	ds_write_b64 v55, v[2:3] offset:128
.LBB85_47:                              ;   in Loop: Header=BB85_7 Depth=2
	s_or_b64 exec, exec, s[12:13]
	v_cmp_le_i64_e32 vcc, s[34:35], v[0:1]
	s_or_b64 s[12:13], vcc, s[0:1]
	s_xor_b64 s[12:13], s[12:13], -1
	s_and_saveexec_b64 s[14:15], s[12:13]
	s_xor_b64 s[14:15], exec, s[14:15]
	s_cbranch_execz .LBB85_49
; %bb.48:                               ;   in Loop: Header=BB85_7 Depth=2
	v_add_co_u32_e64 v0, s[12:13], v44, v36
	v_addc_co_u32_e64 v1, s[12:13], v45, v37, s[12:13]
	global_load_dwordx2 v[0:1], v[0:1], off offset:-128
	s_waitcnt vmcnt(0)
	ds_write_b64 v55, v[0:1] offset:4096
.LBB85_49:                              ;   in Loop: Header=BB85_7 Depth=2
	s_andn2_saveexec_b64 s[12:13], s[14:15]
	s_cbranch_execz .LBB85_51
; %bb.50:                               ;   in Loop: Header=BB85_7 Depth=2
	v_mov_b32_e32 v0, v23
	v_mov_b32_e32 v1, v23
	ds_write_b64 v55, v[0:1] offset:4096
.LBB85_51:                              ;   in Loop: Header=BB85_7 Depth=2
	s_or_b64 exec, exec, s[12:13]
	s_or_b64 s[12:13], vcc, s[2:3]
	s_xor_b64 s[12:13], s[12:13], -1
	s_and_saveexec_b64 s[14:15], s[12:13]
	s_xor_b64 s[12:13], exec, s[14:15]
	s_cbranch_execz .LBB85_53
; %bb.52:                               ;   in Loop: Header=BB85_7 Depth=2
	v_add_co_u32_e32 v0, vcc, v44, v36
	v_addc_co_u32_e32 v1, vcc, v45, v37, vcc
	global_load_dwordx2 v[0:1], v[0:1], off
	s_waitcnt vmcnt(0)
	ds_write_b64 v55, v[0:1] offset:4224
.LBB85_53:                              ;   in Loop: Header=BB85_7 Depth=2
	s_andn2_saveexec_b64 s[12:13], s[12:13]
	s_cbranch_execz .LBB85_6
; %bb.54:                               ;   in Loop: Header=BB85_7 Depth=2
	v_mov_b32_e32 v0, v23
	v_mov_b32_e32 v1, v23
	ds_write_b64 v55, v[0:1] offset:4224
	s_branch .LBB85_6
.LBB85_55:                              ;   in Loop: Header=BB85_4 Depth=1
	v_mul_lo_u32 v2, v25, s20
	v_mul_lo_u32 v3, v24, s21
	v_mad_u64_u32 v[0:1], s[8:9], v24, s20, 0
	v_add3_u32 v1, v1, v3, v2
	v_lshlrev_b64 v[0:1], 3, v[0:1]
	v_mov_b32_e32 v2, s53
	v_add_co_u32_e64 v0, s[8:9], s52, v0
	v_cmp_gt_i32_e32 vcc, s26, v24
	v_addc_co_u32_e64 v1, s[8:9], v2, v1, s[8:9]
	s_and_b64 s[8:9], s[4:5], vcc
	s_and_saveexec_b64 s[10:11], s[8:9]
	s_cbranch_execz .LBB85_57
; %bb.56:                               ;   in Loop: Header=BB85_4 Depth=1
	v_add_co_u32_e64 v2, s[8:9], v0, v12
	v_addc_co_u32_e64 v3, s[8:9], v1, v13, s[8:9]
	global_load_dwordx2 v[4:5], v[2:3], off
	v_pk_mul_f32 v[6:7], v[60:61], s[28:29] op_sel_hi:[0,1]
	v_pk_fma_f32 v[8:9], v[58:59], s[28:29], v[6:7] op_sel:[0,0,1] op_sel_hi:[1,1,0] neg_lo:[0,0,1] neg_hi:[0,0,1]
	v_pk_fma_f32 v[6:7], v[58:59], s[28:29], v[6:7] op_sel:[0,0,1] op_sel_hi:[0,1,0]
	v_mov_b32_e32 v9, v7
	s_waitcnt vmcnt(0)
	v_pk_add_f32 v[4:5], v[4:5], v[8:9]
	global_store_dwordx2 v[2:3], v[4:5], off
.LBB85_57:                              ;   in Loop: Header=BB85_4 Depth=1
	s_or_b64 exec, exec, s[10:11]
	s_and_b64 s[10:11], s[16:17], vcc
	s_and_saveexec_b64 s[8:9], s[10:11]
	s_cbranch_execz .LBB85_59
; %bb.58:                               ;   in Loop: Header=BB85_4 Depth=1
	v_lshlrev_b64 v[2:3], 3, v[16:17]
	v_add_co_u32_e32 v0, vcc, v0, v2
	v_addc_co_u32_e32 v1, vcc, v1, v3, vcc
	global_load_dwordx2 v[2:3], v[0:1], off
	v_pk_mul_f32 v[4:5], v[56:57], s[28:29] op_sel_hi:[0,1]
	v_pk_fma_f32 v[6:7], v[54:55], s[28:29], v[4:5] op_sel:[0,0,1] op_sel_hi:[1,1,0] neg_lo:[0,0,1] neg_hi:[0,0,1]
	v_pk_fma_f32 v[4:5], v[54:55], s[28:29], v[4:5] op_sel:[0,0,1] op_sel_hi:[0,1,0]
	v_mov_b32_e32 v7, v5
	s_waitcnt vmcnt(0)
	v_pk_add_f32 v[2:3], v[2:3], v[6:7]
	global_store_dwordx2 v[0:1], v[2:3], off
.LBB85_59:                              ;   in Loop: Header=BB85_4 Depth=1
	s_or_b64 exec, exec, s[8:9]
	v_add_u32_e32 v0, 16, v24
	v_ashrrev_i32_e32 v1, 31, v0
	v_cmp_gt_i32_e32 vcc, s26, v0
	v_mul_lo_u32 v2, v1, s20
	v_mul_lo_u32 v3, v0, s21
	v_mad_u64_u32 v[0:1], s[8:9], v0, s20, 0
	v_add3_u32 v1, v1, v3, v2
	v_lshlrev_b64 v[0:1], 3, v[0:1]
	v_mov_b32_e32 v2, s53
	v_add_co_u32_e64 v0, s[8:9], s52, v0
	v_addc_co_u32_e64 v1, s[8:9], v2, v1, s[8:9]
	s_and_b64 s[8:9], s[4:5], vcc
	s_and_saveexec_b64 s[10:11], s[8:9]
	s_cbranch_execz .LBB85_61
; %bb.60:                               ;   in Loop: Header=BB85_4 Depth=1
	v_add_co_u32_e64 v2, s[8:9], v0, v12
	v_addc_co_u32_e64 v3, s[8:9], v1, v13, s[8:9]
	global_load_dwordx2 v[4:5], v[2:3], off
	v_pk_mul_f32 v[6:7], v[52:53], s[28:29] op_sel_hi:[0,1]
	v_pk_fma_f32 v[8:9], v[50:51], s[28:29], v[6:7] op_sel:[0,0,1] op_sel_hi:[1,1,0] neg_lo:[0,0,1] neg_hi:[0,0,1]
	v_pk_fma_f32 v[6:7], v[50:51], s[28:29], v[6:7] op_sel:[0,0,1] op_sel_hi:[0,1,0]
	v_mov_b32_e32 v9, v7
	s_waitcnt vmcnt(0)
	v_pk_add_f32 v[4:5], v[4:5], v[8:9]
	global_store_dwordx2 v[2:3], v[4:5], off
.LBB85_61:                              ;   in Loop: Header=BB85_4 Depth=1
	s_or_b64 exec, exec, s[10:11]
	s_and_b64 s[10:11], s[16:17], vcc
	s_and_saveexec_b64 s[8:9], s[10:11]
	s_cbranch_execz .LBB85_3
; %bb.62:                               ;   in Loop: Header=BB85_4 Depth=1
	v_lshlrev_b64 v[2:3], 3, v[16:17]
	v_add_co_u32_e32 v0, vcc, v0, v2
	v_addc_co_u32_e32 v1, vcc, v1, v3, vcc
	global_load_dwordx2 v[2:3], v[0:1], off
	v_pk_mul_f32 v[4:5], v[46:47], s[28:29] op_sel_hi:[0,1]
	v_pk_fma_f32 v[6:7], v[48:49], s[28:29], v[4:5] op_sel:[0,0,1] op_sel_hi:[1,1,0] neg_lo:[0,0,1] neg_hi:[0,0,1]
	v_pk_fma_f32 v[4:5], v[48:49], s[28:29], v[4:5] op_sel:[0,0,1] op_sel_hi:[0,1,0]
	v_mov_b32_e32 v7, v5
	s_waitcnt vmcnt(0)
	v_pk_add_f32 v[2:3], v[2:3], v[6:7]
	global_store_dwordx2 v[0:1], v[2:3], off
	s_branch .LBB85_3
.LBB85_63:
	s_endpgm
	.section	.rodata,"a",@progbits
	.p2align	6, 0x0
	.amdhsa_kernel _ZL30rocblas_trmm_outofplace_kernelI19rocblas_complex_numIfELi32ELi2ELb0ELb0ELb0ELb0ES1_KS1_S1_Ev17rocblas_diagonal_iiT6_lPT7_lllS6_lllPT8_llli
		.amdhsa_group_segment_fixed_size 16384
		.amdhsa_private_segment_fixed_size 0
		.amdhsa_kernarg_size 392
		.amdhsa_user_sgpr_count 6
		.amdhsa_user_sgpr_private_segment_buffer 1
		.amdhsa_user_sgpr_dispatch_ptr 0
		.amdhsa_user_sgpr_queue_ptr 0
		.amdhsa_user_sgpr_kernarg_segment_ptr 1
		.amdhsa_user_sgpr_dispatch_id 0
		.amdhsa_user_sgpr_flat_scratch_init 0
		.amdhsa_user_sgpr_kernarg_preload_length 0
		.amdhsa_user_sgpr_kernarg_preload_offset 0
		.amdhsa_user_sgpr_private_segment_size 0
		.amdhsa_uses_dynamic_stack 0
		.amdhsa_system_sgpr_private_segment_wavefront_offset 0
		.amdhsa_system_sgpr_workgroup_id_x 1
		.amdhsa_system_sgpr_workgroup_id_y 1
		.amdhsa_system_sgpr_workgroup_id_z 1
		.amdhsa_system_sgpr_workgroup_info 0
		.amdhsa_system_vgpr_workitem_id 1
		.amdhsa_next_free_vgpr 80
		.amdhsa_next_free_sgpr 60
		.amdhsa_accum_offset 80
		.amdhsa_reserve_vcc 1
		.amdhsa_reserve_flat_scratch 0
		.amdhsa_float_round_mode_32 0
		.amdhsa_float_round_mode_16_64 0
		.amdhsa_float_denorm_mode_32 3
		.amdhsa_float_denorm_mode_16_64 3
		.amdhsa_dx10_clamp 1
		.amdhsa_ieee_mode 1
		.amdhsa_fp16_overflow 0
		.amdhsa_tg_split 0
		.amdhsa_exception_fp_ieee_invalid_op 0
		.amdhsa_exception_fp_denorm_src 0
		.amdhsa_exception_fp_ieee_div_zero 0
		.amdhsa_exception_fp_ieee_overflow 0
		.amdhsa_exception_fp_ieee_underflow 0
		.amdhsa_exception_fp_ieee_inexact 0
		.amdhsa_exception_int_div_zero 0
	.end_amdhsa_kernel
	.section	.text._ZL30rocblas_trmm_outofplace_kernelI19rocblas_complex_numIfELi32ELi2ELb0ELb0ELb0ELb0ES1_KS1_S1_Ev17rocblas_diagonal_iiT6_lPT7_lllS6_lllPT8_llli,"axG",@progbits,_ZL30rocblas_trmm_outofplace_kernelI19rocblas_complex_numIfELi32ELi2ELb0ELb0ELb0ELb0ES1_KS1_S1_Ev17rocblas_diagonal_iiT6_lPT7_lllS6_lllPT8_llli,comdat
.Lfunc_end85:
	.size	_ZL30rocblas_trmm_outofplace_kernelI19rocblas_complex_numIfELi32ELi2ELb0ELb0ELb0ELb0ES1_KS1_S1_Ev17rocblas_diagonal_iiT6_lPT7_lllS6_lllPT8_llli, .Lfunc_end85-_ZL30rocblas_trmm_outofplace_kernelI19rocblas_complex_numIfELi32ELi2ELb0ELb0ELb0ELb0ES1_KS1_S1_Ev17rocblas_diagonal_iiT6_lPT7_lllS6_lllPT8_llli
                                        ; -- End function
	.section	.AMDGPU.csdata,"",@progbits
; Kernel info:
; codeLenInByte = 6564
; NumSgprs: 64
; NumVgprs: 80
; NumAgprs: 0
; TotalNumVgprs: 80
; ScratchSize: 0
; MemoryBound: 1
; FloatMode: 240
; IeeeMode: 1
; LDSByteSize: 16384 bytes/workgroup (compile time only)
; SGPRBlocks: 7
; VGPRBlocks: 9
; NumSGPRsForWavesPerEU: 64
; NumVGPRsForWavesPerEU: 80
; AccumOffset: 80
; Occupancy: 6
; WaveLimiterHint : 0
; COMPUTE_PGM_RSRC2:SCRATCH_EN: 0
; COMPUTE_PGM_RSRC2:USER_SGPR: 6
; COMPUTE_PGM_RSRC2:TRAP_HANDLER: 0
; COMPUTE_PGM_RSRC2:TGID_X_EN: 1
; COMPUTE_PGM_RSRC2:TGID_Y_EN: 1
; COMPUTE_PGM_RSRC2:TGID_Z_EN: 1
; COMPUTE_PGM_RSRC2:TIDIG_COMP_CNT: 1
; COMPUTE_PGM_RSRC3_GFX90A:ACCUM_OFFSET: 19
; COMPUTE_PGM_RSRC3_GFX90A:TG_SPLIT: 0
	.section	.text._ZL30rocblas_trmm_outofplace_kernelI19rocblas_complex_numIfELi32ELi2ELb0ELb1ELb0ELb0EPKS1_S2_S1_Ev17rocblas_diagonal_iiT6_lPT7_lllS7_lllPT8_llli,"axG",@progbits,_ZL30rocblas_trmm_outofplace_kernelI19rocblas_complex_numIfELi32ELi2ELb0ELb1ELb0ELb0EPKS1_S2_S1_Ev17rocblas_diagonal_iiT6_lPT7_lllS7_lllPT8_llli,comdat
	.globl	_ZL30rocblas_trmm_outofplace_kernelI19rocblas_complex_numIfELi32ELi2ELb0ELb1ELb0ELb0EPKS1_S2_S1_Ev17rocblas_diagonal_iiT6_lPT7_lllS7_lllPT8_llli ; -- Begin function _ZL30rocblas_trmm_outofplace_kernelI19rocblas_complex_numIfELi32ELi2ELb0ELb1ELb0ELb0EPKS1_S2_S1_Ev17rocblas_diagonal_iiT6_lPT7_lllS7_lllPT8_llli
	.p2align	8
	.type	_ZL30rocblas_trmm_outofplace_kernelI19rocblas_complex_numIfELi32ELi2ELb0ELb1ELb0ELb0EPKS1_S2_S1_Ev17rocblas_diagonal_iiT6_lPT7_lllS7_lllPT8_llli,@function
_ZL30rocblas_trmm_outofplace_kernelI19rocblas_complex_numIfELi32ELi2ELb0ELb1ELb0ELb0EPKS1_S2_S1_Ev17rocblas_diagonal_iiT6_lPT7_lllS7_lllPT8_llli: ; @_ZL30rocblas_trmm_outofplace_kernelI19rocblas_complex_numIfELi32ELi2ELb0ELb1ELb0ELb0EPKS1_S2_S1_Ev17rocblas_diagonal_iiT6_lPT7_lllS7_lllPT8_llli
; %bb.0:
	s_load_dwordx16 s[16:31], s[4:5], 0x10
	s_waitcnt lgkmcnt(0)
	s_mul_i32 s0, s8, s19
	s_mul_hi_u32 s1, s8, s18
	s_add_i32 s1, s1, s0
	s_mul_i32 s0, s8, s18
	s_lshl_b64 s[0:1], s[0:1], 3
	s_add_u32 s0, s16, s0
	s_addc_u32 s1, s17, s1
	s_load_dwordx2 s[34:35], s[0:1], 0x0
	s_waitcnt lgkmcnt(0)
	s_or_b32 s0, s34, s35
	s_bitset0_b32 s0, 31
	s_cmp_eq_u32 s0, 0
	s_cbranch_scc1 .LBB86_63
; %bb.1:
	s_load_dwordx4 s[36:39], s[4:5], 0x0
	s_waitcnt lgkmcnt(0)
	s_add_i32 s0, s38, -1
	s_ashr_i32 s1, s0, 31
	s_lshr_b32 s1, s1, 27
	s_add_i32 s0, s0, s1
	s_ashr_i32 s33, s0, 5
	s_cmp_gt_i32 s7, s33
	s_cbranch_scc1 .LBB86_63
; %bb.2:
	s_load_dwordx4 s[40:43], s[4:5], 0x70
	s_load_dwordx8 s[12:19], s[4:5], 0x50
	s_load_dword s48, s[4:5], 0x8c
	v_and_b32_e32 v14, 0x3ff, v0
	v_bfe_u32 v12, v0, 10, 10
	v_lshl_add_u32 v0, s6, 5, v14
	s_waitcnt lgkmcnt(0)
	s_mul_i32 s0, s8, s43
	s_mul_hi_u32 s1, s8, s42
	s_add_i32 s1, s1, s0
	s_mul_i32 s0, s8, s42
	s_lshl_b64 s[0:1], s[0:1], 3
	s_add_u32 s2, s16, s0
	s_addc_u32 s3, s17, s1
	s_lshl_b64 s[0:1], s[18:19], 3
	s_add_u32 s49, s2, s0
	s_addc_u32 s50, s3, s1
	s_cmpk_eq_i32 s36, 0x84
	s_cselect_b64 s[42:43], -1, 0
	s_ashr_i32 s0, s37, 31
	v_ashrrev_i32_e32 v1, 31, v0
	v_mov_b32_e32 v3, s0
	v_sub_co_u32_e32 v2, vcc, s37, v0
	v_subb_co_u32_e32 v3, vcc, v3, v1, vcc
	v_cmp_gt_i64_e64 s[0:1], 1, v[2:3]
	v_cmp_gt_i64_e64 s[2:3], 17, v[2:3]
	v_mad_u64_u32 v[2:3], s[10:11], s12, v12, 0
	v_sub_co_u32_e32 v55, vcc, 0, v14
	v_mov_b32_e32 v4, v3
	s_ashr_i32 s39, s38, 31
	s_lshl_b64 s[44:45], s[12:13], 8
	v_subb_co_u32_e64 v57, s[10:11], 0, 0, vcc
	v_mad_u64_u32 v[4:5], s[10:11], s13, v12, v[4:5]
	s_add_u32 s46, s38, -16
	s_mul_i32 s9, s15, s8
	s_mul_hi_u32 s10, s14, s8
	s_addc_u32 s47, s39, -1
	s_add_i32 s11, s10, s9
	s_mul_i32 s10, s14, s8
	s_lshl_b32 s6, s48, 5
	s_lshl_b64 s[10:11], s[10:11], 3
	s_lshl_b64 s[14:15], s[30:31], 3
	s_add_u32 s9, s10, s14
	s_addc_u32 s10, s11, s15
	s_add_u32 s9, s28, s9
	v_lshlrev_b64 v[26:27], 3, v[0:1]
	s_addc_u32 s10, s29, s10
	v_cmp_gt_i32_e64 s[4:5], s37, v0
	v_add_u32_e32 v20, 16, v0
	v_mov_b32_e32 v0, s10
	v_add_co_u32_e32 v1, vcc, s9, v26
	v_addc_co_u32_e32 v0, vcc, v0, v27, vcc
	s_movk_i32 s9, 0x80
	v_add_co_u32_e32 v28, vcc, s9, v1
	s_mul_i32 s9, s27, s8
	s_mul_hi_u32 s10, s26, s8
	s_add_i32 s9, s10, s9
	s_mul_i32 s8, s26, s8
	s_lshl_b64 s[8:9], s[8:9], 3
	s_lshl_b64 s[10:11], s[22:23], 3
	s_add_u32 s8, s8, s10
	v_addc_co_u32_e32 v29, vcc, 0, v0, vcc
	s_addc_u32 s9, s9, s11
	v_mov_b32_e32 v0, 0x80
	s_add_u32 s20, s20, s8
	v_lshl_add_u32 v1, v12, 3, v0
	s_addc_u32 s21, s21, s9
	v_mad_u64_u32 v[30:31], s[8:9], s12, v1, 0
	v_lshlrev_b32_e32 v18, 3, v14
	v_mov_b32_e32 v0, v31
	v_lshlrev_b32_e32 v15, 8, v12
	v_or_b32_e32 v49, 0x2000, v18
	v_mov_b32_e32 v3, v4
	v_mad_u64_u32 v[0:1], s[8:9], s13, v1, v[0:1]
	v_mov_b32_e32 v17, 0
	v_add_u32_e32 v19, v15, v18
	v_add_u32_e32 v51, v49, v15
	v_cmp_gt_i32_e64 s[16:17], s37, v20
	v_ashrrev_i32_e32 v21, 31, v20
	v_add_u32_e32 v53, 0x2080, v18
	v_lshl_add_u32 v22, s7, 5, v12
	v_lshlrev_b64 v[24:25], 3, v[2:3]
	s_lshl_b64 s[22:23], s[24:25], 3
	v_mov_b32_e32 v13, v0
	v_mov_b32_e32 v16, 1.0
	s_branch .LBB86_4
.LBB86_3:                               ;   in Loop: Header=BB86_4 Depth=1
	s_or_b64 exec, exec, s[8:9]
	s_add_i32 s7, s48, s7
	s_cmp_le_i32 s7, s33
	v_add_u32_e32 v22, s6, v22
	s_cbranch_scc0 .LBB86_63
.LBB86_4:                               ; =>This Loop Header: Depth=1
                                        ;     Child Loop BB86_7 Depth 2
	s_lshl_b32 s51, s7, 5
	v_add_u32_e32 v32, s51, v12
	v_ashrrev_i32_e32 v33, 31, v32
	s_cmp_lt_i32 s7, 0
	v_mov_b32_e32 v60, v17
	v_mov_b32_e32 v62, v17
	;; [unrolled: 1-line block ×8, first 2 shown]
	s_cbranch_scc1 .LBB86_55
; %bb.5:                                ;   in Loop: Header=BB86_4 Depth=1
	v_ashrrev_i32_e32 v23, 31, v22
	v_pk_mov_b32 v[0:1], s[20:21], s[20:21] op_sel:[0,1]
	v_add_co_u32_e32 v34, vcc, v55, v22
	v_mad_u64_u32 v[36:37], s[8:9], s22, v22, v[0:1]
	v_mul_lo_u32 v2, s23, v22
	v_mul_lo_u32 v3, s22, v23
	v_addc_co_u32_e32 v35, vcc, v57, v23, vcc
	v_add3_u32 v37, v2, v37, v3
	v_lshlrev_b64 v[2:3], 3, v[22:23]
	v_add_co_u32_e32 v2, vcc, 0x80, v2
	v_addc_co_u32_e32 v3, vcc, 0, v3, vcc
	v_add_co_u32_e32 v40, vcc, 16, v32
	v_addc_co_u32_e32 v41, vcc, 0, v33, vcc
	;; [unrolled: 2-line block ×3, first 2 shown]
	v_mul_lo_u32 v3, s24, v3
	v_mul_lo_u32 v4, s25, v2
	v_mad_u64_u32 v[38:39], s[8:9], s24, v2, v[0:1]
	v_add_co_u32_e32 v44, vcc, -16, v34
	v_add3_u32 v39, v4, v39, v3
	v_cmp_le_i32_e64 s[8:9], s38, v32
	v_cmp_le_i64_e64 s[10:11], s[38:39], v[40:41]
	v_addc_co_u32_e32 v45, vcc, -1, v35, vcc
	s_mov_b64 s[26:27], 0
	v_mov_b32_e32 v48, 0
	v_pk_mov_b32 v[46:47], v[28:29], v[28:29] op_sel:[0,1]
	v_mov_b32_e32 v50, 0
	v_mov_b32_e32 v54, 0
	;; [unrolled: 1-line block ×7, first 2 shown]
	s_branch .LBB86_7
.LBB86_6:                               ;   in Loop: Header=BB86_7 Depth=2
	s_or_b64 exec, exec, s[12:13]
	s_waitcnt lgkmcnt(0)
	s_barrier
	ds_read2_b64 v[64:67], v49 offset1:32
	ds_read_b128 v[68:71], v15
	ds_read_b128 v[8:11], v15 offset:16
	ds_read_b128 v[4:7], v15 offset:32
	;; [unrolled: 1-line block ×3, first 2 shown]
	ds_read2_b64 v[72:75], v53 offset1:32
	s_waitcnt lgkmcnt(4)
	v_mul_f32_e32 v23, v69, v65
	v_mul_f32_e32 v31, v68, v65
	v_fma_f32 v23, v68, v64, -v23
	v_fmac_f32_e32 v31, v69, v64
	v_add_f32_e32 v23, v60, v23
	v_add_f32_e32 v31, v62, v31
	ds_read_b128 v[60:63], v15 offset:4096
	ds_read_b128 v[76:79], v15 offset:4112
	s_waitcnt lgkmcnt(2)
	v_mul_f32_e32 v59, v69, v73
	v_fma_f32 v59, v68, v72, -v59
	v_add_f32_e32 v56, v56, v59
	s_waitcnt lgkmcnt(1)
	v_mul_f32_e32 v59, v61, v65
	v_fma_f32 v59, v60, v64, -v59
	v_add_f32_e32 v52, v52, v59
	v_mul_f32_e32 v59, v61, v73
	v_mul_f32_e32 v65, v60, v65
	v_fma_f32 v59, v60, v72, -v59
	v_mul_f32_e32 v60, v60, v73
	v_fmac_f32_e32 v60, v61, v72
	v_add_f32_e32 v48, v48, v60
	v_mul_f32_e32 v60, v70, v67
	v_mul_f32_e32 v68, v68, v73
	v_add_f32_e32 v50, v50, v59
	v_mul_f32_e32 v59, v71, v67
	v_fmac_f32_e32 v60, v71, v66
	v_fmac_f32_e32 v68, v69, v72
	v_fma_f32 v59, v70, v66, -v59
	v_add_f32_e32 v31, v31, v60
	v_mul_f32_e32 v60, v70, v75
	v_add_f32_e32 v58, v58, v68
	v_add_f32_e32 v23, v23, v59
	v_mul_f32_e32 v59, v71, v75
	v_fmac_f32_e32 v60, v71, v74
	v_fma_f32 v59, v70, v74, -v59
	v_add_f32_e32 v68, v58, v60
	v_mul_f32_e32 v58, v63, v67
	v_fmac_f32_e32 v65, v61, v64
	v_add_f32_e32 v56, v56, v59
	v_fma_f32 v58, v62, v66, -v58
	v_mul_f32_e32 v59, v62, v67
	v_add_f32_e32 v54, v54, v65
	v_fmac_f32_e32 v59, v63, v66
	v_add_f32_e32 v52, v52, v58
	v_mul_f32_e32 v58, v63, v75
	v_add_f32_e32 v54, v54, v59
	v_fma_f32 v64, v62, v74, -v58
	ds_read2_b64 v[58:61], v49 offset0:64 offset1:96
	v_mul_f32_e32 v62, v62, v75
	v_fmac_f32_e32 v62, v63, v74
	v_add_f32_e32 v48, v48, v62
	v_add_f32_e32 v50, v50, v64
	s_waitcnt lgkmcnt(0)
	v_mul_f32_e32 v62, v9, v59
	v_fma_f32 v66, v8, v58, -v62
	ds_read2_b64 v[62:65], v53 offset0:64 offset1:96
	v_add_f32_e32 v23, v23, v66
	v_mul_f32_e32 v67, v8, v59
	v_fmac_f32_e32 v67, v9, v58
	v_add_f32_e32 v31, v31, v67
	s_waitcnt lgkmcnt(0)
	v_mul_f32_e32 v66, v9, v63
	v_fma_f32 v66, v8, v62, -v66
	v_mul_f32_e32 v8, v8, v63
	v_fmac_f32_e32 v8, v9, v62
	v_add_f32_e32 v9, v56, v66
	v_mul_f32_e32 v56, v77, v59
	v_fma_f32 v56, v76, v58, -v56
	v_add_f32_e32 v52, v52, v56
	v_mul_f32_e32 v56, v77, v63
	v_fma_f32 v56, v76, v62, -v56
	v_mul_f32_e32 v59, v76, v59
	v_add_f32_e32 v50, v50, v56
	v_mul_f32_e32 v56, v11, v61
	v_fmac_f32_e32 v59, v77, v58
	v_mul_f32_e32 v58, v76, v63
	v_fma_f32 v56, v10, v60, -v56
	v_fmac_f32_e32 v58, v77, v62
	v_add_f32_e32 v23, v23, v56
	v_mul_f32_e32 v56, v11, v65
	v_add_f32_e32 v48, v48, v58
	v_mul_f32_e32 v58, v10, v61
	v_fma_f32 v56, v10, v64, -v56
	v_mul_f32_e32 v10, v10, v65
	v_add_f32_e32 v8, v68, v8
	v_fmac_f32_e32 v10, v11, v64
	v_add_f32_e32 v66, v8, v10
	v_mul_f32_e32 v8, v79, v61
	v_add_f32_e32 v56, v9, v56
	v_fma_f32 v8, v78, v60, -v8
	v_mul_f32_e32 v9, v78, v61
	v_add_f32_e32 v54, v54, v59
	v_fmac_f32_e32 v58, v11, v60
	v_fmac_f32_e32 v9, v79, v60
	v_add_f32_e32 v52, v52, v8
	v_mul_f32_e32 v8, v79, v65
	v_add_f32_e32 v31, v31, v58
	v_add_f32_e32 v54, v54, v9
	v_fma_f32 v58, v78, v64, -v8
	ds_read2_b64 v[8:11], v49 offset0:128 offset1:160
	v_mul_f32_e32 v59, v78, v65
	v_fmac_f32_e32 v59, v79, v64
	v_add_f32_e32 v50, v50, v58
	v_add_f32_e32 v48, v48, v59
	s_waitcnt lgkmcnt(0)
	v_mul_f32_e32 v58, v5, v9
	v_fma_f32 v62, v4, v8, -v58
	ds_read2_b64 v[58:61], v53 offset0:128 offset1:160
	v_mul_f32_e32 v63, v4, v9
	v_fmac_f32_e32 v63, v5, v8
	v_add_f32_e32 v23, v23, v62
	v_add_f32_e32 v31, v31, v63
	s_waitcnt lgkmcnt(0)
	v_mul_f32_e32 v62, v5, v59
	v_fma_f32 v67, v4, v58, -v62
	ds_read_b128 v[62:65], v15 offset:4128
	v_mul_f32_e32 v4, v4, v59
	v_fmac_f32_e32 v4, v5, v58
	v_add_f32_e32 v5, v56, v67
	v_add_f32_e32 v4, v66, v4
	ds_read_b128 v[66:69], v15 offset:4144
	s_waitcnt lgkmcnt(1)
	v_mul_f32_e32 v56, v63, v9
	v_fma_f32 v56, v62, v8, -v56
	v_mul_f32_e32 v9, v62, v9
	v_fmac_f32_e32 v9, v63, v8
	v_add_f32_e32 v8, v52, v56
	v_mul_f32_e32 v52, v63, v59
	v_fma_f32 v52, v62, v58, -v52
	v_add_f32_e32 v50, v50, v52
	v_mul_f32_e32 v52, v7, v11
	v_add_f32_e32 v9, v54, v9
	v_mul_f32_e32 v54, v62, v59
	v_fma_f32 v52, v6, v10, -v52
	v_fmac_f32_e32 v54, v63, v58
	v_add_f32_e32 v23, v23, v52
	v_mul_f32_e32 v52, v7, v61
	v_add_f32_e32 v48, v48, v54
	v_mul_f32_e32 v54, v6, v11
	v_fma_f32 v52, v6, v60, -v52
	v_mul_f32_e32 v6, v6, v61
	v_fmac_f32_e32 v54, v7, v10
	v_fmac_f32_e32 v6, v7, v60
	v_add_f32_e32 v31, v31, v54
	v_add_f32_e32 v54, v4, v6
	v_mul_f32_e32 v4, v65, v11
	v_add_f32_e32 v52, v5, v52
	v_fma_f32 v4, v64, v10, -v4
	v_mul_f32_e32 v5, v64, v11
	v_fmac_f32_e32 v5, v65, v10
	v_add_f32_e32 v56, v8, v4
	v_mul_f32_e32 v4, v65, v61
	v_add_f32_e32 v58, v9, v5
	v_fma_f32 v8, v64, v60, -v4
	ds_read2_b64 v[4:7], v49 offset0:192 offset1:224
	v_mul_f32_e32 v9, v64, v61
	v_fmac_f32_e32 v9, v65, v60
	v_add_f32_e32 v50, v50, v8
	v_add_f32_e32 v48, v48, v9
	s_waitcnt lgkmcnt(0)
	v_mul_f32_e32 v8, v1, v5
	v_fma_f32 v59, v0, v4, -v8
	ds_read2_b64 v[8:11], v53 offset0:192 offset1:224
	v_add_f32_e32 v23, v23, v59
	v_mul_f32_e32 v60, v0, v5
	v_fmac_f32_e32 v60, v1, v4
	v_add_f32_e32 v31, v31, v60
	s_waitcnt lgkmcnt(0)
	v_mul_f32_e32 v59, v1, v9
	v_fma_f32 v59, v0, v8, -v59
	v_mul_f32_e32 v0, v0, v9
	v_fmac_f32_e32 v0, v1, v8
	v_add_f32_e32 v1, v52, v59
	v_mul_f32_e32 v52, v67, v5
	v_fma_f32 v52, v66, v4, -v52
	v_mul_f32_e32 v5, v66, v5
	v_fmac_f32_e32 v5, v67, v4
	v_add_f32_e32 v4, v56, v52
	v_mul_f32_e32 v52, v67, v9
	v_mul_f32_e32 v9, v66, v9
	v_fma_f32 v52, v66, v8, -v52
	v_fmac_f32_e32 v9, v67, v8
	v_mul_f32_e32 v8, v3, v7
	v_fma_f32 v8, v2, v6, -v8
	v_add_f32_e32 v23, v23, v8
	v_mul_f32_e32 v8, v3, v11
	v_add_f32_e32 v48, v48, v9
	v_mul_f32_e32 v9, v2, v7
	v_fma_f32 v8, v2, v10, -v8
	v_mul_f32_e32 v2, v2, v11
	v_add_f32_e32 v0, v54, v0
	v_fmac_f32_e32 v2, v3, v10
	v_add_f32_e32 v54, v0, v2
	v_mul_f32_e32 v0, v69, v7
	v_add_f32_e32 v50, v50, v52
	v_add_f32_e32 v52, v1, v8
	v_fma_f32 v0, v68, v6, -v0
	v_mul_f32_e32 v1, v68, v7
	v_add_f32_e32 v5, v58, v5
	v_fmac_f32_e32 v9, v3, v6
	v_fmac_f32_e32 v1, v69, v6
	v_add_f32_e32 v56, v4, v0
	v_mul_f32_e32 v0, v69, v11
	v_add_u32_e32 v4, 0x800, v49
	v_add_f32_e32 v31, v31, v9
	v_add_f32_e32 v74, v5, v1
	v_fma_f32 v5, v68, v10, -v0
	ds_read2_b64 v[0:3], v4 offset1:32
	ds_read_b128 v[6:9], v15 offset:64
	v_mul_f32_e32 v11, v68, v11
	v_fmac_f32_e32 v11, v69, v10
	v_add_f32_e32 v10, v50, v5
	v_add_f32_e32 v11, v48, v11
	s_waitcnt lgkmcnt(0)
	v_mul_f32_e32 v5, v7, v1
	v_fma_f32 v48, v6, v0, -v5
	v_add_u32_e32 v5, 0x800, v53
	ds_read2_b64 v[62:65], v5 offset1:32
	ds_read_b128 v[58:61], v15 offset:80
	ds_read_b128 v[66:69], v15 offset:4160
	v_add_f32_e32 v23, v23, v48
	v_mul_f32_e32 v50, v6, v1
	s_waitcnt lgkmcnt(2)
	v_mul_f32_e32 v48, v7, v63
	v_fma_f32 v48, v6, v62, -v48
	v_mul_f32_e32 v6, v6, v63
	v_fmac_f32_e32 v50, v7, v0
	v_fmac_f32_e32 v6, v7, v62
	v_add_f32_e32 v7, v52, v48
	s_waitcnt lgkmcnt(0)
	v_mul_f32_e32 v48, v67, v1
	v_fma_f32 v48, v66, v0, -v48
	v_mul_f32_e32 v1, v66, v1
	v_fmac_f32_e32 v1, v67, v0
	v_add_f32_e32 v0, v56, v48
	v_mul_f32_e32 v48, v67, v63
	v_fma_f32 v48, v66, v62, -v48
	v_add_f32_e32 v10, v10, v48
	v_mul_f32_e32 v48, v9, v3
	v_add_f32_e32 v31, v31, v50
	v_mul_f32_e32 v50, v66, v63
	v_fma_f32 v48, v8, v2, -v48
	v_fmac_f32_e32 v50, v67, v62
	v_add_f32_e32 v23, v23, v48
	v_mul_f32_e32 v48, v9, v65
	v_add_f32_e32 v11, v11, v50
	v_mul_f32_e32 v50, v8, v3
	v_fma_f32 v48, v8, v64, -v48
	v_mul_f32_e32 v8, v8, v65
	v_add_f32_e32 v6, v54, v6
	v_fmac_f32_e32 v50, v9, v2
	v_fmac_f32_e32 v8, v9, v64
	v_add_f32_e32 v31, v31, v50
	v_add_f32_e32 v50, v6, v8
	v_mul_f32_e32 v6, v69, v3
	v_fma_f32 v6, v68, v2, -v6
	v_mul_f32_e32 v3, v68, v3
	v_add_f32_e32 v1, v74, v1
	v_fmac_f32_e32 v3, v69, v2
	v_add_f32_e32 v52, v0, v6
	v_mul_f32_e32 v0, v69, v65
	v_add_f32_e32 v54, v1, v3
	v_fma_f32 v6, v68, v64, -v0
	ds_read2_b64 v[0:3], v4 offset0:64 offset1:96
	v_add_f32_e32 v48, v7, v48
	v_mul_f32_e32 v7, v68, v65
	v_fmac_f32_e32 v7, v69, v64
	v_add_f32_e32 v10, v10, v6
	s_waitcnt lgkmcnt(0)
	v_mul_f32_e32 v6, v59, v1
	v_add_f32_e32 v11, v11, v7
	v_fma_f32 v56, v58, v0, -v6
	ds_read2_b64 v[6:9], v5 offset0:64 offset1:96
	ds_read_b128 v[70:73], v15 offset:4176
	v_add_f32_e32 v23, v23, v56
	v_mul_f32_e32 v62, v58, v1
	v_fmac_f32_e32 v62, v59, v0
	s_waitcnt lgkmcnt(1)
	v_mul_f32_e32 v56, v59, v7
	v_fma_f32 v56, v58, v6, -v56
	v_add_f32_e32 v48, v48, v56
	s_waitcnt lgkmcnt(0)
	v_mul_f32_e32 v56, v71, v1
	v_fma_f32 v56, v70, v0, -v56
	v_mul_f32_e32 v1, v70, v1
	v_fmac_f32_e32 v1, v71, v0
	v_add_f32_e32 v0, v52, v56
	v_mul_f32_e32 v52, v71, v7
	v_mul_f32_e32 v58, v58, v7
	v_fma_f32 v52, v70, v6, -v52
	v_mul_f32_e32 v7, v70, v7
	v_fmac_f32_e32 v58, v59, v6
	v_fmac_f32_e32 v7, v71, v6
	v_add_f32_e32 v6, v10, v52
	v_mul_f32_e32 v10, v61, v3
	v_fma_f32 v10, v60, v2, -v10
	v_add_f32_e32 v10, v23, v10
	v_mul_f32_e32 v23, v61, v9
	v_add_f32_e32 v7, v11, v7
	v_mul_f32_e32 v11, v60, v3
	v_fma_f32 v23, v60, v8, -v23
	v_add_f32_e32 v31, v31, v62
	v_fmac_f32_e32 v11, v61, v2
	v_add_f32_e32 v23, v48, v23
	v_mul_f32_e32 v48, v73, v3
	v_add_f32_e32 v11, v31, v11
	v_mul_f32_e32 v31, v60, v9
	v_fma_f32 v48, v72, v2, -v48
	v_mul_f32_e32 v3, v72, v3
	v_add_f32_e32 v50, v50, v58
	v_add_f32_e32 v1, v54, v1
	v_fmac_f32_e32 v31, v61, v8
	v_fmac_f32_e32 v3, v73, v2
	v_add_f32_e32 v48, v0, v48
	v_mul_f32_e32 v0, v73, v9
	v_add_f32_e32 v31, v50, v31
	v_add_f32_e32 v50, v1, v3
	v_fma_f32 v52, v72, v8, -v0
	ds_read2_b64 v[0:3], v4 offset0:128 offset1:160
	ds_read_b128 v[58:61], v15 offset:96
	v_mul_f32_e32 v9, v72, v9
	ds_read2_b64 v[62:65], v5 offset0:128 offset1:160
	v_fmac_f32_e32 v9, v73, v8
	v_add_f32_e32 v52, v6, v52
	s_waitcnt lgkmcnt(1)
	v_mul_f32_e32 v66, v58, v1
	v_fmac_f32_e32 v66, v59, v0
	v_add_f32_e32 v54, v7, v9
	ds_read_b128 v[6:9], v15 offset:112
	v_add_f32_e32 v11, v11, v66
	ds_read_b128 v[66:69], v15 offset:4192
	v_mul_f32_e32 v56, v59, v1
	v_fma_f32 v56, v58, v0, -v56
	v_add_f32_e32 v10, v10, v56
	s_waitcnt lgkmcnt(2)
	v_mul_f32_e32 v56, v59, v63
	v_fma_f32 v56, v58, v62, -v56
	v_add_f32_e32 v23, v23, v56
	s_waitcnt lgkmcnt(0)
	v_mul_f32_e32 v56, v67, v1
	v_fma_f32 v56, v66, v0, -v56
	v_mul_f32_e32 v1, v66, v1
	v_fmac_f32_e32 v1, v67, v0
	v_add_f32_e32 v0, v48, v56
	v_mul_f32_e32 v48, v67, v63
	v_fma_f32 v48, v66, v62, -v48
	v_add_f32_e32 v48, v52, v48
	v_mul_f32_e32 v52, v61, v3
	v_add_f32_e32 v1, v50, v1
	v_mul_f32_e32 v50, v66, v63
	v_fma_f32 v52, v60, v2, -v52
	v_fmac_f32_e32 v50, v67, v62
	v_add_f32_e32 v10, v10, v52
	v_mul_f32_e32 v52, v61, v65
	v_add_f32_e32 v50, v54, v50
	v_mul_f32_e32 v54, v60, v3
	v_fma_f32 v52, v60, v64, -v52
	v_mul_f32_e32 v58, v58, v63
	v_fmac_f32_e32 v54, v61, v2
	v_add_f32_e32 v23, v23, v52
	v_mul_f32_e32 v52, v69, v3
	v_fmac_f32_e32 v58, v59, v62
	v_add_f32_e32 v11, v11, v54
	v_mul_f32_e32 v54, v60, v65
	v_fma_f32 v52, v68, v2, -v52
	v_mul_f32_e32 v3, v68, v3
	v_add_f32_e32 v31, v31, v58
	v_fmac_f32_e32 v54, v61, v64
	v_fmac_f32_e32 v3, v69, v2
	v_add_f32_e32 v52, v0, v52
	v_mul_f32_e32 v0, v69, v65
	v_add_f32_e32 v31, v31, v54
	v_add_f32_e32 v54, v1, v3
	v_fma_f32 v56, v68, v64, -v0
	ds_read2_b64 v[0:3], v4 offset0:192 offset1:224
	ds_read2_b64 v[58:61], v5 offset0:192 offset1:224
	ds_read_b128 v[70:73], v15 offset:4208
	v_mul_f32_e32 v4, v68, v65
	v_fmac_f32_e32 v4, v69, v64
	s_waitcnt lgkmcnt(2)
	v_mul_f32_e32 v5, v6, v1
	v_fmac_f32_e32 v5, v7, v0
	v_add_f32_e32 v4, v50, v4
	v_mul_f32_e32 v50, v7, v1
	v_add_f32_e32 v5, v11, v5
	s_waitcnt lgkmcnt(1)
	v_mul_f32_e32 v11, v7, v59
	v_fma_f32 v50, v6, v0, -v50
	v_fma_f32 v11, v6, v58, -v11
	v_mul_f32_e32 v6, v6, v59
	v_fmac_f32_e32 v6, v7, v58
	v_add_f32_e32 v7, v23, v11
	s_waitcnt lgkmcnt(0)
	v_mul_f32_e32 v23, v70, v59
	v_fmac_f32_e32 v23, v71, v58
	v_mul_f32_e32 v11, v71, v1
	v_add_f32_e32 v23, v4, v23
	v_mul_f32_e32 v4, v9, v3
	v_add_f32_e32 v10, v10, v50
	v_fma_f32 v11, v70, v0, -v11
	v_mul_f32_e32 v1, v70, v1
	v_fma_f32 v4, v8, v2, -v4
	v_fmac_f32_e32 v1, v71, v0
	v_add_f32_e32 v0, v52, v11
	v_mul_f32_e32 v11, v71, v59
	v_add_f32_e32 v10, v10, v4
	v_mul_f32_e32 v4, v9, v61
	v_add_f32_e32 v48, v48, v56
	v_add_f32_e32 v6, v31, v6
	v_fma_f32 v11, v70, v58, -v11
	v_mul_f32_e32 v31, v8, v3
	v_fma_f32 v4, v8, v60, -v4
	v_add_f32_e32 v11, v48, v11
	v_fmac_f32_e32 v31, v9, v2
	v_add_f32_e32 v48, v7, v4
	v_mul_f32_e32 v4, v73, v3
	v_add_f32_e32 v31, v5, v31
	v_mul_f32_e32 v5, v8, v61
	v_fma_f32 v4, v72, v2, -v4
	v_mul_f32_e32 v3, v72, v3
	v_add_f32_e32 v1, v54, v1
	v_fmac_f32_e32 v5, v9, v60
	v_fmac_f32_e32 v3, v73, v2
	v_add_f32_e32 v52, v0, v4
	v_mul_f32_e32 v0, v73, v61
	v_add_u32_e32 v4, 0x1000, v49
	v_add_f32_e32 v50, v6, v5
	v_add_f32_e32 v54, v1, v3
	v_fma_f32 v5, v72, v60, -v0
	ds_read2_b64 v[0:3], v4 offset1:32
	ds_read_b128 v[6:9], v15 offset:128
	v_mul_f32_e32 v56, v72, v61
	v_fmac_f32_e32 v56, v73, v60
	v_add_f32_e32 v11, v11, v5
	v_add_f32_e32 v23, v23, v56
	s_waitcnt lgkmcnt(0)
	v_mul_f32_e32 v5, v7, v1
	v_fma_f32 v56, v6, v0, -v5
	v_add_u32_e32 v5, 0x1000, v53
	ds_read2_b64 v[62:65], v5 offset1:32
	v_mul_f32_e32 v66, v6, v1
	v_fmac_f32_e32 v66, v7, v0
	ds_read_b128 v[58:61], v15 offset:144
	v_add_f32_e32 v31, v31, v66
	ds_read_b128 v[66:69], v15 offset:4224
	v_add_f32_e32 v10, v10, v56
	s_waitcnt lgkmcnt(2)
	v_mul_f32_e32 v56, v7, v63
	v_fma_f32 v56, v6, v62, -v56
	v_mul_f32_e32 v6, v6, v63
	v_fmac_f32_e32 v6, v7, v62
	v_add_f32_e32 v7, v48, v56
	s_waitcnt lgkmcnt(0)
	v_mul_f32_e32 v48, v67, v1
	v_fma_f32 v48, v66, v0, -v48
	v_mul_f32_e32 v1, v66, v1
	v_fmac_f32_e32 v1, v67, v0
	v_add_f32_e32 v0, v52, v48
	v_mul_f32_e32 v48, v67, v63
	v_fma_f32 v48, v66, v62, -v48
	v_add_f32_e32 v11, v11, v48
	v_mul_f32_e32 v48, v9, v3
	v_add_f32_e32 v6, v50, v6
	v_mul_f32_e32 v50, v66, v63
	v_fma_f32 v48, v8, v2, -v48
	v_fmac_f32_e32 v50, v67, v62
	v_add_f32_e32 v10, v10, v48
	v_mul_f32_e32 v48, v9, v65
	v_add_f32_e32 v23, v23, v50
	v_mul_f32_e32 v50, v8, v3
	v_fma_f32 v48, v8, v64, -v48
	v_mul_f32_e32 v8, v8, v65
	v_fmac_f32_e32 v50, v9, v2
	v_fmac_f32_e32 v8, v9, v64
	v_add_f32_e32 v31, v31, v50
	v_add_f32_e32 v50, v6, v8
	v_mul_f32_e32 v6, v69, v3
	v_fma_f32 v6, v68, v2, -v6
	v_mul_f32_e32 v3, v68, v3
	v_add_f32_e32 v1, v54, v1
	v_fmac_f32_e32 v3, v69, v2
	v_add_f32_e32 v52, v0, v6
	v_mul_f32_e32 v0, v69, v65
	v_add_f32_e32 v54, v1, v3
	v_fma_f32 v6, v68, v64, -v0
	ds_read2_b64 v[0:3], v4 offset0:64 offset1:96
	v_add_f32_e32 v48, v7, v48
	v_mul_f32_e32 v7, v68, v65
	v_fmac_f32_e32 v7, v69, v64
	v_add_f32_e32 v11, v11, v6
	s_waitcnt lgkmcnt(0)
	v_mul_f32_e32 v6, v59, v1
	v_add_f32_e32 v23, v23, v7
	v_fma_f32 v56, v58, v0, -v6
	ds_read2_b64 v[6:9], v5 offset0:64 offset1:96
	ds_read_b128 v[70:73], v15 offset:4240
	v_add_f32_e32 v10, v10, v56
	v_mul_f32_e32 v62, v58, v1
	v_fmac_f32_e32 v62, v59, v0
	s_waitcnt lgkmcnt(1)
	v_mul_f32_e32 v56, v59, v7
	v_fma_f32 v56, v58, v6, -v56
	v_add_f32_e32 v48, v48, v56
	s_waitcnt lgkmcnt(0)
	v_mul_f32_e32 v56, v71, v1
	v_fma_f32 v56, v70, v0, -v56
	v_mul_f32_e32 v1, v70, v1
	v_mul_f32_e32 v58, v58, v7
	v_fmac_f32_e32 v1, v71, v0
	v_add_f32_e32 v0, v52, v56
	v_mul_f32_e32 v52, v71, v7
	v_mul_f32_e32 v7, v70, v7
	v_fma_f32 v52, v70, v6, -v52
	v_fmac_f32_e32 v7, v71, v6
	v_fmac_f32_e32 v58, v59, v6
	v_add_f32_e32 v6, v11, v52
	v_add_f32_e32 v7, v23, v7
	v_mul_f32_e32 v11, v61, v3
	v_mul_f32_e32 v23, v60, v3
	v_add_f32_e32 v31, v31, v62
	v_fma_f32 v11, v60, v2, -v11
	v_fmac_f32_e32 v23, v61, v2
	v_add_f32_e32 v10, v10, v11
	v_add_f32_e32 v11, v31, v23
	v_mul_f32_e32 v23, v61, v9
	v_fma_f32 v23, v60, v8, -v23
	v_add_f32_e32 v23, v48, v23
	v_mul_f32_e32 v48, v73, v3
	v_mul_f32_e32 v31, v60, v9
	v_fma_f32 v48, v72, v2, -v48
	v_mul_f32_e32 v3, v72, v3
	v_add_f32_e32 v50, v50, v58
	v_add_f32_e32 v1, v54, v1
	v_fmac_f32_e32 v31, v61, v8
	v_fmac_f32_e32 v3, v73, v2
	v_add_f32_e32 v48, v0, v48
	v_mul_f32_e32 v0, v73, v9
	v_add_f32_e32 v31, v50, v31
	v_add_f32_e32 v50, v1, v3
	v_fma_f32 v52, v72, v8, -v0
	ds_read2_b64 v[0:3], v4 offset0:128 offset1:160
	ds_read_b128 v[58:61], v15 offset:160
	v_mul_f32_e32 v9, v72, v9
	ds_read2_b64 v[62:65], v5 offset0:128 offset1:160
	v_fmac_f32_e32 v9, v73, v8
	v_add_f32_e32 v52, v6, v52
	s_waitcnt lgkmcnt(1)
	v_mul_f32_e32 v66, v58, v1
	v_fmac_f32_e32 v66, v59, v0
	v_add_f32_e32 v54, v7, v9
	ds_read_b128 v[6:9], v15 offset:176
	v_add_f32_e32 v11, v11, v66
	ds_read_b128 v[66:69], v15 offset:4256
	v_mul_f32_e32 v56, v59, v1
	v_fma_f32 v56, v58, v0, -v56
	v_add_f32_e32 v10, v10, v56
	s_waitcnt lgkmcnt(2)
	v_mul_f32_e32 v56, v59, v63
	v_fma_f32 v56, v58, v62, -v56
	v_add_f32_e32 v23, v23, v56
	s_waitcnt lgkmcnt(0)
	v_mul_f32_e32 v56, v67, v1
	v_fma_f32 v56, v66, v0, -v56
	v_mul_f32_e32 v1, v66, v1
	v_fmac_f32_e32 v1, v67, v0
	v_add_f32_e32 v0, v48, v56
	v_mul_f32_e32 v48, v67, v63
	v_fma_f32 v48, v66, v62, -v48
	v_add_f32_e32 v48, v52, v48
	v_mul_f32_e32 v52, v61, v3
	v_add_f32_e32 v1, v50, v1
	v_mul_f32_e32 v50, v66, v63
	v_fma_f32 v52, v60, v2, -v52
	v_fmac_f32_e32 v50, v67, v62
	v_add_f32_e32 v10, v10, v52
	v_mul_f32_e32 v52, v61, v65
	v_add_f32_e32 v50, v54, v50
	v_mul_f32_e32 v54, v60, v3
	v_fma_f32 v52, v60, v64, -v52
	v_mul_f32_e32 v58, v58, v63
	v_fmac_f32_e32 v54, v61, v2
	v_add_f32_e32 v23, v23, v52
	v_mul_f32_e32 v52, v69, v3
	v_fmac_f32_e32 v58, v59, v62
	v_add_f32_e32 v11, v11, v54
	v_mul_f32_e32 v54, v60, v65
	v_fma_f32 v52, v68, v2, -v52
	v_mul_f32_e32 v3, v68, v3
	v_add_f32_e32 v31, v31, v58
	v_fmac_f32_e32 v54, v61, v64
	v_fmac_f32_e32 v3, v69, v2
	v_add_f32_e32 v52, v0, v52
	v_mul_f32_e32 v0, v69, v65
	v_add_f32_e32 v31, v31, v54
	v_add_f32_e32 v54, v1, v3
	v_fma_f32 v56, v68, v64, -v0
	ds_read2_b64 v[0:3], v4 offset0:192 offset1:224
	ds_read2_b64 v[58:61], v5 offset0:192 offset1:224
	ds_read_b128 v[70:73], v15 offset:4272
	v_mul_f32_e32 v4, v68, v65
	v_fmac_f32_e32 v4, v69, v64
	s_waitcnt lgkmcnt(2)
	v_mul_f32_e32 v5, v6, v1
	v_fmac_f32_e32 v5, v7, v0
	v_add_f32_e32 v4, v50, v4
	v_mul_f32_e32 v50, v7, v1
	v_add_f32_e32 v5, v11, v5
	s_waitcnt lgkmcnt(1)
	v_mul_f32_e32 v11, v7, v59
	v_fma_f32 v50, v6, v0, -v50
	v_fma_f32 v11, v6, v58, -v11
	v_mul_f32_e32 v6, v6, v59
	v_fmac_f32_e32 v6, v7, v58
	v_add_f32_e32 v7, v23, v11
	s_waitcnt lgkmcnt(0)
	v_mul_f32_e32 v23, v70, v59
	v_fmac_f32_e32 v23, v71, v58
	v_mul_f32_e32 v11, v71, v1
	v_add_f32_e32 v23, v4, v23
	v_mul_f32_e32 v4, v9, v3
	v_add_f32_e32 v10, v10, v50
	v_fma_f32 v11, v70, v0, -v11
	v_mul_f32_e32 v1, v70, v1
	v_fma_f32 v4, v8, v2, -v4
	v_fmac_f32_e32 v1, v71, v0
	v_add_f32_e32 v0, v52, v11
	v_mul_f32_e32 v11, v71, v59
	v_add_f32_e32 v10, v10, v4
	v_mul_f32_e32 v4, v9, v61
	v_add_f32_e32 v48, v48, v56
	v_add_f32_e32 v6, v31, v6
	v_fma_f32 v11, v70, v58, -v11
	v_mul_f32_e32 v31, v8, v3
	v_fma_f32 v4, v8, v60, -v4
	v_add_f32_e32 v11, v48, v11
	v_fmac_f32_e32 v31, v9, v2
	v_add_f32_e32 v48, v7, v4
	v_mul_f32_e32 v4, v73, v3
	v_add_f32_e32 v31, v5, v31
	v_mul_f32_e32 v5, v8, v61
	v_fma_f32 v4, v72, v2, -v4
	v_mul_f32_e32 v3, v72, v3
	v_add_f32_e32 v1, v54, v1
	v_fmac_f32_e32 v5, v9, v60
	v_fmac_f32_e32 v3, v73, v2
	v_add_f32_e32 v52, v0, v4
	v_mul_f32_e32 v0, v73, v61
	v_add_u32_e32 v4, 0x1800, v49
	v_add_f32_e32 v50, v6, v5
	v_add_f32_e32 v54, v1, v3
	v_fma_f32 v5, v72, v60, -v0
	ds_read2_b64 v[0:3], v4 offset1:32
	ds_read_b128 v[6:9], v15 offset:192
	v_mul_f32_e32 v56, v72, v61
	v_fmac_f32_e32 v56, v73, v60
	v_add_f32_e32 v11, v11, v5
	v_add_f32_e32 v23, v23, v56
	s_waitcnt lgkmcnt(0)
	v_mul_f32_e32 v5, v7, v1
	v_fma_f32 v56, v6, v0, -v5
	v_add_u32_e32 v5, 0x1800, v53
	ds_read2_b64 v[62:65], v5 offset1:32
	v_mul_f32_e32 v66, v6, v1
	v_fmac_f32_e32 v66, v7, v0
	ds_read_b128 v[58:61], v15 offset:208
	v_add_f32_e32 v31, v31, v66
	ds_read_b128 v[66:69], v15 offset:4288
	v_add_f32_e32 v10, v10, v56
	s_waitcnt lgkmcnt(2)
	v_mul_f32_e32 v56, v7, v63
	v_fma_f32 v56, v6, v62, -v56
	v_mul_f32_e32 v6, v6, v63
	v_fmac_f32_e32 v6, v7, v62
	v_add_f32_e32 v7, v48, v56
	s_waitcnt lgkmcnt(0)
	v_mul_f32_e32 v48, v67, v1
	v_fma_f32 v48, v66, v0, -v48
	v_mul_f32_e32 v1, v66, v1
	v_fmac_f32_e32 v1, v67, v0
	v_add_f32_e32 v0, v52, v48
	v_mul_f32_e32 v48, v67, v63
	v_fma_f32 v48, v66, v62, -v48
	v_add_f32_e32 v11, v11, v48
	v_mul_f32_e32 v48, v9, v3
	v_add_f32_e32 v6, v50, v6
	v_mul_f32_e32 v50, v66, v63
	v_fma_f32 v48, v8, v2, -v48
	v_fmac_f32_e32 v50, v67, v62
	v_add_f32_e32 v10, v10, v48
	v_mul_f32_e32 v48, v9, v65
	v_add_f32_e32 v23, v23, v50
	v_mul_f32_e32 v50, v8, v3
	v_fma_f32 v48, v8, v64, -v48
	v_mul_f32_e32 v8, v8, v65
	v_fmac_f32_e32 v50, v9, v2
	v_fmac_f32_e32 v8, v9, v64
	v_add_f32_e32 v31, v31, v50
	v_add_f32_e32 v50, v6, v8
	v_mul_f32_e32 v6, v69, v3
	v_fma_f32 v6, v68, v2, -v6
	v_mul_f32_e32 v3, v68, v3
	v_add_f32_e32 v1, v54, v1
	v_fmac_f32_e32 v3, v69, v2
	v_add_f32_e32 v52, v0, v6
	v_mul_f32_e32 v0, v69, v65
	v_add_f32_e32 v54, v1, v3
	v_fma_f32 v6, v68, v64, -v0
	ds_read2_b64 v[0:3], v4 offset0:64 offset1:96
	v_add_f32_e32 v48, v7, v48
	v_mul_f32_e32 v7, v68, v65
	v_fmac_f32_e32 v7, v69, v64
	v_add_f32_e32 v11, v11, v6
	s_waitcnt lgkmcnt(0)
	v_mul_f32_e32 v6, v59, v1
	v_add_f32_e32 v23, v23, v7
	v_fma_f32 v56, v58, v0, -v6
	ds_read2_b64 v[6:9], v5 offset0:64 offset1:96
	ds_read_b128 v[70:73], v15 offset:4304
	v_add_f32_e32 v10, v10, v56
	v_mul_f32_e32 v62, v58, v1
	v_fmac_f32_e32 v62, v59, v0
	s_waitcnt lgkmcnt(1)
	v_mul_f32_e32 v56, v59, v7
	v_fma_f32 v56, v58, v6, -v56
	v_add_f32_e32 v48, v48, v56
	s_waitcnt lgkmcnt(0)
	v_mul_f32_e32 v56, v71, v1
	v_fma_f32 v56, v70, v0, -v56
	v_mul_f32_e32 v1, v70, v1
	v_mul_f32_e32 v58, v58, v7
	v_fmac_f32_e32 v1, v71, v0
	v_add_f32_e32 v0, v52, v56
	v_mul_f32_e32 v52, v71, v7
	v_mul_f32_e32 v7, v70, v7
	v_fma_f32 v52, v70, v6, -v52
	v_fmac_f32_e32 v7, v71, v6
	v_fmac_f32_e32 v58, v59, v6
	v_add_f32_e32 v6, v11, v52
	v_add_f32_e32 v7, v23, v7
	v_mul_f32_e32 v11, v61, v3
	v_mul_f32_e32 v23, v60, v3
	v_add_f32_e32 v31, v31, v62
	v_fma_f32 v11, v60, v2, -v11
	v_fmac_f32_e32 v23, v61, v2
	v_add_f32_e32 v10, v10, v11
	v_add_f32_e32 v11, v31, v23
	v_mul_f32_e32 v23, v61, v9
	v_fma_f32 v23, v60, v8, -v23
	v_add_f32_e32 v23, v48, v23
	v_mul_f32_e32 v48, v73, v3
	v_mul_f32_e32 v31, v60, v9
	v_fma_f32 v48, v72, v2, -v48
	v_mul_f32_e32 v3, v72, v3
	v_add_f32_e32 v50, v50, v58
	v_add_f32_e32 v1, v54, v1
	v_fmac_f32_e32 v31, v61, v8
	v_fmac_f32_e32 v3, v73, v2
	v_add_f32_e32 v48, v0, v48
	v_mul_f32_e32 v0, v73, v9
	v_add_f32_e32 v31, v50, v31
	v_add_f32_e32 v50, v1, v3
	v_fma_f32 v52, v72, v8, -v0
	ds_read2_b64 v[0:3], v4 offset0:128 offset1:160
	ds_read_b128 v[58:61], v15 offset:224
	v_mul_f32_e32 v9, v72, v9
	ds_read2_b64 v[62:65], v5 offset0:128 offset1:160
	v_fmac_f32_e32 v9, v73, v8
	v_add_f32_e32 v52, v6, v52
	s_waitcnt lgkmcnt(1)
	v_mul_f32_e32 v66, v58, v1
	v_fmac_f32_e32 v66, v59, v0
	v_add_f32_e32 v54, v7, v9
	ds_read_b128 v[6:9], v15 offset:240
	v_add_f32_e32 v11, v11, v66
	ds_read_b128 v[66:69], v15 offset:4320
	v_mul_f32_e32 v56, v59, v1
	v_fma_f32 v56, v58, v0, -v56
	v_add_f32_e32 v10, v10, v56
	s_waitcnt lgkmcnt(2)
	v_mul_f32_e32 v56, v59, v63
	v_fma_f32 v56, v58, v62, -v56
	v_add_f32_e32 v23, v23, v56
	s_waitcnt lgkmcnt(0)
	v_mul_f32_e32 v56, v67, v1
	v_fma_f32 v56, v66, v0, -v56
	v_mul_f32_e32 v1, v66, v1
	v_fmac_f32_e32 v1, v67, v0
	v_add_f32_e32 v0, v48, v56
	v_mul_f32_e32 v48, v67, v63
	v_fma_f32 v48, v66, v62, -v48
	v_add_f32_e32 v48, v52, v48
	v_mul_f32_e32 v52, v61, v3
	v_add_f32_e32 v1, v50, v1
	v_mul_f32_e32 v50, v66, v63
	v_fma_f32 v52, v60, v2, -v52
	v_fmac_f32_e32 v50, v67, v62
	v_add_f32_e32 v10, v10, v52
	v_mul_f32_e32 v52, v61, v65
	v_add_f32_e32 v50, v54, v50
	v_mul_f32_e32 v54, v60, v3
	v_fma_f32 v52, v60, v64, -v52
	v_mul_f32_e32 v58, v58, v63
	v_fmac_f32_e32 v54, v61, v2
	v_add_f32_e32 v23, v23, v52
	v_mul_f32_e32 v52, v69, v3
	v_fmac_f32_e32 v58, v59, v62
	v_add_f32_e32 v11, v11, v54
	v_mul_f32_e32 v54, v60, v65
	v_fma_f32 v52, v68, v2, -v52
	v_mul_f32_e32 v3, v68, v3
	v_add_f32_e32 v31, v31, v58
	v_fmac_f32_e32 v54, v61, v64
	v_fmac_f32_e32 v3, v69, v2
	v_add_f32_e32 v52, v0, v52
	v_mul_f32_e32 v0, v69, v65
	v_add_f32_e32 v31, v31, v54
	v_add_f32_e32 v54, v1, v3
	v_fma_f32 v56, v68, v64, -v0
	ds_read2_b64 v[0:3], v4 offset0:192 offset1:224
	v_mul_f32_e32 v4, v68, v65
	v_fmac_f32_e32 v4, v69, v64
	ds_read2_b64 v[62:65], v5 offset0:192 offset1:224
	ds_read_b128 v[70:73], v15 offset:4336
	s_waitcnt lgkmcnt(2)
	v_mul_f32_e32 v5, v6, v1
	v_fmac_f32_e32 v5, v7, v0
	v_add_f32_e32 v4, v50, v4
	v_mul_f32_e32 v50, v7, v1
	v_add_f32_e32 v5, v11, v5
	s_waitcnt lgkmcnt(1)
	v_mul_f32_e32 v11, v7, v63
	v_fma_f32 v50, v6, v0, -v50
	v_fma_f32 v11, v6, v62, -v11
	v_mul_f32_e32 v6, v6, v63
	v_fmac_f32_e32 v6, v7, v62
	v_add_f32_e32 v7, v23, v11
	s_waitcnt lgkmcnt(0)
	v_mul_f32_e32 v11, v71, v1
	v_add_f32_e32 v6, v31, v6
	v_fma_f32 v11, v70, v0, -v11
	v_mul_f32_e32 v1, v70, v1
	v_mul_f32_e32 v31, v8, v3
	v_fmac_f32_e32 v1, v71, v0
	v_add_f32_e32 v0, v52, v11
	v_mul_f32_e32 v11, v71, v63
	v_mul_f32_e32 v23, v70, v63
	v_fmac_f32_e32 v31, v9, v2
	v_fma_f32 v11, v70, v62, -v11
	v_fmac_f32_e32 v23, v71, v62
	v_add_f32_e32 v62, v5, v31
	v_mul_f32_e32 v5, v9, v65
	v_fma_f32 v5, v8, v64, -v5
	v_add_f32_e32 v48, v48, v56
	v_add_f32_e32 v56, v7, v5
	v_mul_f32_e32 v5, v73, v3
	v_fma_f32 v5, v72, v2, -v5
	v_add_f32_e32 v52, v0, v5
	v_mul_f32_e32 v0, v73, v65
	v_add_f32_e32 v11, v48, v11
	v_fma_f32 v0, v72, v64, -v0
	v_add_f32_e32 v10, v10, v50
	v_add_f32_e32 v50, v11, v0
	v_mov_b32_e32 v0, s45
	v_add_co_u32_e32 v46, vcc, s44, v46
	v_add_f32_e32 v4, v4, v23
	v_mul_f32_e32 v23, v9, v3
	v_mul_f32_e32 v3, v72, v3
	v_addc_co_u32_e32 v47, vcc, v47, v0, vcc
	v_add_f32_e32 v1, v54, v1
	v_fmac_f32_e32 v3, v73, v2
	v_add_co_u32_e32 v36, vcc, 0x100, v36
	v_fma_f32 v23, v8, v2, -v23
	v_mul_f32_e32 v8, v8, v65
	v_add_f32_e32 v54, v1, v3
	v_mul_f32_e32 v1, v72, v65
	s_add_u32 s26, s26, 32
	v_addc_co_u32_e32 v37, vcc, 0, v37, vcc
	v_fmac_f32_e32 v8, v9, v64
	v_fmac_f32_e32 v1, v73, v64
	s_addc_u32 s27, s27, 0
	s_sub_i32 s12, s26, 32
	v_add_co_u32_e32 v38, vcc, 0x100, v38
	v_add_f32_e32 v60, v10, v23
	v_add_f32_e32 v58, v6, v8
	v_add_f32_e32 v48, v4, v1
	s_cmp_ge_i32 s12, s51
	v_addc_co_u32_e32 v39, vcc, 0, v39, vcc
	s_barrier
	s_cbranch_scc1 .LBB86_55
.LBB86_7:                               ;   Parent Loop BB86_4 Depth=1
                                        ; =>  This Inner Loop Header: Depth=2
	v_mov_b32_e32 v1, s27
	v_add_co_u32_e32 v0, vcc, s26, v14
	v_addc_co_u32_e32 v1, vcc, 0, v1, vcc
	v_add_co_u32_e32 v2, vcc, v36, v18
	v_addc_co_u32_e32 v3, vcc, 0, v37, vcc
	v_cmp_eq_u64_e32 vcc, s[26:27], v[34:35]
	s_and_b64 s[30:31], s[42:43], vcc
	v_cmp_gt_i64_e32 vcc, v[0:1], v[32:33]
	s_or_b64 s[14:15], s[8:9], vcc
	v_cmp_le_i64_e64 s[12:13], s[38:39], v[0:1]
	s_or_b64 s[14:15], s[14:15], s[30:31]
	s_or_b64 s[14:15], s[12:13], s[14:15]
	s_xor_b64 s[14:15], s[14:15], -1
	s_and_saveexec_b64 s[18:19], s[14:15]
	s_xor_b64 s[14:15], exec, s[18:19]
	s_cbranch_execz .LBB86_9
; %bb.8:                                ;   in Loop: Header=BB86_7 Depth=2
	global_load_dwordx2 v[4:5], v[2:3], off
	s_waitcnt vmcnt(0)
	ds_write_b64 v19, v[4:5]
.LBB86_9:                               ;   in Loop: Header=BB86_7 Depth=2
	s_or_saveexec_b64 s[14:15], s[14:15]
	s_xor_b64 s[28:29], s[30:31], -1
	s_xor_b64 exec, exec, s[14:15]
	s_cbranch_execz .LBB86_15
; %bb.10:                               ;   in Loop: Header=BB86_7 Depth=2
	s_and_saveexec_b64 s[18:19], s[28:29]
	s_xor_b64 s[18:19], exec, s[18:19]
	s_cbranch_execz .LBB86_12
; %bb.11:                               ;   in Loop: Header=BB86_7 Depth=2
	v_mov_b32_e32 v4, v17
	v_mov_b32_e32 v5, v17
	ds_write_b64 v19, v[4:5]
.LBB86_12:                              ;   in Loop: Header=BB86_7 Depth=2
	s_andn2_saveexec_b64 s[18:19], s[18:19]
	s_cbranch_execz .LBB86_14
; %bb.13:                               ;   in Loop: Header=BB86_7 Depth=2
	ds_write_b64 v19, v[16:17]
.LBB86_14:                              ;   in Loop: Header=BB86_7 Depth=2
	s_or_b64 exec, exec, s[18:19]
.LBB86_15:                              ;   in Loop: Header=BB86_7 Depth=2
	s_or_b64 exec, exec, s[14:15]
	v_add_co_u32_e64 v4, s[14:15], 16, v0
	v_addc_co_u32_e64 v5, s[14:15], 0, v1, s[14:15]
	v_cmp_eq_u64_e64 s[14:15], s[26:27], v[44:45]
	v_cmp_gt_i64_e64 s[18:19], v[4:5], v[32:33]
	s_and_b64 s[36:37], s[42:43], s[14:15]
	s_or_b64 s[18:19], s[8:9], s[18:19]
	v_cmp_le_i64_e64 s[14:15], s[38:39], v[4:5]
	s_or_b64 s[18:19], s[18:19], s[36:37]
	s_or_b64 s[18:19], s[14:15], s[18:19]
	s_xor_b64 s[18:19], s[18:19], -1
	s_and_saveexec_b64 s[52:53], s[18:19]
	s_xor_b64 s[18:19], exec, s[52:53]
	s_cbranch_execz .LBB86_17
; %bb.16:                               ;   in Loop: Header=BB86_7 Depth=2
	global_load_dwordx2 v[2:3], v[2:3], off offset:128
	s_waitcnt vmcnt(0)
	ds_write_b64 v19, v[2:3] offset:128
.LBB86_17:                              ;   in Loop: Header=BB86_7 Depth=2
	s_andn2_saveexec_b64 s[18:19], s[18:19]
	s_cbranch_execz .LBB86_23
; %bb.18:                               ;   in Loop: Header=BB86_7 Depth=2
	s_xor_b64 s[36:37], s[36:37], -1
	s_and_saveexec_b64 s[52:53], s[36:37]
	s_xor_b64 s[36:37], exec, s[52:53]
	s_cbranch_execz .LBB86_20
; %bb.19:                               ;   in Loop: Header=BB86_7 Depth=2
	v_mov_b32_e32 v2, v17
	v_mov_b32_e32 v3, v17
	ds_write_b64 v19, v[2:3] offset:128
.LBB86_20:                              ;   in Loop: Header=BB86_7 Depth=2
	s_andn2_saveexec_b64 s[36:37], s[36:37]
	s_cbranch_execz .LBB86_22
; %bb.21:                               ;   in Loop: Header=BB86_7 Depth=2
	ds_write_b64 v19, v[16:17] offset:128
.LBB86_22:                              ;   in Loop: Header=BB86_7 Depth=2
	s_or_b64 exec, exec, s[36:37]
.LBB86_23:                              ;   in Loop: Header=BB86_7 Depth=2
	s_or_b64 exec, exec, s[18:19]
	v_cmp_eq_u64_e64 s[18:19], s[26:27], v[42:43]
	s_and_b64 s[36:37], s[42:43], s[18:19]
	v_cmp_gt_i64_e64 s[18:19], v[0:1], v[40:41]
	s_or_b64 s[18:19], s[10:11], s[18:19]
	s_or_b64 s[18:19], s[18:19], s[36:37]
	;; [unrolled: 1-line block ×3, first 2 shown]
	s_xor_b64 s[12:13], s[12:13], -1
	s_and_saveexec_b64 s[18:19], s[12:13]
	s_xor_b64 s[18:19], exec, s[18:19]
	s_cbranch_execz .LBB86_25
; %bb.24:                               ;   in Loop: Header=BB86_7 Depth=2
	v_add_co_u32_e64 v0, s[12:13], v38, v18
	v_addc_co_u32_e64 v1, s[12:13], 0, v39, s[12:13]
	global_load_dwordx2 v[0:1], v[0:1], off
	s_waitcnt vmcnt(0)
	ds_write_b64 v19, v[0:1] offset:4096
.LBB86_25:                              ;   in Loop: Header=BB86_7 Depth=2
	s_andn2_saveexec_b64 s[12:13], s[18:19]
	s_cbranch_execz .LBB86_31
; %bb.26:                               ;   in Loop: Header=BB86_7 Depth=2
	s_xor_b64 s[18:19], s[36:37], -1
	s_and_saveexec_b64 s[36:37], s[18:19]
	s_xor_b64 s[18:19], exec, s[36:37]
	s_cbranch_execz .LBB86_28
; %bb.27:                               ;   in Loop: Header=BB86_7 Depth=2
	v_mov_b32_e32 v0, v17
	v_mov_b32_e32 v1, v17
	ds_write_b64 v19, v[0:1] offset:4096
.LBB86_28:                              ;   in Loop: Header=BB86_7 Depth=2
	s_andn2_saveexec_b64 s[18:19], s[18:19]
	s_cbranch_execz .LBB86_30
; %bb.29:                               ;   in Loop: Header=BB86_7 Depth=2
	ds_write_b64 v19, v[16:17] offset:4096
.LBB86_30:                              ;   in Loop: Header=BB86_7 Depth=2
	s_or_b64 exec, exec, s[18:19]
.LBB86_31:                              ;   in Loop: Header=BB86_7 Depth=2
	s_or_b64 exec, exec, s[12:13]
	s_or_b64 s[12:13], s[10:11], vcc
	s_or_b64 s[12:13], s[12:13], s[30:31]
	s_or_b64 s[12:13], s[14:15], s[12:13]
	s_xor_b64 s[12:13], s[12:13], -1
	s_and_saveexec_b64 s[14:15], s[12:13]
	s_xor_b64 s[12:13], exec, s[14:15]
	s_cbranch_execz .LBB86_33
; %bb.32:                               ;   in Loop: Header=BB86_7 Depth=2
	v_add_co_u32_e32 v0, vcc, v38, v18
	v_addc_co_u32_e32 v1, vcc, 0, v39, vcc
	global_load_dwordx2 v[0:1], v[0:1], off offset:128
	s_waitcnt vmcnt(0)
	ds_write_b64 v19, v[0:1] offset:4224
.LBB86_33:                              ;   in Loop: Header=BB86_7 Depth=2
	s_andn2_saveexec_b64 s[12:13], s[12:13]
	s_cbranch_execz .LBB86_39
; %bb.34:                               ;   in Loop: Header=BB86_7 Depth=2
	s_and_saveexec_b64 s[14:15], s[28:29]
	s_xor_b64 s[14:15], exec, s[14:15]
	s_cbranch_execz .LBB86_36
; %bb.35:                               ;   in Loop: Header=BB86_7 Depth=2
	v_mov_b32_e32 v0, v17
	v_mov_b32_e32 v1, v17
	ds_write_b64 v19, v[0:1] offset:4224
.LBB86_36:                              ;   in Loop: Header=BB86_7 Depth=2
	s_andn2_saveexec_b64 s[14:15], s[14:15]
	s_cbranch_execz .LBB86_38
; %bb.37:                               ;   in Loop: Header=BB86_7 Depth=2
	ds_write_b64 v19, v[16:17] offset:4224
.LBB86_38:                              ;   in Loop: Header=BB86_7 Depth=2
	s_or_b64 exec, exec, s[14:15]
.LBB86_39:                              ;   in Loop: Header=BB86_7 Depth=2
	s_or_b64 exec, exec, s[12:13]
	v_mov_b32_e32 v1, s27
	v_add_co_u32_e32 v0, vcc, s26, v12
	v_addc_co_u32_e32 v1, vcc, 0, v1, vcc
	v_add_co_u32_e32 v2, vcc, v46, v24
	v_addc_co_u32_e32 v3, vcc, v47, v25, vcc
	v_cmp_le_i64_e32 vcc, s[38:39], v[0:1]
	s_or_b64 s[12:13], vcc, s[0:1]
	s_xor_b64 s[12:13], s[12:13], -1
	s_and_saveexec_b64 s[14:15], s[12:13]
	s_xor_b64 s[12:13], exec, s[14:15]
	s_cbranch_execz .LBB86_41
; %bb.40:                               ;   in Loop: Header=BB86_7 Depth=2
	global_load_dwordx2 v[4:5], v[2:3], off offset:-128
	s_waitcnt vmcnt(0)
	ds_write_b64 v51, v[4:5]
.LBB86_41:                              ;   in Loop: Header=BB86_7 Depth=2
	s_andn2_saveexec_b64 s[12:13], s[12:13]
	s_cbranch_execz .LBB86_43
; %bb.42:                               ;   in Loop: Header=BB86_7 Depth=2
	v_mov_b32_e32 v4, v17
	v_mov_b32_e32 v5, v17
	ds_write_b64 v51, v[4:5]
.LBB86_43:                              ;   in Loop: Header=BB86_7 Depth=2
	s_or_b64 exec, exec, s[12:13]
	s_or_b64 s[12:13], vcc, s[2:3]
	s_xor_b64 s[12:13], s[12:13], -1
	s_and_saveexec_b64 s[14:15], s[12:13]
	s_xor_b64 s[12:13], exec, s[14:15]
	s_cbranch_execz .LBB86_45
; %bb.44:                               ;   in Loop: Header=BB86_7 Depth=2
	global_load_dwordx2 v[2:3], v[2:3], off
	s_waitcnt vmcnt(0)
	ds_write_b64 v51, v[2:3] offset:128
.LBB86_45:                              ;   in Loop: Header=BB86_7 Depth=2
	s_andn2_saveexec_b64 s[12:13], s[12:13]
	s_cbranch_execz .LBB86_47
; %bb.46:                               ;   in Loop: Header=BB86_7 Depth=2
	v_mov_b32_e32 v2, v17
	v_mov_b32_e32 v3, v17
	ds_write_b64 v51, v[2:3] offset:128
.LBB86_47:                              ;   in Loop: Header=BB86_7 Depth=2
	s_or_b64 exec, exec, s[12:13]
	v_cmp_le_i64_e32 vcc, s[46:47], v[0:1]
	s_or_b64 s[12:13], vcc, s[0:1]
	s_xor_b64 s[12:13], s[12:13], -1
	s_and_saveexec_b64 s[14:15], s[12:13]
	s_xor_b64 s[14:15], exec, s[14:15]
	s_cbranch_execz .LBB86_49
; %bb.48:                               ;   in Loop: Header=BB86_7 Depth=2
	v_add_co_u32_e64 v0, s[12:13], v46, v30
	v_addc_co_u32_e64 v1, s[12:13], v47, v13, s[12:13]
	global_load_dwordx2 v[0:1], v[0:1], off offset:-128
	s_waitcnt vmcnt(0)
	ds_write_b64 v51, v[0:1] offset:4096
.LBB86_49:                              ;   in Loop: Header=BB86_7 Depth=2
	s_andn2_saveexec_b64 s[12:13], s[14:15]
	s_cbranch_execz .LBB86_51
; %bb.50:                               ;   in Loop: Header=BB86_7 Depth=2
	v_mov_b32_e32 v0, v17
	v_mov_b32_e32 v1, v17
	ds_write_b64 v51, v[0:1] offset:4096
.LBB86_51:                              ;   in Loop: Header=BB86_7 Depth=2
	s_or_b64 exec, exec, s[12:13]
	s_or_b64 s[12:13], vcc, s[2:3]
	s_xor_b64 s[12:13], s[12:13], -1
	s_and_saveexec_b64 s[14:15], s[12:13]
	s_xor_b64 s[12:13], exec, s[14:15]
	s_cbranch_execz .LBB86_53
; %bb.52:                               ;   in Loop: Header=BB86_7 Depth=2
	v_add_co_u32_e32 v0, vcc, v46, v30
	v_addc_co_u32_e32 v1, vcc, v47, v13, vcc
	global_load_dwordx2 v[0:1], v[0:1], off
	s_waitcnt vmcnt(0)
	ds_write_b64 v51, v[0:1] offset:4224
.LBB86_53:                              ;   in Loop: Header=BB86_7 Depth=2
	s_andn2_saveexec_b64 s[12:13], s[12:13]
	s_cbranch_execz .LBB86_6
; %bb.54:                               ;   in Loop: Header=BB86_7 Depth=2
	v_mov_b32_e32 v0, v17
	v_mov_b32_e32 v1, v17
	ds_write_b64 v51, v[0:1] offset:4224
	s_branch .LBB86_6
.LBB86_55:                              ;   in Loop: Header=BB86_4 Depth=1
	v_mul_lo_u32 v2, v33, s40
	v_mul_lo_u32 v3, v32, s41
	v_mad_u64_u32 v[0:1], s[8:9], v32, s40, 0
	v_add3_u32 v1, v1, v3, v2
	v_lshlrev_b64 v[0:1], 3, v[0:1]
	v_mov_b32_e32 v2, s50
	v_add_co_u32_e64 v0, s[8:9], s49, v0
	v_cmp_gt_i32_e32 vcc, s38, v32
	v_addc_co_u32_e64 v1, s[8:9], v2, v1, s[8:9]
	s_and_b64 s[8:9], s[4:5], vcc
	s_and_saveexec_b64 s[10:11], s[8:9]
	s_cbranch_execz .LBB86_57
; %bb.56:                               ;   in Loop: Header=BB86_4 Depth=1
	v_add_co_u32_e64 v2, s[8:9], v0, v26
	v_addc_co_u32_e64 v3, s[8:9], v1, v27, s[8:9]
	global_load_dwordx2 v[4:5], v[2:3], off
	v_pk_mul_f32 v[6:7], v[62:63], s[34:35] op_sel_hi:[0,1]
	v_pk_fma_f32 v[8:9], v[60:61], s[34:35], v[6:7] op_sel:[0,0,1] op_sel_hi:[1,1,0] neg_lo:[0,0,1] neg_hi:[0,0,1]
	v_pk_fma_f32 v[6:7], v[60:61], s[34:35], v[6:7] op_sel:[0,0,1] op_sel_hi:[0,1,0]
	v_mov_b32_e32 v9, v7
	s_waitcnt vmcnt(0)
	v_pk_add_f32 v[4:5], v[4:5], v[8:9]
	global_store_dwordx2 v[2:3], v[4:5], off
.LBB86_57:                              ;   in Loop: Header=BB86_4 Depth=1
	s_or_b64 exec, exec, s[10:11]
	s_and_b64 s[10:11], s[16:17], vcc
	s_and_saveexec_b64 s[8:9], s[10:11]
	s_cbranch_execz .LBB86_59
; %bb.58:                               ;   in Loop: Header=BB86_4 Depth=1
	v_lshlrev_b64 v[2:3], 3, v[20:21]
	v_add_co_u32_e32 v0, vcc, v0, v2
	v_addc_co_u32_e32 v1, vcc, v1, v3, vcc
	global_load_dwordx2 v[2:3], v[0:1], off
	v_pk_mul_f32 v[4:5], v[58:59], s[34:35] op_sel_hi:[0,1]
	v_pk_fma_f32 v[6:7], v[56:57], s[34:35], v[4:5] op_sel:[0,0,1] op_sel_hi:[1,1,0] neg_lo:[0,0,1] neg_hi:[0,0,1]
	v_pk_fma_f32 v[4:5], v[56:57], s[34:35], v[4:5] op_sel:[0,0,1] op_sel_hi:[0,1,0]
	v_mov_b32_e32 v7, v5
	s_waitcnt vmcnt(0)
	v_pk_add_f32 v[2:3], v[2:3], v[6:7]
	global_store_dwordx2 v[0:1], v[2:3], off
.LBB86_59:                              ;   in Loop: Header=BB86_4 Depth=1
	s_or_b64 exec, exec, s[8:9]
	v_add_u32_e32 v0, 16, v32
	v_ashrrev_i32_e32 v1, 31, v0
	v_cmp_gt_i32_e32 vcc, s38, v0
	v_mul_lo_u32 v2, v1, s40
	v_mul_lo_u32 v3, v0, s41
	v_mad_u64_u32 v[0:1], s[8:9], v0, s40, 0
	v_add3_u32 v1, v1, v3, v2
	v_lshlrev_b64 v[0:1], 3, v[0:1]
	v_mov_b32_e32 v2, s50
	v_add_co_u32_e64 v0, s[8:9], s49, v0
	v_addc_co_u32_e64 v1, s[8:9], v2, v1, s[8:9]
	s_and_b64 s[8:9], s[4:5], vcc
	s_and_saveexec_b64 s[10:11], s[8:9]
	s_cbranch_execz .LBB86_61
; %bb.60:                               ;   in Loop: Header=BB86_4 Depth=1
	v_add_co_u32_e64 v2, s[8:9], v0, v26
	v_addc_co_u32_e64 v3, s[8:9], v1, v27, s[8:9]
	global_load_dwordx2 v[4:5], v[2:3], off
	v_pk_mul_f32 v[6:7], v[54:55], s[34:35] op_sel_hi:[0,1]
	v_pk_fma_f32 v[8:9], v[52:53], s[34:35], v[6:7] op_sel:[0,0,1] op_sel_hi:[1,1,0] neg_lo:[0,0,1] neg_hi:[0,0,1]
	v_pk_fma_f32 v[6:7], v[52:53], s[34:35], v[6:7] op_sel:[0,0,1] op_sel_hi:[0,1,0]
	v_mov_b32_e32 v9, v7
	s_waitcnt vmcnt(0)
	v_pk_add_f32 v[4:5], v[4:5], v[8:9]
	global_store_dwordx2 v[2:3], v[4:5], off
.LBB86_61:                              ;   in Loop: Header=BB86_4 Depth=1
	s_or_b64 exec, exec, s[10:11]
	s_and_b64 s[10:11], s[16:17], vcc
	s_and_saveexec_b64 s[8:9], s[10:11]
	s_cbranch_execz .LBB86_3
; %bb.62:                               ;   in Loop: Header=BB86_4 Depth=1
	v_lshlrev_b64 v[2:3], 3, v[20:21]
	v_add_co_u32_e32 v0, vcc, v0, v2
	v_addc_co_u32_e32 v1, vcc, v1, v3, vcc
	global_load_dwordx2 v[2:3], v[0:1], off
	v_pk_mul_f32 v[4:5], v[48:49], s[34:35] op_sel_hi:[0,1]
	v_pk_fma_f32 v[6:7], v[50:51], s[34:35], v[4:5] op_sel:[0,0,1] op_sel_hi:[1,1,0] neg_lo:[0,0,1] neg_hi:[0,0,1]
	v_pk_fma_f32 v[4:5], v[50:51], s[34:35], v[4:5] op_sel:[0,0,1] op_sel_hi:[0,1,0]
	v_mov_b32_e32 v7, v5
	s_waitcnt vmcnt(0)
	v_pk_add_f32 v[2:3], v[2:3], v[6:7]
	global_store_dwordx2 v[0:1], v[2:3], off
	s_branch .LBB86_3
.LBB86_63:
	s_endpgm
	.section	.rodata,"a",@progbits
	.p2align	6, 0x0
	.amdhsa_kernel _ZL30rocblas_trmm_outofplace_kernelI19rocblas_complex_numIfELi32ELi2ELb0ELb1ELb0ELb0EPKS1_S2_S1_Ev17rocblas_diagonal_iiT6_lPT7_lllS7_lllPT8_llli
		.amdhsa_group_segment_fixed_size 16384
		.amdhsa_private_segment_fixed_size 0
		.amdhsa_kernarg_size 392
		.amdhsa_user_sgpr_count 6
		.amdhsa_user_sgpr_private_segment_buffer 1
		.amdhsa_user_sgpr_dispatch_ptr 0
		.amdhsa_user_sgpr_queue_ptr 0
		.amdhsa_user_sgpr_kernarg_segment_ptr 1
		.amdhsa_user_sgpr_dispatch_id 0
		.amdhsa_user_sgpr_flat_scratch_init 0
		.amdhsa_user_sgpr_kernarg_preload_length 0
		.amdhsa_user_sgpr_kernarg_preload_offset 0
		.amdhsa_user_sgpr_private_segment_size 0
		.amdhsa_uses_dynamic_stack 0
		.amdhsa_system_sgpr_private_segment_wavefront_offset 0
		.amdhsa_system_sgpr_workgroup_id_x 1
		.amdhsa_system_sgpr_workgroup_id_y 1
		.amdhsa_system_sgpr_workgroup_id_z 1
		.amdhsa_system_sgpr_workgroup_info 0
		.amdhsa_system_vgpr_workitem_id 1
		.amdhsa_next_free_vgpr 80
		.amdhsa_next_free_sgpr 54
		.amdhsa_accum_offset 80
		.amdhsa_reserve_vcc 1
		.amdhsa_reserve_flat_scratch 0
		.amdhsa_float_round_mode_32 0
		.amdhsa_float_round_mode_16_64 0
		.amdhsa_float_denorm_mode_32 3
		.amdhsa_float_denorm_mode_16_64 3
		.amdhsa_dx10_clamp 1
		.amdhsa_ieee_mode 1
		.amdhsa_fp16_overflow 0
		.amdhsa_tg_split 0
		.amdhsa_exception_fp_ieee_invalid_op 0
		.amdhsa_exception_fp_denorm_src 0
		.amdhsa_exception_fp_ieee_div_zero 0
		.amdhsa_exception_fp_ieee_overflow 0
		.amdhsa_exception_fp_ieee_underflow 0
		.amdhsa_exception_fp_ieee_inexact 0
		.amdhsa_exception_int_div_zero 0
	.end_amdhsa_kernel
	.section	.text._ZL30rocblas_trmm_outofplace_kernelI19rocblas_complex_numIfELi32ELi2ELb0ELb1ELb0ELb0EPKS1_S2_S1_Ev17rocblas_diagonal_iiT6_lPT7_lllS7_lllPT8_llli,"axG",@progbits,_ZL30rocblas_trmm_outofplace_kernelI19rocblas_complex_numIfELi32ELi2ELb0ELb1ELb0ELb0EPKS1_S2_S1_Ev17rocblas_diagonal_iiT6_lPT7_lllS7_lllPT8_llli,comdat
.Lfunc_end86:
	.size	_ZL30rocblas_trmm_outofplace_kernelI19rocblas_complex_numIfELi32ELi2ELb0ELb1ELb0ELb0EPKS1_S2_S1_Ev17rocblas_diagonal_iiT6_lPT7_lllS7_lllPT8_llli, .Lfunc_end86-_ZL30rocblas_trmm_outofplace_kernelI19rocblas_complex_numIfELi32ELi2ELb0ELb1ELb0ELb0EPKS1_S2_S1_Ev17rocblas_diagonal_iiT6_lPT7_lllS7_lllPT8_llli
                                        ; -- End function
	.section	.AMDGPU.csdata,"",@progbits
; Kernel info:
; codeLenInByte = 6596
; NumSgprs: 58
; NumVgprs: 80
; NumAgprs: 0
; TotalNumVgprs: 80
; ScratchSize: 0
; MemoryBound: 1
; FloatMode: 240
; IeeeMode: 1
; LDSByteSize: 16384 bytes/workgroup (compile time only)
; SGPRBlocks: 7
; VGPRBlocks: 9
; NumSGPRsForWavesPerEU: 58
; NumVGPRsForWavesPerEU: 80
; AccumOffset: 80
; Occupancy: 6
; WaveLimiterHint : 0
; COMPUTE_PGM_RSRC2:SCRATCH_EN: 0
; COMPUTE_PGM_RSRC2:USER_SGPR: 6
; COMPUTE_PGM_RSRC2:TRAP_HANDLER: 0
; COMPUTE_PGM_RSRC2:TGID_X_EN: 1
; COMPUTE_PGM_RSRC2:TGID_Y_EN: 1
; COMPUTE_PGM_RSRC2:TGID_Z_EN: 1
; COMPUTE_PGM_RSRC2:TIDIG_COMP_CNT: 1
; COMPUTE_PGM_RSRC3_GFX90A:ACCUM_OFFSET: 19
; COMPUTE_PGM_RSRC3_GFX90A:TG_SPLIT: 0
	.section	.text._ZL30rocblas_trmm_outofplace_kernelI19rocblas_complex_numIfELi32ELi2ELb0ELb1ELb0ELb0ES1_KS1_S1_Ev17rocblas_diagonal_iiT6_lPT7_lllS6_lllPT8_llli,"axG",@progbits,_ZL30rocblas_trmm_outofplace_kernelI19rocblas_complex_numIfELi32ELi2ELb0ELb1ELb0ELb0ES1_KS1_S1_Ev17rocblas_diagonal_iiT6_lPT7_lllS6_lllPT8_llli,comdat
	.globl	_ZL30rocblas_trmm_outofplace_kernelI19rocblas_complex_numIfELi32ELi2ELb0ELb1ELb0ELb0ES1_KS1_S1_Ev17rocblas_diagonal_iiT6_lPT7_lllS6_lllPT8_llli ; -- Begin function _ZL30rocblas_trmm_outofplace_kernelI19rocblas_complex_numIfELi32ELi2ELb0ELb1ELb0ELb0ES1_KS1_S1_Ev17rocblas_diagonal_iiT6_lPT7_lllS6_lllPT8_llli
	.p2align	8
	.type	_ZL30rocblas_trmm_outofplace_kernelI19rocblas_complex_numIfELi32ELi2ELb0ELb1ELb0ELb0ES1_KS1_S1_Ev17rocblas_diagonal_iiT6_lPT7_lllS6_lllPT8_llli,@function
_ZL30rocblas_trmm_outofplace_kernelI19rocblas_complex_numIfELi32ELi2ELb0ELb1ELb0ELb0ES1_KS1_S1_Ev17rocblas_diagonal_iiT6_lPT7_lllS6_lllPT8_llli: ; @_ZL30rocblas_trmm_outofplace_kernelI19rocblas_complex_numIfELi32ELi2ELb0ELb1ELb0ELb0ES1_KS1_S1_Ev17rocblas_diagonal_iiT6_lPT7_lllS6_lllPT8_llli
; %bb.0:
	s_load_dwordx4 s[24:27], s[4:5], 0x0
	s_load_dword s29, s[4:5], 0x10
	s_waitcnt lgkmcnt(0)
	s_or_b32 s0, s27, s29
	s_bitset0_b32 s0, 31
	s_cmp_eq_u32 s0, 0
	s_cbranch_scc1 .LBB87_63
; %bb.1:
	s_add_i32 s0, s26, -1
	s_ashr_i32 s1, s0, 31
	s_lshr_b32 s1, s1, 27
	s_add_i32 s0, s0, s1
	s_ashr_i32 s33, s0, 5
	s_cmp_gt_i32 s7, s33
	s_cbranch_scc1 .LBB87_63
; %bb.2:
	s_load_dwordx8 s[16:23], s[4:5], 0x60
	s_load_dwordx16 s[36:51], s[4:5], 0x20
	v_and_b32_e32 v14, 0x3ff, v0
	v_bfe_u32 v12, v0, 10, 10
	v_lshl_add_u32 v0, s6, 5, v14
	s_waitcnt lgkmcnt(0)
	s_mul_i32 s0, s8, s23
	s_mul_hi_u32 s1, s8, s22
	s_add_i32 s1, s1, s0
	s_mul_i32 s0, s8, s22
	s_lshl_b64 s[0:1], s[0:1], 3
	s_add_u32 s2, s16, s0
	s_addc_u32 s3, s17, s1
	s_lshl_b64 s[0:1], s[18:19], 3
	s_add_u32 s52, s2, s0
	s_addc_u32 s53, s3, s1
	s_cmpk_eq_i32 s24, 0x84
	s_cselect_b64 s[22:23], -1, 0
	s_ashr_i32 s0, s25, 31
	v_ashrrev_i32_e32 v1, 31, v0
	v_mov_b32_e32 v3, s0
	v_sub_co_u32_e32 v2, vcc, s25, v0
	v_subb_co_u32_e32 v3, vcc, v3, v1, vcc
	s_load_dword s6, s[4:5], 0x8c
	v_cmp_gt_i64_e64 s[0:1], 1, v[2:3]
	v_cmp_gt_i64_e64 s[2:3], 17, v[2:3]
	v_mad_u64_u32 v[2:3], s[10:11], s48, v12, 0
	v_sub_co_u32_e32 v55, vcc, 0, v14
	v_mov_b32_e32 v4, v3
	s_mov_b32 s28, s27
	s_ashr_i32 s27, s26, 31
	s_lshl_b64 s[30:31], s[48:49], 8
	v_subb_co_u32_e64 v57, s[10:11], 0, 0, vcc
	v_mad_u64_u32 v[4:5], s[10:11], s49, v12, v[4:5]
	s_add_u32 s34, s26, -16
	s_mul_i32 s9, s51, s8
	s_mul_hi_u32 s10, s50, s8
	s_addc_u32 s35, s27, -1
	s_add_i32 s11, s10, s9
	s_mul_i32 s10, s50, s8
	s_waitcnt lgkmcnt(0)
	s_lshl_b32 s54, s6, 5
	s_lshl_b64 s[10:11], s[10:11], 3
	s_lshl_b64 s[12:13], s[46:47], 3
	s_add_u32 s9, s10, s12
	s_addc_u32 s10, s11, s13
	s_add_u32 s9, s44, s9
	v_lshlrev_b64 v[26:27], 3, v[0:1]
	s_addc_u32 s10, s45, s10
	v_cmp_gt_i32_e64 s[4:5], s25, v0
	v_add_u32_e32 v20, 16, v0
	v_mov_b32_e32 v0, s10
	v_add_co_u32_e32 v1, vcc, s9, v26
	v_addc_co_u32_e32 v0, vcc, v0, v27, vcc
	s_movk_i32 s9, 0x80
	v_add_co_u32_e32 v28, vcc, s9, v1
	s_mul_i32 s9, s43, s8
	s_mul_hi_u32 s10, s42, s8
	s_add_i32 s9, s10, s9
	s_mul_i32 s8, s42, s8
	s_lshl_b64 s[8:9], s[8:9], 3
	s_lshl_b64 s[10:11], s[38:39], 3
	s_add_u32 s8, s8, s10
	v_addc_co_u32_e32 v29, vcc, 0, v0, vcc
	s_addc_u32 s9, s9, s11
	v_mov_b32_e32 v0, 0x80
	s_add_u32 s24, s36, s8
	v_lshl_add_u32 v1, v12, 3, v0
	v_cmp_gt_i32_e64 s[16:17], s25, v20
	s_addc_u32 s25, s37, s9
	v_mad_u64_u32 v[30:31], s[8:9], s48, v1, 0
	v_lshlrev_b32_e32 v18, 3, v14
	v_mov_b32_e32 v0, v31
	v_lshlrev_b32_e32 v15, 8, v12
	v_or_b32_e32 v49, 0x2000, v18
	v_mov_b32_e32 v3, v4
	v_mad_u64_u32 v[0:1], s[8:9], s49, v1, v[0:1]
	v_mov_b32_e32 v17, 0
	v_add_u32_e32 v19, v15, v18
	v_add_u32_e32 v51, v49, v15
	v_ashrrev_i32_e32 v21, 31, v20
	v_add_u32_e32 v53, 0x2080, v18
	v_lshl_add_u32 v22, s7, 5, v12
	v_lshlrev_b64 v[24:25], 3, v[2:3]
	s_lshl_b64 s[36:37], s[40:41], 3
	v_mov_b32_e32 v13, v0
	v_mov_b32_e32 v16, 1.0
	s_branch .LBB87_4
.LBB87_3:                               ;   in Loop: Header=BB87_4 Depth=1
	s_or_b64 exec, exec, s[8:9]
	s_add_i32 s7, s6, s7
	s_cmp_le_i32 s7, s33
	v_add_u32_e32 v22, s54, v22
	s_cbranch_scc0 .LBB87_63
.LBB87_4:                               ; =>This Loop Header: Depth=1
                                        ;     Child Loop BB87_7 Depth 2
	s_lshl_b32 s48, s7, 5
	v_add_u32_e32 v32, s48, v12
	v_ashrrev_i32_e32 v33, 31, v32
	s_cmp_lt_i32 s7, 0
	v_mov_b32_e32 v60, v17
	v_mov_b32_e32 v62, v17
	;; [unrolled: 1-line block ×8, first 2 shown]
	s_cbranch_scc1 .LBB87_55
; %bb.5:                                ;   in Loop: Header=BB87_4 Depth=1
	v_ashrrev_i32_e32 v23, 31, v22
	v_pk_mov_b32 v[0:1], s[24:25], s[24:25] op_sel:[0,1]
	v_add_co_u32_e32 v34, vcc, v55, v22
	v_mad_u64_u32 v[36:37], s[8:9], s36, v22, v[0:1]
	v_mul_lo_u32 v2, s37, v22
	v_mul_lo_u32 v3, s36, v23
	v_addc_co_u32_e32 v35, vcc, v57, v23, vcc
	v_add3_u32 v37, v2, v37, v3
	v_lshlrev_b64 v[2:3], 3, v[22:23]
	v_add_co_u32_e32 v2, vcc, 0x80, v2
	v_addc_co_u32_e32 v3, vcc, 0, v3, vcc
	v_add_co_u32_e32 v40, vcc, 16, v32
	v_addc_co_u32_e32 v41, vcc, 0, v33, vcc
	;; [unrolled: 2-line block ×3, first 2 shown]
	v_mul_lo_u32 v3, s40, v3
	v_mul_lo_u32 v4, s41, v2
	v_mad_u64_u32 v[38:39], s[8:9], s40, v2, v[0:1]
	v_add_co_u32_e32 v44, vcc, -16, v34
	v_add3_u32 v39, v4, v39, v3
	v_cmp_le_i32_e64 s[8:9], s26, v32
	v_cmp_le_i64_e64 s[10:11], s[26:27], v[40:41]
	v_addc_co_u32_e32 v45, vcc, -1, v35, vcc
	s_mov_b64 s[38:39], 0
	v_mov_b32_e32 v48, 0
	v_pk_mov_b32 v[46:47], v[28:29], v[28:29] op_sel:[0,1]
	v_mov_b32_e32 v50, 0
	v_mov_b32_e32 v54, 0
	;; [unrolled: 1-line block ×7, first 2 shown]
	s_branch .LBB87_7
.LBB87_6:                               ;   in Loop: Header=BB87_7 Depth=2
	s_or_b64 exec, exec, s[12:13]
	s_waitcnt lgkmcnt(0)
	s_barrier
	ds_read2_b64 v[64:67], v49 offset1:32
	ds_read_b128 v[68:71], v15
	ds_read_b128 v[8:11], v15 offset:16
	ds_read_b128 v[4:7], v15 offset:32
	ds_read_b128 v[0:3], v15 offset:48
	ds_read2_b64 v[72:75], v53 offset1:32
	s_waitcnt lgkmcnt(4)
	v_mul_f32_e32 v23, v69, v65
	v_mul_f32_e32 v31, v68, v65
	v_fma_f32 v23, v68, v64, -v23
	v_fmac_f32_e32 v31, v69, v64
	v_add_f32_e32 v23, v60, v23
	v_add_f32_e32 v31, v62, v31
	ds_read_b128 v[60:63], v15 offset:4096
	ds_read_b128 v[76:79], v15 offset:4112
	s_waitcnt lgkmcnt(2)
	v_mul_f32_e32 v59, v69, v73
	v_fma_f32 v59, v68, v72, -v59
	v_add_f32_e32 v56, v56, v59
	s_waitcnt lgkmcnt(1)
	v_mul_f32_e32 v59, v61, v65
	v_fma_f32 v59, v60, v64, -v59
	v_add_f32_e32 v52, v52, v59
	v_mul_f32_e32 v59, v61, v73
	v_mul_f32_e32 v65, v60, v65
	v_fma_f32 v59, v60, v72, -v59
	v_mul_f32_e32 v60, v60, v73
	v_fmac_f32_e32 v60, v61, v72
	v_add_f32_e32 v48, v48, v60
	v_mul_f32_e32 v60, v70, v67
	v_mul_f32_e32 v68, v68, v73
	v_add_f32_e32 v50, v50, v59
	v_mul_f32_e32 v59, v71, v67
	v_fmac_f32_e32 v60, v71, v66
	v_fmac_f32_e32 v68, v69, v72
	v_fma_f32 v59, v70, v66, -v59
	v_add_f32_e32 v31, v31, v60
	v_mul_f32_e32 v60, v70, v75
	v_add_f32_e32 v58, v58, v68
	v_add_f32_e32 v23, v23, v59
	v_mul_f32_e32 v59, v71, v75
	v_fmac_f32_e32 v60, v71, v74
	v_fma_f32 v59, v70, v74, -v59
	v_add_f32_e32 v68, v58, v60
	v_mul_f32_e32 v58, v63, v67
	v_fmac_f32_e32 v65, v61, v64
	v_add_f32_e32 v56, v56, v59
	v_fma_f32 v58, v62, v66, -v58
	v_mul_f32_e32 v59, v62, v67
	v_add_f32_e32 v54, v54, v65
	v_fmac_f32_e32 v59, v63, v66
	v_add_f32_e32 v52, v52, v58
	v_mul_f32_e32 v58, v63, v75
	v_add_f32_e32 v54, v54, v59
	v_fma_f32 v64, v62, v74, -v58
	ds_read2_b64 v[58:61], v49 offset0:64 offset1:96
	v_mul_f32_e32 v62, v62, v75
	v_fmac_f32_e32 v62, v63, v74
	v_add_f32_e32 v48, v48, v62
	v_add_f32_e32 v50, v50, v64
	s_waitcnt lgkmcnt(0)
	v_mul_f32_e32 v62, v9, v59
	v_fma_f32 v66, v8, v58, -v62
	ds_read2_b64 v[62:65], v53 offset0:64 offset1:96
	v_add_f32_e32 v23, v23, v66
	v_mul_f32_e32 v67, v8, v59
	v_fmac_f32_e32 v67, v9, v58
	v_add_f32_e32 v31, v31, v67
	s_waitcnt lgkmcnt(0)
	v_mul_f32_e32 v66, v9, v63
	v_fma_f32 v66, v8, v62, -v66
	v_mul_f32_e32 v8, v8, v63
	v_fmac_f32_e32 v8, v9, v62
	v_add_f32_e32 v9, v56, v66
	v_mul_f32_e32 v56, v77, v59
	v_fma_f32 v56, v76, v58, -v56
	v_add_f32_e32 v52, v52, v56
	v_mul_f32_e32 v56, v77, v63
	v_fma_f32 v56, v76, v62, -v56
	v_mul_f32_e32 v59, v76, v59
	v_add_f32_e32 v50, v50, v56
	v_mul_f32_e32 v56, v11, v61
	v_fmac_f32_e32 v59, v77, v58
	v_mul_f32_e32 v58, v76, v63
	v_fma_f32 v56, v10, v60, -v56
	v_fmac_f32_e32 v58, v77, v62
	v_add_f32_e32 v23, v23, v56
	v_mul_f32_e32 v56, v11, v65
	v_add_f32_e32 v48, v48, v58
	v_mul_f32_e32 v58, v10, v61
	v_fma_f32 v56, v10, v64, -v56
	v_mul_f32_e32 v10, v10, v65
	v_add_f32_e32 v8, v68, v8
	v_fmac_f32_e32 v10, v11, v64
	v_add_f32_e32 v66, v8, v10
	v_mul_f32_e32 v8, v79, v61
	v_add_f32_e32 v56, v9, v56
	v_fma_f32 v8, v78, v60, -v8
	v_mul_f32_e32 v9, v78, v61
	v_add_f32_e32 v54, v54, v59
	v_fmac_f32_e32 v58, v11, v60
	v_fmac_f32_e32 v9, v79, v60
	v_add_f32_e32 v52, v52, v8
	v_mul_f32_e32 v8, v79, v65
	v_add_f32_e32 v31, v31, v58
	v_add_f32_e32 v54, v54, v9
	v_fma_f32 v58, v78, v64, -v8
	ds_read2_b64 v[8:11], v49 offset0:128 offset1:160
	v_mul_f32_e32 v59, v78, v65
	v_fmac_f32_e32 v59, v79, v64
	v_add_f32_e32 v50, v50, v58
	v_add_f32_e32 v48, v48, v59
	s_waitcnt lgkmcnt(0)
	v_mul_f32_e32 v58, v5, v9
	v_fma_f32 v62, v4, v8, -v58
	ds_read2_b64 v[58:61], v53 offset0:128 offset1:160
	v_mul_f32_e32 v63, v4, v9
	v_fmac_f32_e32 v63, v5, v8
	v_add_f32_e32 v23, v23, v62
	v_add_f32_e32 v31, v31, v63
	s_waitcnt lgkmcnt(0)
	v_mul_f32_e32 v62, v5, v59
	v_fma_f32 v67, v4, v58, -v62
	ds_read_b128 v[62:65], v15 offset:4128
	v_mul_f32_e32 v4, v4, v59
	v_fmac_f32_e32 v4, v5, v58
	v_add_f32_e32 v5, v56, v67
	v_add_f32_e32 v4, v66, v4
	ds_read_b128 v[66:69], v15 offset:4144
	s_waitcnt lgkmcnt(1)
	v_mul_f32_e32 v56, v63, v9
	v_fma_f32 v56, v62, v8, -v56
	v_mul_f32_e32 v9, v62, v9
	v_fmac_f32_e32 v9, v63, v8
	v_add_f32_e32 v8, v52, v56
	v_mul_f32_e32 v52, v63, v59
	v_fma_f32 v52, v62, v58, -v52
	v_add_f32_e32 v50, v50, v52
	v_mul_f32_e32 v52, v7, v11
	v_add_f32_e32 v9, v54, v9
	v_mul_f32_e32 v54, v62, v59
	v_fma_f32 v52, v6, v10, -v52
	v_fmac_f32_e32 v54, v63, v58
	v_add_f32_e32 v23, v23, v52
	v_mul_f32_e32 v52, v7, v61
	v_add_f32_e32 v48, v48, v54
	v_mul_f32_e32 v54, v6, v11
	v_fma_f32 v52, v6, v60, -v52
	v_mul_f32_e32 v6, v6, v61
	v_fmac_f32_e32 v54, v7, v10
	v_fmac_f32_e32 v6, v7, v60
	v_add_f32_e32 v31, v31, v54
	v_add_f32_e32 v54, v4, v6
	v_mul_f32_e32 v4, v65, v11
	v_add_f32_e32 v52, v5, v52
	v_fma_f32 v4, v64, v10, -v4
	v_mul_f32_e32 v5, v64, v11
	v_fmac_f32_e32 v5, v65, v10
	v_add_f32_e32 v56, v8, v4
	v_mul_f32_e32 v4, v65, v61
	v_add_f32_e32 v58, v9, v5
	v_fma_f32 v8, v64, v60, -v4
	ds_read2_b64 v[4:7], v49 offset0:192 offset1:224
	v_mul_f32_e32 v9, v64, v61
	v_fmac_f32_e32 v9, v65, v60
	v_add_f32_e32 v50, v50, v8
	v_add_f32_e32 v48, v48, v9
	s_waitcnt lgkmcnt(0)
	v_mul_f32_e32 v8, v1, v5
	v_fma_f32 v59, v0, v4, -v8
	ds_read2_b64 v[8:11], v53 offset0:192 offset1:224
	v_add_f32_e32 v23, v23, v59
	v_mul_f32_e32 v60, v0, v5
	v_fmac_f32_e32 v60, v1, v4
	v_add_f32_e32 v31, v31, v60
	s_waitcnt lgkmcnt(0)
	v_mul_f32_e32 v59, v1, v9
	v_fma_f32 v59, v0, v8, -v59
	v_mul_f32_e32 v0, v0, v9
	v_fmac_f32_e32 v0, v1, v8
	v_add_f32_e32 v1, v52, v59
	v_mul_f32_e32 v52, v67, v5
	v_fma_f32 v52, v66, v4, -v52
	v_mul_f32_e32 v5, v66, v5
	v_fmac_f32_e32 v5, v67, v4
	v_add_f32_e32 v4, v56, v52
	v_mul_f32_e32 v52, v67, v9
	v_mul_f32_e32 v9, v66, v9
	v_fma_f32 v52, v66, v8, -v52
	v_fmac_f32_e32 v9, v67, v8
	v_mul_f32_e32 v8, v3, v7
	v_fma_f32 v8, v2, v6, -v8
	v_add_f32_e32 v23, v23, v8
	v_mul_f32_e32 v8, v3, v11
	v_add_f32_e32 v48, v48, v9
	v_mul_f32_e32 v9, v2, v7
	v_fma_f32 v8, v2, v10, -v8
	v_mul_f32_e32 v2, v2, v11
	v_add_f32_e32 v0, v54, v0
	v_fmac_f32_e32 v2, v3, v10
	v_add_f32_e32 v54, v0, v2
	v_mul_f32_e32 v0, v69, v7
	v_add_f32_e32 v50, v50, v52
	v_add_f32_e32 v52, v1, v8
	v_fma_f32 v0, v68, v6, -v0
	v_mul_f32_e32 v1, v68, v7
	v_add_f32_e32 v5, v58, v5
	v_fmac_f32_e32 v9, v3, v6
	v_fmac_f32_e32 v1, v69, v6
	v_add_f32_e32 v56, v4, v0
	v_mul_f32_e32 v0, v69, v11
	v_add_u32_e32 v4, 0x800, v49
	v_add_f32_e32 v31, v31, v9
	v_add_f32_e32 v74, v5, v1
	v_fma_f32 v5, v68, v10, -v0
	ds_read2_b64 v[0:3], v4 offset1:32
	ds_read_b128 v[6:9], v15 offset:64
	v_mul_f32_e32 v11, v68, v11
	v_fmac_f32_e32 v11, v69, v10
	v_add_f32_e32 v10, v50, v5
	v_add_f32_e32 v11, v48, v11
	s_waitcnt lgkmcnt(0)
	v_mul_f32_e32 v5, v7, v1
	v_fma_f32 v48, v6, v0, -v5
	v_add_u32_e32 v5, 0x800, v53
	ds_read2_b64 v[62:65], v5 offset1:32
	ds_read_b128 v[58:61], v15 offset:80
	ds_read_b128 v[66:69], v15 offset:4160
	v_add_f32_e32 v23, v23, v48
	v_mul_f32_e32 v50, v6, v1
	s_waitcnt lgkmcnt(2)
	v_mul_f32_e32 v48, v7, v63
	v_fma_f32 v48, v6, v62, -v48
	v_mul_f32_e32 v6, v6, v63
	v_fmac_f32_e32 v50, v7, v0
	v_fmac_f32_e32 v6, v7, v62
	v_add_f32_e32 v7, v52, v48
	s_waitcnt lgkmcnt(0)
	v_mul_f32_e32 v48, v67, v1
	v_fma_f32 v48, v66, v0, -v48
	v_mul_f32_e32 v1, v66, v1
	v_fmac_f32_e32 v1, v67, v0
	v_add_f32_e32 v0, v56, v48
	v_mul_f32_e32 v48, v67, v63
	v_fma_f32 v48, v66, v62, -v48
	v_add_f32_e32 v10, v10, v48
	v_mul_f32_e32 v48, v9, v3
	v_add_f32_e32 v31, v31, v50
	v_mul_f32_e32 v50, v66, v63
	v_fma_f32 v48, v8, v2, -v48
	v_fmac_f32_e32 v50, v67, v62
	v_add_f32_e32 v23, v23, v48
	v_mul_f32_e32 v48, v9, v65
	v_add_f32_e32 v11, v11, v50
	v_mul_f32_e32 v50, v8, v3
	v_fma_f32 v48, v8, v64, -v48
	v_mul_f32_e32 v8, v8, v65
	v_add_f32_e32 v6, v54, v6
	v_fmac_f32_e32 v50, v9, v2
	v_fmac_f32_e32 v8, v9, v64
	v_add_f32_e32 v31, v31, v50
	v_add_f32_e32 v50, v6, v8
	v_mul_f32_e32 v6, v69, v3
	v_fma_f32 v6, v68, v2, -v6
	v_mul_f32_e32 v3, v68, v3
	v_add_f32_e32 v1, v74, v1
	v_fmac_f32_e32 v3, v69, v2
	v_add_f32_e32 v52, v0, v6
	v_mul_f32_e32 v0, v69, v65
	v_add_f32_e32 v54, v1, v3
	v_fma_f32 v6, v68, v64, -v0
	ds_read2_b64 v[0:3], v4 offset0:64 offset1:96
	v_add_f32_e32 v48, v7, v48
	v_mul_f32_e32 v7, v68, v65
	v_fmac_f32_e32 v7, v69, v64
	v_add_f32_e32 v10, v10, v6
	s_waitcnt lgkmcnt(0)
	v_mul_f32_e32 v6, v59, v1
	v_add_f32_e32 v11, v11, v7
	v_fma_f32 v56, v58, v0, -v6
	ds_read2_b64 v[6:9], v5 offset0:64 offset1:96
	ds_read_b128 v[70:73], v15 offset:4176
	v_add_f32_e32 v23, v23, v56
	v_mul_f32_e32 v62, v58, v1
	v_fmac_f32_e32 v62, v59, v0
	s_waitcnt lgkmcnt(1)
	v_mul_f32_e32 v56, v59, v7
	v_fma_f32 v56, v58, v6, -v56
	v_add_f32_e32 v48, v48, v56
	s_waitcnt lgkmcnt(0)
	v_mul_f32_e32 v56, v71, v1
	v_fma_f32 v56, v70, v0, -v56
	v_mul_f32_e32 v1, v70, v1
	v_fmac_f32_e32 v1, v71, v0
	v_add_f32_e32 v0, v52, v56
	v_mul_f32_e32 v52, v71, v7
	v_mul_f32_e32 v58, v58, v7
	v_fma_f32 v52, v70, v6, -v52
	v_mul_f32_e32 v7, v70, v7
	v_fmac_f32_e32 v58, v59, v6
	v_fmac_f32_e32 v7, v71, v6
	v_add_f32_e32 v6, v10, v52
	v_mul_f32_e32 v10, v61, v3
	v_fma_f32 v10, v60, v2, -v10
	v_add_f32_e32 v10, v23, v10
	v_mul_f32_e32 v23, v61, v9
	v_add_f32_e32 v7, v11, v7
	v_mul_f32_e32 v11, v60, v3
	v_fma_f32 v23, v60, v8, -v23
	v_add_f32_e32 v31, v31, v62
	v_fmac_f32_e32 v11, v61, v2
	v_add_f32_e32 v23, v48, v23
	v_mul_f32_e32 v48, v73, v3
	v_add_f32_e32 v11, v31, v11
	v_mul_f32_e32 v31, v60, v9
	v_fma_f32 v48, v72, v2, -v48
	v_mul_f32_e32 v3, v72, v3
	v_add_f32_e32 v50, v50, v58
	v_add_f32_e32 v1, v54, v1
	v_fmac_f32_e32 v31, v61, v8
	v_fmac_f32_e32 v3, v73, v2
	v_add_f32_e32 v48, v0, v48
	v_mul_f32_e32 v0, v73, v9
	v_add_f32_e32 v31, v50, v31
	v_add_f32_e32 v50, v1, v3
	v_fma_f32 v52, v72, v8, -v0
	ds_read2_b64 v[0:3], v4 offset0:128 offset1:160
	ds_read_b128 v[58:61], v15 offset:96
	v_mul_f32_e32 v9, v72, v9
	ds_read2_b64 v[62:65], v5 offset0:128 offset1:160
	v_fmac_f32_e32 v9, v73, v8
	v_add_f32_e32 v52, v6, v52
	s_waitcnt lgkmcnt(1)
	v_mul_f32_e32 v66, v58, v1
	v_fmac_f32_e32 v66, v59, v0
	v_add_f32_e32 v54, v7, v9
	ds_read_b128 v[6:9], v15 offset:112
	v_add_f32_e32 v11, v11, v66
	ds_read_b128 v[66:69], v15 offset:4192
	v_mul_f32_e32 v56, v59, v1
	v_fma_f32 v56, v58, v0, -v56
	v_add_f32_e32 v10, v10, v56
	s_waitcnt lgkmcnt(2)
	v_mul_f32_e32 v56, v59, v63
	v_fma_f32 v56, v58, v62, -v56
	v_add_f32_e32 v23, v23, v56
	s_waitcnt lgkmcnt(0)
	v_mul_f32_e32 v56, v67, v1
	v_fma_f32 v56, v66, v0, -v56
	v_mul_f32_e32 v1, v66, v1
	v_fmac_f32_e32 v1, v67, v0
	v_add_f32_e32 v0, v48, v56
	v_mul_f32_e32 v48, v67, v63
	v_fma_f32 v48, v66, v62, -v48
	v_add_f32_e32 v48, v52, v48
	v_mul_f32_e32 v52, v61, v3
	v_add_f32_e32 v1, v50, v1
	v_mul_f32_e32 v50, v66, v63
	v_fma_f32 v52, v60, v2, -v52
	v_fmac_f32_e32 v50, v67, v62
	v_add_f32_e32 v10, v10, v52
	v_mul_f32_e32 v52, v61, v65
	v_add_f32_e32 v50, v54, v50
	v_mul_f32_e32 v54, v60, v3
	v_fma_f32 v52, v60, v64, -v52
	v_mul_f32_e32 v58, v58, v63
	v_fmac_f32_e32 v54, v61, v2
	v_add_f32_e32 v23, v23, v52
	v_mul_f32_e32 v52, v69, v3
	v_fmac_f32_e32 v58, v59, v62
	v_add_f32_e32 v11, v11, v54
	v_mul_f32_e32 v54, v60, v65
	v_fma_f32 v52, v68, v2, -v52
	v_mul_f32_e32 v3, v68, v3
	v_add_f32_e32 v31, v31, v58
	v_fmac_f32_e32 v54, v61, v64
	v_fmac_f32_e32 v3, v69, v2
	v_add_f32_e32 v52, v0, v52
	v_mul_f32_e32 v0, v69, v65
	v_add_f32_e32 v31, v31, v54
	v_add_f32_e32 v54, v1, v3
	v_fma_f32 v56, v68, v64, -v0
	ds_read2_b64 v[0:3], v4 offset0:192 offset1:224
	ds_read2_b64 v[58:61], v5 offset0:192 offset1:224
	ds_read_b128 v[70:73], v15 offset:4208
	v_mul_f32_e32 v4, v68, v65
	v_fmac_f32_e32 v4, v69, v64
	s_waitcnt lgkmcnt(2)
	v_mul_f32_e32 v5, v6, v1
	v_fmac_f32_e32 v5, v7, v0
	v_add_f32_e32 v4, v50, v4
	v_mul_f32_e32 v50, v7, v1
	v_add_f32_e32 v5, v11, v5
	s_waitcnt lgkmcnt(1)
	v_mul_f32_e32 v11, v7, v59
	v_fma_f32 v50, v6, v0, -v50
	v_fma_f32 v11, v6, v58, -v11
	v_mul_f32_e32 v6, v6, v59
	v_fmac_f32_e32 v6, v7, v58
	v_add_f32_e32 v7, v23, v11
	s_waitcnt lgkmcnt(0)
	v_mul_f32_e32 v23, v70, v59
	v_fmac_f32_e32 v23, v71, v58
	v_mul_f32_e32 v11, v71, v1
	v_add_f32_e32 v23, v4, v23
	v_mul_f32_e32 v4, v9, v3
	v_add_f32_e32 v10, v10, v50
	v_fma_f32 v11, v70, v0, -v11
	v_mul_f32_e32 v1, v70, v1
	v_fma_f32 v4, v8, v2, -v4
	v_fmac_f32_e32 v1, v71, v0
	v_add_f32_e32 v0, v52, v11
	v_mul_f32_e32 v11, v71, v59
	v_add_f32_e32 v10, v10, v4
	v_mul_f32_e32 v4, v9, v61
	v_add_f32_e32 v48, v48, v56
	v_add_f32_e32 v6, v31, v6
	v_fma_f32 v11, v70, v58, -v11
	v_mul_f32_e32 v31, v8, v3
	v_fma_f32 v4, v8, v60, -v4
	v_add_f32_e32 v11, v48, v11
	v_fmac_f32_e32 v31, v9, v2
	v_add_f32_e32 v48, v7, v4
	v_mul_f32_e32 v4, v73, v3
	v_add_f32_e32 v31, v5, v31
	v_mul_f32_e32 v5, v8, v61
	v_fma_f32 v4, v72, v2, -v4
	v_mul_f32_e32 v3, v72, v3
	v_add_f32_e32 v1, v54, v1
	v_fmac_f32_e32 v5, v9, v60
	v_fmac_f32_e32 v3, v73, v2
	v_add_f32_e32 v52, v0, v4
	v_mul_f32_e32 v0, v73, v61
	v_add_u32_e32 v4, 0x1000, v49
	v_add_f32_e32 v50, v6, v5
	v_add_f32_e32 v54, v1, v3
	v_fma_f32 v5, v72, v60, -v0
	ds_read2_b64 v[0:3], v4 offset1:32
	ds_read_b128 v[6:9], v15 offset:128
	v_mul_f32_e32 v56, v72, v61
	v_fmac_f32_e32 v56, v73, v60
	v_add_f32_e32 v11, v11, v5
	v_add_f32_e32 v23, v23, v56
	s_waitcnt lgkmcnt(0)
	v_mul_f32_e32 v5, v7, v1
	v_fma_f32 v56, v6, v0, -v5
	v_add_u32_e32 v5, 0x1000, v53
	ds_read2_b64 v[62:65], v5 offset1:32
	v_mul_f32_e32 v66, v6, v1
	v_fmac_f32_e32 v66, v7, v0
	ds_read_b128 v[58:61], v15 offset:144
	v_add_f32_e32 v31, v31, v66
	ds_read_b128 v[66:69], v15 offset:4224
	v_add_f32_e32 v10, v10, v56
	s_waitcnt lgkmcnt(2)
	v_mul_f32_e32 v56, v7, v63
	v_fma_f32 v56, v6, v62, -v56
	v_mul_f32_e32 v6, v6, v63
	v_fmac_f32_e32 v6, v7, v62
	v_add_f32_e32 v7, v48, v56
	s_waitcnt lgkmcnt(0)
	v_mul_f32_e32 v48, v67, v1
	v_fma_f32 v48, v66, v0, -v48
	v_mul_f32_e32 v1, v66, v1
	v_fmac_f32_e32 v1, v67, v0
	v_add_f32_e32 v0, v52, v48
	v_mul_f32_e32 v48, v67, v63
	v_fma_f32 v48, v66, v62, -v48
	v_add_f32_e32 v11, v11, v48
	v_mul_f32_e32 v48, v9, v3
	v_add_f32_e32 v6, v50, v6
	v_mul_f32_e32 v50, v66, v63
	v_fma_f32 v48, v8, v2, -v48
	v_fmac_f32_e32 v50, v67, v62
	v_add_f32_e32 v10, v10, v48
	v_mul_f32_e32 v48, v9, v65
	v_add_f32_e32 v23, v23, v50
	v_mul_f32_e32 v50, v8, v3
	v_fma_f32 v48, v8, v64, -v48
	v_mul_f32_e32 v8, v8, v65
	v_fmac_f32_e32 v50, v9, v2
	v_fmac_f32_e32 v8, v9, v64
	v_add_f32_e32 v31, v31, v50
	v_add_f32_e32 v50, v6, v8
	v_mul_f32_e32 v6, v69, v3
	v_fma_f32 v6, v68, v2, -v6
	v_mul_f32_e32 v3, v68, v3
	v_add_f32_e32 v1, v54, v1
	v_fmac_f32_e32 v3, v69, v2
	v_add_f32_e32 v52, v0, v6
	v_mul_f32_e32 v0, v69, v65
	v_add_f32_e32 v54, v1, v3
	v_fma_f32 v6, v68, v64, -v0
	ds_read2_b64 v[0:3], v4 offset0:64 offset1:96
	v_add_f32_e32 v48, v7, v48
	v_mul_f32_e32 v7, v68, v65
	v_fmac_f32_e32 v7, v69, v64
	v_add_f32_e32 v11, v11, v6
	s_waitcnt lgkmcnt(0)
	v_mul_f32_e32 v6, v59, v1
	v_add_f32_e32 v23, v23, v7
	v_fma_f32 v56, v58, v0, -v6
	ds_read2_b64 v[6:9], v5 offset0:64 offset1:96
	ds_read_b128 v[70:73], v15 offset:4240
	v_add_f32_e32 v10, v10, v56
	v_mul_f32_e32 v62, v58, v1
	v_fmac_f32_e32 v62, v59, v0
	s_waitcnt lgkmcnt(1)
	v_mul_f32_e32 v56, v59, v7
	v_fma_f32 v56, v58, v6, -v56
	v_add_f32_e32 v48, v48, v56
	s_waitcnt lgkmcnt(0)
	v_mul_f32_e32 v56, v71, v1
	v_fma_f32 v56, v70, v0, -v56
	v_mul_f32_e32 v1, v70, v1
	v_mul_f32_e32 v58, v58, v7
	v_fmac_f32_e32 v1, v71, v0
	v_add_f32_e32 v0, v52, v56
	v_mul_f32_e32 v52, v71, v7
	v_mul_f32_e32 v7, v70, v7
	v_fma_f32 v52, v70, v6, -v52
	v_fmac_f32_e32 v7, v71, v6
	v_fmac_f32_e32 v58, v59, v6
	v_add_f32_e32 v6, v11, v52
	v_add_f32_e32 v7, v23, v7
	v_mul_f32_e32 v11, v61, v3
	v_mul_f32_e32 v23, v60, v3
	v_add_f32_e32 v31, v31, v62
	v_fma_f32 v11, v60, v2, -v11
	v_fmac_f32_e32 v23, v61, v2
	v_add_f32_e32 v10, v10, v11
	v_add_f32_e32 v11, v31, v23
	v_mul_f32_e32 v23, v61, v9
	v_fma_f32 v23, v60, v8, -v23
	v_add_f32_e32 v23, v48, v23
	v_mul_f32_e32 v48, v73, v3
	v_mul_f32_e32 v31, v60, v9
	v_fma_f32 v48, v72, v2, -v48
	v_mul_f32_e32 v3, v72, v3
	v_add_f32_e32 v50, v50, v58
	v_add_f32_e32 v1, v54, v1
	v_fmac_f32_e32 v31, v61, v8
	v_fmac_f32_e32 v3, v73, v2
	v_add_f32_e32 v48, v0, v48
	v_mul_f32_e32 v0, v73, v9
	v_add_f32_e32 v31, v50, v31
	v_add_f32_e32 v50, v1, v3
	v_fma_f32 v52, v72, v8, -v0
	ds_read2_b64 v[0:3], v4 offset0:128 offset1:160
	ds_read_b128 v[58:61], v15 offset:160
	v_mul_f32_e32 v9, v72, v9
	ds_read2_b64 v[62:65], v5 offset0:128 offset1:160
	v_fmac_f32_e32 v9, v73, v8
	v_add_f32_e32 v52, v6, v52
	s_waitcnt lgkmcnt(1)
	v_mul_f32_e32 v66, v58, v1
	v_fmac_f32_e32 v66, v59, v0
	v_add_f32_e32 v54, v7, v9
	ds_read_b128 v[6:9], v15 offset:176
	v_add_f32_e32 v11, v11, v66
	ds_read_b128 v[66:69], v15 offset:4256
	v_mul_f32_e32 v56, v59, v1
	v_fma_f32 v56, v58, v0, -v56
	v_add_f32_e32 v10, v10, v56
	s_waitcnt lgkmcnt(2)
	v_mul_f32_e32 v56, v59, v63
	v_fma_f32 v56, v58, v62, -v56
	v_add_f32_e32 v23, v23, v56
	s_waitcnt lgkmcnt(0)
	v_mul_f32_e32 v56, v67, v1
	v_fma_f32 v56, v66, v0, -v56
	v_mul_f32_e32 v1, v66, v1
	v_fmac_f32_e32 v1, v67, v0
	v_add_f32_e32 v0, v48, v56
	v_mul_f32_e32 v48, v67, v63
	v_fma_f32 v48, v66, v62, -v48
	v_add_f32_e32 v48, v52, v48
	v_mul_f32_e32 v52, v61, v3
	v_add_f32_e32 v1, v50, v1
	v_mul_f32_e32 v50, v66, v63
	v_fma_f32 v52, v60, v2, -v52
	v_fmac_f32_e32 v50, v67, v62
	v_add_f32_e32 v10, v10, v52
	v_mul_f32_e32 v52, v61, v65
	v_add_f32_e32 v50, v54, v50
	v_mul_f32_e32 v54, v60, v3
	v_fma_f32 v52, v60, v64, -v52
	v_mul_f32_e32 v58, v58, v63
	v_fmac_f32_e32 v54, v61, v2
	v_add_f32_e32 v23, v23, v52
	v_mul_f32_e32 v52, v69, v3
	v_fmac_f32_e32 v58, v59, v62
	v_add_f32_e32 v11, v11, v54
	v_mul_f32_e32 v54, v60, v65
	v_fma_f32 v52, v68, v2, -v52
	v_mul_f32_e32 v3, v68, v3
	v_add_f32_e32 v31, v31, v58
	v_fmac_f32_e32 v54, v61, v64
	v_fmac_f32_e32 v3, v69, v2
	v_add_f32_e32 v52, v0, v52
	v_mul_f32_e32 v0, v69, v65
	v_add_f32_e32 v31, v31, v54
	v_add_f32_e32 v54, v1, v3
	v_fma_f32 v56, v68, v64, -v0
	ds_read2_b64 v[0:3], v4 offset0:192 offset1:224
	ds_read2_b64 v[58:61], v5 offset0:192 offset1:224
	ds_read_b128 v[70:73], v15 offset:4272
	v_mul_f32_e32 v4, v68, v65
	v_fmac_f32_e32 v4, v69, v64
	s_waitcnt lgkmcnt(2)
	v_mul_f32_e32 v5, v6, v1
	v_fmac_f32_e32 v5, v7, v0
	v_add_f32_e32 v4, v50, v4
	v_mul_f32_e32 v50, v7, v1
	v_add_f32_e32 v5, v11, v5
	s_waitcnt lgkmcnt(1)
	v_mul_f32_e32 v11, v7, v59
	v_fma_f32 v50, v6, v0, -v50
	v_fma_f32 v11, v6, v58, -v11
	v_mul_f32_e32 v6, v6, v59
	v_fmac_f32_e32 v6, v7, v58
	v_add_f32_e32 v7, v23, v11
	s_waitcnt lgkmcnt(0)
	v_mul_f32_e32 v23, v70, v59
	v_fmac_f32_e32 v23, v71, v58
	v_mul_f32_e32 v11, v71, v1
	v_add_f32_e32 v23, v4, v23
	v_mul_f32_e32 v4, v9, v3
	v_add_f32_e32 v10, v10, v50
	v_fma_f32 v11, v70, v0, -v11
	v_mul_f32_e32 v1, v70, v1
	v_fma_f32 v4, v8, v2, -v4
	v_fmac_f32_e32 v1, v71, v0
	v_add_f32_e32 v0, v52, v11
	v_mul_f32_e32 v11, v71, v59
	v_add_f32_e32 v10, v10, v4
	v_mul_f32_e32 v4, v9, v61
	v_add_f32_e32 v48, v48, v56
	v_add_f32_e32 v6, v31, v6
	v_fma_f32 v11, v70, v58, -v11
	v_mul_f32_e32 v31, v8, v3
	v_fma_f32 v4, v8, v60, -v4
	v_add_f32_e32 v11, v48, v11
	v_fmac_f32_e32 v31, v9, v2
	v_add_f32_e32 v48, v7, v4
	v_mul_f32_e32 v4, v73, v3
	v_add_f32_e32 v31, v5, v31
	v_mul_f32_e32 v5, v8, v61
	v_fma_f32 v4, v72, v2, -v4
	v_mul_f32_e32 v3, v72, v3
	v_add_f32_e32 v1, v54, v1
	v_fmac_f32_e32 v5, v9, v60
	v_fmac_f32_e32 v3, v73, v2
	v_add_f32_e32 v52, v0, v4
	v_mul_f32_e32 v0, v73, v61
	v_add_u32_e32 v4, 0x1800, v49
	v_add_f32_e32 v50, v6, v5
	v_add_f32_e32 v54, v1, v3
	v_fma_f32 v5, v72, v60, -v0
	ds_read2_b64 v[0:3], v4 offset1:32
	ds_read_b128 v[6:9], v15 offset:192
	v_mul_f32_e32 v56, v72, v61
	v_fmac_f32_e32 v56, v73, v60
	v_add_f32_e32 v11, v11, v5
	v_add_f32_e32 v23, v23, v56
	s_waitcnt lgkmcnt(0)
	v_mul_f32_e32 v5, v7, v1
	v_fma_f32 v56, v6, v0, -v5
	v_add_u32_e32 v5, 0x1800, v53
	ds_read2_b64 v[62:65], v5 offset1:32
	v_mul_f32_e32 v66, v6, v1
	v_fmac_f32_e32 v66, v7, v0
	ds_read_b128 v[58:61], v15 offset:208
	v_add_f32_e32 v31, v31, v66
	ds_read_b128 v[66:69], v15 offset:4288
	v_add_f32_e32 v10, v10, v56
	s_waitcnt lgkmcnt(2)
	v_mul_f32_e32 v56, v7, v63
	v_fma_f32 v56, v6, v62, -v56
	v_mul_f32_e32 v6, v6, v63
	v_fmac_f32_e32 v6, v7, v62
	v_add_f32_e32 v7, v48, v56
	s_waitcnt lgkmcnt(0)
	v_mul_f32_e32 v48, v67, v1
	v_fma_f32 v48, v66, v0, -v48
	v_mul_f32_e32 v1, v66, v1
	v_fmac_f32_e32 v1, v67, v0
	v_add_f32_e32 v0, v52, v48
	v_mul_f32_e32 v48, v67, v63
	v_fma_f32 v48, v66, v62, -v48
	v_add_f32_e32 v11, v11, v48
	v_mul_f32_e32 v48, v9, v3
	v_add_f32_e32 v6, v50, v6
	v_mul_f32_e32 v50, v66, v63
	v_fma_f32 v48, v8, v2, -v48
	v_fmac_f32_e32 v50, v67, v62
	v_add_f32_e32 v10, v10, v48
	v_mul_f32_e32 v48, v9, v65
	v_add_f32_e32 v23, v23, v50
	v_mul_f32_e32 v50, v8, v3
	v_fma_f32 v48, v8, v64, -v48
	v_mul_f32_e32 v8, v8, v65
	v_fmac_f32_e32 v50, v9, v2
	v_fmac_f32_e32 v8, v9, v64
	v_add_f32_e32 v31, v31, v50
	v_add_f32_e32 v50, v6, v8
	v_mul_f32_e32 v6, v69, v3
	v_fma_f32 v6, v68, v2, -v6
	v_mul_f32_e32 v3, v68, v3
	v_add_f32_e32 v1, v54, v1
	v_fmac_f32_e32 v3, v69, v2
	v_add_f32_e32 v52, v0, v6
	v_mul_f32_e32 v0, v69, v65
	v_add_f32_e32 v54, v1, v3
	v_fma_f32 v6, v68, v64, -v0
	ds_read2_b64 v[0:3], v4 offset0:64 offset1:96
	v_add_f32_e32 v48, v7, v48
	v_mul_f32_e32 v7, v68, v65
	v_fmac_f32_e32 v7, v69, v64
	v_add_f32_e32 v11, v11, v6
	s_waitcnt lgkmcnt(0)
	v_mul_f32_e32 v6, v59, v1
	v_add_f32_e32 v23, v23, v7
	v_fma_f32 v56, v58, v0, -v6
	ds_read2_b64 v[6:9], v5 offset0:64 offset1:96
	ds_read_b128 v[70:73], v15 offset:4304
	v_add_f32_e32 v10, v10, v56
	v_mul_f32_e32 v62, v58, v1
	v_fmac_f32_e32 v62, v59, v0
	s_waitcnt lgkmcnt(1)
	v_mul_f32_e32 v56, v59, v7
	v_fma_f32 v56, v58, v6, -v56
	v_add_f32_e32 v48, v48, v56
	s_waitcnt lgkmcnt(0)
	v_mul_f32_e32 v56, v71, v1
	v_fma_f32 v56, v70, v0, -v56
	v_mul_f32_e32 v1, v70, v1
	v_mul_f32_e32 v58, v58, v7
	v_fmac_f32_e32 v1, v71, v0
	v_add_f32_e32 v0, v52, v56
	v_mul_f32_e32 v52, v71, v7
	v_mul_f32_e32 v7, v70, v7
	v_fma_f32 v52, v70, v6, -v52
	v_fmac_f32_e32 v7, v71, v6
	v_fmac_f32_e32 v58, v59, v6
	v_add_f32_e32 v6, v11, v52
	v_add_f32_e32 v7, v23, v7
	v_mul_f32_e32 v11, v61, v3
	v_mul_f32_e32 v23, v60, v3
	v_add_f32_e32 v31, v31, v62
	v_fma_f32 v11, v60, v2, -v11
	v_fmac_f32_e32 v23, v61, v2
	v_add_f32_e32 v10, v10, v11
	v_add_f32_e32 v11, v31, v23
	v_mul_f32_e32 v23, v61, v9
	v_fma_f32 v23, v60, v8, -v23
	v_add_f32_e32 v23, v48, v23
	v_mul_f32_e32 v48, v73, v3
	v_mul_f32_e32 v31, v60, v9
	v_fma_f32 v48, v72, v2, -v48
	v_mul_f32_e32 v3, v72, v3
	v_add_f32_e32 v50, v50, v58
	v_add_f32_e32 v1, v54, v1
	v_fmac_f32_e32 v31, v61, v8
	v_fmac_f32_e32 v3, v73, v2
	v_add_f32_e32 v48, v0, v48
	v_mul_f32_e32 v0, v73, v9
	v_add_f32_e32 v31, v50, v31
	v_add_f32_e32 v50, v1, v3
	v_fma_f32 v52, v72, v8, -v0
	ds_read2_b64 v[0:3], v4 offset0:128 offset1:160
	ds_read_b128 v[58:61], v15 offset:224
	v_mul_f32_e32 v9, v72, v9
	ds_read2_b64 v[62:65], v5 offset0:128 offset1:160
	v_fmac_f32_e32 v9, v73, v8
	v_add_f32_e32 v52, v6, v52
	s_waitcnt lgkmcnt(1)
	v_mul_f32_e32 v66, v58, v1
	v_fmac_f32_e32 v66, v59, v0
	v_add_f32_e32 v54, v7, v9
	ds_read_b128 v[6:9], v15 offset:240
	v_add_f32_e32 v11, v11, v66
	ds_read_b128 v[66:69], v15 offset:4320
	v_mul_f32_e32 v56, v59, v1
	v_fma_f32 v56, v58, v0, -v56
	v_add_f32_e32 v10, v10, v56
	s_waitcnt lgkmcnt(2)
	v_mul_f32_e32 v56, v59, v63
	v_fma_f32 v56, v58, v62, -v56
	v_add_f32_e32 v23, v23, v56
	s_waitcnt lgkmcnt(0)
	v_mul_f32_e32 v56, v67, v1
	v_fma_f32 v56, v66, v0, -v56
	v_mul_f32_e32 v1, v66, v1
	v_fmac_f32_e32 v1, v67, v0
	v_add_f32_e32 v0, v48, v56
	v_mul_f32_e32 v48, v67, v63
	v_fma_f32 v48, v66, v62, -v48
	v_add_f32_e32 v48, v52, v48
	v_mul_f32_e32 v52, v61, v3
	v_add_f32_e32 v1, v50, v1
	v_mul_f32_e32 v50, v66, v63
	v_fma_f32 v52, v60, v2, -v52
	v_fmac_f32_e32 v50, v67, v62
	v_add_f32_e32 v10, v10, v52
	v_mul_f32_e32 v52, v61, v65
	v_add_f32_e32 v50, v54, v50
	v_mul_f32_e32 v54, v60, v3
	v_fma_f32 v52, v60, v64, -v52
	v_mul_f32_e32 v58, v58, v63
	v_fmac_f32_e32 v54, v61, v2
	v_add_f32_e32 v23, v23, v52
	v_mul_f32_e32 v52, v69, v3
	v_fmac_f32_e32 v58, v59, v62
	v_add_f32_e32 v11, v11, v54
	v_mul_f32_e32 v54, v60, v65
	v_fma_f32 v52, v68, v2, -v52
	v_mul_f32_e32 v3, v68, v3
	v_add_f32_e32 v31, v31, v58
	v_fmac_f32_e32 v54, v61, v64
	v_fmac_f32_e32 v3, v69, v2
	v_add_f32_e32 v52, v0, v52
	v_mul_f32_e32 v0, v69, v65
	v_add_f32_e32 v31, v31, v54
	v_add_f32_e32 v54, v1, v3
	v_fma_f32 v56, v68, v64, -v0
	ds_read2_b64 v[0:3], v4 offset0:192 offset1:224
	v_mul_f32_e32 v4, v68, v65
	v_fmac_f32_e32 v4, v69, v64
	ds_read2_b64 v[62:65], v5 offset0:192 offset1:224
	ds_read_b128 v[70:73], v15 offset:4336
	s_waitcnt lgkmcnt(2)
	v_mul_f32_e32 v5, v6, v1
	v_fmac_f32_e32 v5, v7, v0
	v_add_f32_e32 v4, v50, v4
	v_mul_f32_e32 v50, v7, v1
	v_add_f32_e32 v5, v11, v5
	s_waitcnt lgkmcnt(1)
	v_mul_f32_e32 v11, v7, v63
	v_fma_f32 v50, v6, v0, -v50
	v_fma_f32 v11, v6, v62, -v11
	v_mul_f32_e32 v6, v6, v63
	v_fmac_f32_e32 v6, v7, v62
	v_add_f32_e32 v7, v23, v11
	s_waitcnt lgkmcnt(0)
	v_mul_f32_e32 v11, v71, v1
	v_add_f32_e32 v6, v31, v6
	v_fma_f32 v11, v70, v0, -v11
	v_mul_f32_e32 v1, v70, v1
	v_mul_f32_e32 v31, v8, v3
	v_fmac_f32_e32 v1, v71, v0
	v_add_f32_e32 v0, v52, v11
	v_mul_f32_e32 v11, v71, v63
	v_mul_f32_e32 v23, v70, v63
	v_fmac_f32_e32 v31, v9, v2
	v_fma_f32 v11, v70, v62, -v11
	v_fmac_f32_e32 v23, v71, v62
	v_add_f32_e32 v62, v5, v31
	v_mul_f32_e32 v5, v9, v65
	v_fma_f32 v5, v8, v64, -v5
	v_add_f32_e32 v48, v48, v56
	v_add_f32_e32 v56, v7, v5
	v_mul_f32_e32 v5, v73, v3
	v_fma_f32 v5, v72, v2, -v5
	v_add_f32_e32 v52, v0, v5
	v_mul_f32_e32 v0, v73, v65
	v_add_f32_e32 v11, v48, v11
	v_fma_f32 v0, v72, v64, -v0
	v_add_f32_e32 v10, v10, v50
	v_add_f32_e32 v50, v11, v0
	v_mov_b32_e32 v0, s31
	v_add_co_u32_e32 v46, vcc, s30, v46
	v_add_f32_e32 v4, v4, v23
	v_mul_f32_e32 v23, v9, v3
	v_mul_f32_e32 v3, v72, v3
	v_addc_co_u32_e32 v47, vcc, v47, v0, vcc
	v_add_f32_e32 v1, v54, v1
	v_fmac_f32_e32 v3, v73, v2
	v_add_co_u32_e32 v36, vcc, 0x100, v36
	v_fma_f32 v23, v8, v2, -v23
	v_mul_f32_e32 v8, v8, v65
	v_add_f32_e32 v54, v1, v3
	v_mul_f32_e32 v1, v72, v65
	s_add_u32 s38, s38, 32
	v_addc_co_u32_e32 v37, vcc, 0, v37, vcc
	v_fmac_f32_e32 v8, v9, v64
	v_fmac_f32_e32 v1, v73, v64
	s_addc_u32 s39, s39, 0
	s_sub_i32 s12, s38, 32
	v_add_co_u32_e32 v38, vcc, 0x100, v38
	v_add_f32_e32 v60, v10, v23
	v_add_f32_e32 v58, v6, v8
	;; [unrolled: 1-line block ×3, first 2 shown]
	s_cmp_ge_i32 s12, s48
	v_addc_co_u32_e32 v39, vcc, 0, v39, vcc
	s_barrier
	s_cbranch_scc1 .LBB87_55
.LBB87_7:                               ;   Parent Loop BB87_4 Depth=1
                                        ; =>  This Inner Loop Header: Depth=2
	v_mov_b32_e32 v1, s39
	v_add_co_u32_e32 v0, vcc, s38, v14
	v_addc_co_u32_e32 v1, vcc, 0, v1, vcc
	v_add_co_u32_e32 v2, vcc, v36, v18
	v_addc_co_u32_e32 v3, vcc, 0, v37, vcc
	v_cmp_eq_u64_e32 vcc, s[38:39], v[34:35]
	s_and_b64 s[44:45], s[22:23], vcc
	v_cmp_gt_i64_e32 vcc, v[0:1], v[32:33]
	s_or_b64 s[14:15], s[8:9], vcc
	v_cmp_le_i64_e64 s[12:13], s[26:27], v[0:1]
	s_or_b64 s[14:15], s[14:15], s[44:45]
	s_or_b64 s[14:15], s[12:13], s[14:15]
	s_xor_b64 s[14:15], s[14:15], -1
	s_and_saveexec_b64 s[18:19], s[14:15]
	s_xor_b64 s[14:15], exec, s[18:19]
	s_cbranch_execz .LBB87_9
; %bb.8:                                ;   in Loop: Header=BB87_7 Depth=2
	global_load_dwordx2 v[4:5], v[2:3], off
	s_waitcnt vmcnt(0)
	ds_write_b64 v19, v[4:5]
.LBB87_9:                               ;   in Loop: Header=BB87_7 Depth=2
	s_or_saveexec_b64 s[14:15], s[14:15]
	s_xor_b64 s[42:43], s[44:45], -1
	s_xor_b64 exec, exec, s[14:15]
	s_cbranch_execz .LBB87_15
; %bb.10:                               ;   in Loop: Header=BB87_7 Depth=2
	s_and_saveexec_b64 s[18:19], s[42:43]
	s_xor_b64 s[18:19], exec, s[18:19]
	s_cbranch_execz .LBB87_12
; %bb.11:                               ;   in Loop: Header=BB87_7 Depth=2
	v_mov_b32_e32 v4, v17
	v_mov_b32_e32 v5, v17
	ds_write_b64 v19, v[4:5]
.LBB87_12:                              ;   in Loop: Header=BB87_7 Depth=2
	s_andn2_saveexec_b64 s[18:19], s[18:19]
	s_cbranch_execz .LBB87_14
; %bb.13:                               ;   in Loop: Header=BB87_7 Depth=2
	ds_write_b64 v19, v[16:17]
.LBB87_14:                              ;   in Loop: Header=BB87_7 Depth=2
	s_or_b64 exec, exec, s[18:19]
.LBB87_15:                              ;   in Loop: Header=BB87_7 Depth=2
	s_or_b64 exec, exec, s[14:15]
	v_add_co_u32_e64 v4, s[14:15], 16, v0
	v_addc_co_u32_e64 v5, s[14:15], 0, v1, s[14:15]
	v_cmp_eq_u64_e64 s[14:15], s[38:39], v[44:45]
	v_cmp_gt_i64_e64 s[18:19], v[4:5], v[32:33]
	s_and_b64 s[46:47], s[22:23], s[14:15]
	s_or_b64 s[18:19], s[8:9], s[18:19]
	v_cmp_le_i64_e64 s[14:15], s[26:27], v[4:5]
	s_or_b64 s[18:19], s[18:19], s[46:47]
	s_or_b64 s[18:19], s[14:15], s[18:19]
	s_xor_b64 s[18:19], s[18:19], -1
	s_and_saveexec_b64 s[50:51], s[18:19]
	s_xor_b64 s[18:19], exec, s[50:51]
	s_cbranch_execz .LBB87_17
; %bb.16:                               ;   in Loop: Header=BB87_7 Depth=2
	global_load_dwordx2 v[2:3], v[2:3], off offset:128
	s_waitcnt vmcnt(0)
	ds_write_b64 v19, v[2:3] offset:128
.LBB87_17:                              ;   in Loop: Header=BB87_7 Depth=2
	s_andn2_saveexec_b64 s[18:19], s[18:19]
	s_cbranch_execz .LBB87_23
; %bb.18:                               ;   in Loop: Header=BB87_7 Depth=2
	s_xor_b64 s[46:47], s[46:47], -1
	s_and_saveexec_b64 s[50:51], s[46:47]
	s_xor_b64 s[46:47], exec, s[50:51]
	s_cbranch_execz .LBB87_20
; %bb.19:                               ;   in Loop: Header=BB87_7 Depth=2
	v_mov_b32_e32 v2, v17
	v_mov_b32_e32 v3, v17
	ds_write_b64 v19, v[2:3] offset:128
.LBB87_20:                              ;   in Loop: Header=BB87_7 Depth=2
	s_andn2_saveexec_b64 s[46:47], s[46:47]
	s_cbranch_execz .LBB87_22
; %bb.21:                               ;   in Loop: Header=BB87_7 Depth=2
	ds_write_b64 v19, v[16:17] offset:128
.LBB87_22:                              ;   in Loop: Header=BB87_7 Depth=2
	s_or_b64 exec, exec, s[46:47]
.LBB87_23:                              ;   in Loop: Header=BB87_7 Depth=2
	s_or_b64 exec, exec, s[18:19]
	v_cmp_eq_u64_e64 s[18:19], s[38:39], v[42:43]
	s_and_b64 s[46:47], s[22:23], s[18:19]
	v_cmp_gt_i64_e64 s[18:19], v[0:1], v[40:41]
	s_or_b64 s[18:19], s[10:11], s[18:19]
	s_or_b64 s[18:19], s[18:19], s[46:47]
	;; [unrolled: 1-line block ×3, first 2 shown]
	s_xor_b64 s[12:13], s[12:13], -1
	s_and_saveexec_b64 s[18:19], s[12:13]
	s_xor_b64 s[18:19], exec, s[18:19]
	s_cbranch_execz .LBB87_25
; %bb.24:                               ;   in Loop: Header=BB87_7 Depth=2
	v_add_co_u32_e64 v0, s[12:13], v38, v18
	v_addc_co_u32_e64 v1, s[12:13], 0, v39, s[12:13]
	global_load_dwordx2 v[0:1], v[0:1], off
	s_waitcnt vmcnt(0)
	ds_write_b64 v19, v[0:1] offset:4096
.LBB87_25:                              ;   in Loop: Header=BB87_7 Depth=2
	s_andn2_saveexec_b64 s[12:13], s[18:19]
	s_cbranch_execz .LBB87_31
; %bb.26:                               ;   in Loop: Header=BB87_7 Depth=2
	s_xor_b64 s[18:19], s[46:47], -1
	s_and_saveexec_b64 s[46:47], s[18:19]
	s_xor_b64 s[18:19], exec, s[46:47]
	s_cbranch_execz .LBB87_28
; %bb.27:                               ;   in Loop: Header=BB87_7 Depth=2
	v_mov_b32_e32 v0, v17
	v_mov_b32_e32 v1, v17
	ds_write_b64 v19, v[0:1] offset:4096
.LBB87_28:                              ;   in Loop: Header=BB87_7 Depth=2
	s_andn2_saveexec_b64 s[18:19], s[18:19]
	s_cbranch_execz .LBB87_30
; %bb.29:                               ;   in Loop: Header=BB87_7 Depth=2
	ds_write_b64 v19, v[16:17] offset:4096
.LBB87_30:                              ;   in Loop: Header=BB87_7 Depth=2
	s_or_b64 exec, exec, s[18:19]
.LBB87_31:                              ;   in Loop: Header=BB87_7 Depth=2
	s_or_b64 exec, exec, s[12:13]
	s_or_b64 s[12:13], s[10:11], vcc
	s_or_b64 s[12:13], s[12:13], s[44:45]
	s_or_b64 s[12:13], s[14:15], s[12:13]
	s_xor_b64 s[12:13], s[12:13], -1
	s_and_saveexec_b64 s[14:15], s[12:13]
	s_xor_b64 s[12:13], exec, s[14:15]
	s_cbranch_execz .LBB87_33
; %bb.32:                               ;   in Loop: Header=BB87_7 Depth=2
	v_add_co_u32_e32 v0, vcc, v38, v18
	v_addc_co_u32_e32 v1, vcc, 0, v39, vcc
	global_load_dwordx2 v[0:1], v[0:1], off offset:128
	s_waitcnt vmcnt(0)
	ds_write_b64 v19, v[0:1] offset:4224
.LBB87_33:                              ;   in Loop: Header=BB87_7 Depth=2
	s_andn2_saveexec_b64 s[12:13], s[12:13]
	s_cbranch_execz .LBB87_39
; %bb.34:                               ;   in Loop: Header=BB87_7 Depth=2
	s_and_saveexec_b64 s[14:15], s[42:43]
	s_xor_b64 s[14:15], exec, s[14:15]
	s_cbranch_execz .LBB87_36
; %bb.35:                               ;   in Loop: Header=BB87_7 Depth=2
	v_mov_b32_e32 v0, v17
	v_mov_b32_e32 v1, v17
	ds_write_b64 v19, v[0:1] offset:4224
.LBB87_36:                              ;   in Loop: Header=BB87_7 Depth=2
	s_andn2_saveexec_b64 s[14:15], s[14:15]
	s_cbranch_execz .LBB87_38
; %bb.37:                               ;   in Loop: Header=BB87_7 Depth=2
	ds_write_b64 v19, v[16:17] offset:4224
.LBB87_38:                              ;   in Loop: Header=BB87_7 Depth=2
	s_or_b64 exec, exec, s[14:15]
.LBB87_39:                              ;   in Loop: Header=BB87_7 Depth=2
	s_or_b64 exec, exec, s[12:13]
	v_mov_b32_e32 v1, s39
	v_add_co_u32_e32 v0, vcc, s38, v12
	v_addc_co_u32_e32 v1, vcc, 0, v1, vcc
	v_add_co_u32_e32 v2, vcc, v46, v24
	v_addc_co_u32_e32 v3, vcc, v47, v25, vcc
	v_cmp_le_i64_e32 vcc, s[26:27], v[0:1]
	s_or_b64 s[12:13], vcc, s[0:1]
	s_xor_b64 s[12:13], s[12:13], -1
	s_and_saveexec_b64 s[14:15], s[12:13]
	s_xor_b64 s[12:13], exec, s[14:15]
	s_cbranch_execz .LBB87_41
; %bb.40:                               ;   in Loop: Header=BB87_7 Depth=2
	global_load_dwordx2 v[4:5], v[2:3], off offset:-128
	s_waitcnt vmcnt(0)
	ds_write_b64 v51, v[4:5]
.LBB87_41:                              ;   in Loop: Header=BB87_7 Depth=2
	s_andn2_saveexec_b64 s[12:13], s[12:13]
	s_cbranch_execz .LBB87_43
; %bb.42:                               ;   in Loop: Header=BB87_7 Depth=2
	v_mov_b32_e32 v4, v17
	v_mov_b32_e32 v5, v17
	ds_write_b64 v51, v[4:5]
.LBB87_43:                              ;   in Loop: Header=BB87_7 Depth=2
	s_or_b64 exec, exec, s[12:13]
	s_or_b64 s[12:13], vcc, s[2:3]
	s_xor_b64 s[12:13], s[12:13], -1
	s_and_saveexec_b64 s[14:15], s[12:13]
	s_xor_b64 s[12:13], exec, s[14:15]
	s_cbranch_execz .LBB87_45
; %bb.44:                               ;   in Loop: Header=BB87_7 Depth=2
	global_load_dwordx2 v[2:3], v[2:3], off
	s_waitcnt vmcnt(0)
	ds_write_b64 v51, v[2:3] offset:128
.LBB87_45:                              ;   in Loop: Header=BB87_7 Depth=2
	s_andn2_saveexec_b64 s[12:13], s[12:13]
	s_cbranch_execz .LBB87_47
; %bb.46:                               ;   in Loop: Header=BB87_7 Depth=2
	v_mov_b32_e32 v2, v17
	v_mov_b32_e32 v3, v17
	ds_write_b64 v51, v[2:3] offset:128
.LBB87_47:                              ;   in Loop: Header=BB87_7 Depth=2
	s_or_b64 exec, exec, s[12:13]
	v_cmp_le_i64_e32 vcc, s[34:35], v[0:1]
	s_or_b64 s[12:13], vcc, s[0:1]
	s_xor_b64 s[12:13], s[12:13], -1
	s_and_saveexec_b64 s[14:15], s[12:13]
	s_xor_b64 s[14:15], exec, s[14:15]
	s_cbranch_execz .LBB87_49
; %bb.48:                               ;   in Loop: Header=BB87_7 Depth=2
	v_add_co_u32_e64 v0, s[12:13], v46, v30
	v_addc_co_u32_e64 v1, s[12:13], v47, v13, s[12:13]
	global_load_dwordx2 v[0:1], v[0:1], off offset:-128
	s_waitcnt vmcnt(0)
	ds_write_b64 v51, v[0:1] offset:4096
.LBB87_49:                              ;   in Loop: Header=BB87_7 Depth=2
	s_andn2_saveexec_b64 s[12:13], s[14:15]
	s_cbranch_execz .LBB87_51
; %bb.50:                               ;   in Loop: Header=BB87_7 Depth=2
	v_mov_b32_e32 v0, v17
	v_mov_b32_e32 v1, v17
	ds_write_b64 v51, v[0:1] offset:4096
.LBB87_51:                              ;   in Loop: Header=BB87_7 Depth=2
	s_or_b64 exec, exec, s[12:13]
	s_or_b64 s[12:13], vcc, s[2:3]
	s_xor_b64 s[12:13], s[12:13], -1
	s_and_saveexec_b64 s[14:15], s[12:13]
	s_xor_b64 s[12:13], exec, s[14:15]
	s_cbranch_execz .LBB87_53
; %bb.52:                               ;   in Loop: Header=BB87_7 Depth=2
	v_add_co_u32_e32 v0, vcc, v46, v30
	v_addc_co_u32_e32 v1, vcc, v47, v13, vcc
	global_load_dwordx2 v[0:1], v[0:1], off
	s_waitcnt vmcnt(0)
	ds_write_b64 v51, v[0:1] offset:4224
.LBB87_53:                              ;   in Loop: Header=BB87_7 Depth=2
	s_andn2_saveexec_b64 s[12:13], s[12:13]
	s_cbranch_execz .LBB87_6
; %bb.54:                               ;   in Loop: Header=BB87_7 Depth=2
	v_mov_b32_e32 v0, v17
	v_mov_b32_e32 v1, v17
	ds_write_b64 v51, v[0:1] offset:4224
	s_branch .LBB87_6
.LBB87_55:                              ;   in Loop: Header=BB87_4 Depth=1
	v_mul_lo_u32 v2, v33, s20
	v_mul_lo_u32 v3, v32, s21
	v_mad_u64_u32 v[0:1], s[8:9], v32, s20, 0
	v_add3_u32 v1, v1, v3, v2
	v_lshlrev_b64 v[0:1], 3, v[0:1]
	v_mov_b32_e32 v2, s53
	v_add_co_u32_e64 v0, s[8:9], s52, v0
	v_cmp_gt_i32_e32 vcc, s26, v32
	v_addc_co_u32_e64 v1, s[8:9], v2, v1, s[8:9]
	s_and_b64 s[8:9], s[4:5], vcc
	s_and_saveexec_b64 s[10:11], s[8:9]
	s_cbranch_execz .LBB87_57
; %bb.56:                               ;   in Loop: Header=BB87_4 Depth=1
	v_add_co_u32_e64 v2, s[8:9], v0, v26
	v_addc_co_u32_e64 v3, s[8:9], v1, v27, s[8:9]
	global_load_dwordx2 v[4:5], v[2:3], off
	v_pk_mul_f32 v[6:7], v[62:63], s[28:29] op_sel_hi:[0,1]
	v_pk_fma_f32 v[8:9], v[60:61], s[28:29], v[6:7] op_sel:[0,0,1] op_sel_hi:[1,1,0] neg_lo:[0,0,1] neg_hi:[0,0,1]
	v_pk_fma_f32 v[6:7], v[60:61], s[28:29], v[6:7] op_sel:[0,0,1] op_sel_hi:[0,1,0]
	v_mov_b32_e32 v9, v7
	s_waitcnt vmcnt(0)
	v_pk_add_f32 v[4:5], v[4:5], v[8:9]
	global_store_dwordx2 v[2:3], v[4:5], off
.LBB87_57:                              ;   in Loop: Header=BB87_4 Depth=1
	s_or_b64 exec, exec, s[10:11]
	s_and_b64 s[10:11], s[16:17], vcc
	s_and_saveexec_b64 s[8:9], s[10:11]
	s_cbranch_execz .LBB87_59
; %bb.58:                               ;   in Loop: Header=BB87_4 Depth=1
	v_lshlrev_b64 v[2:3], 3, v[20:21]
	v_add_co_u32_e32 v0, vcc, v0, v2
	v_addc_co_u32_e32 v1, vcc, v1, v3, vcc
	global_load_dwordx2 v[2:3], v[0:1], off
	v_pk_mul_f32 v[4:5], v[58:59], s[28:29] op_sel_hi:[0,1]
	v_pk_fma_f32 v[6:7], v[56:57], s[28:29], v[4:5] op_sel:[0,0,1] op_sel_hi:[1,1,0] neg_lo:[0,0,1] neg_hi:[0,0,1]
	v_pk_fma_f32 v[4:5], v[56:57], s[28:29], v[4:5] op_sel:[0,0,1] op_sel_hi:[0,1,0]
	v_mov_b32_e32 v7, v5
	s_waitcnt vmcnt(0)
	v_pk_add_f32 v[2:3], v[2:3], v[6:7]
	global_store_dwordx2 v[0:1], v[2:3], off
.LBB87_59:                              ;   in Loop: Header=BB87_4 Depth=1
	s_or_b64 exec, exec, s[8:9]
	v_add_u32_e32 v0, 16, v32
	v_ashrrev_i32_e32 v1, 31, v0
	v_cmp_gt_i32_e32 vcc, s26, v0
	v_mul_lo_u32 v2, v1, s20
	v_mul_lo_u32 v3, v0, s21
	v_mad_u64_u32 v[0:1], s[8:9], v0, s20, 0
	v_add3_u32 v1, v1, v3, v2
	v_lshlrev_b64 v[0:1], 3, v[0:1]
	v_mov_b32_e32 v2, s53
	v_add_co_u32_e64 v0, s[8:9], s52, v0
	v_addc_co_u32_e64 v1, s[8:9], v2, v1, s[8:9]
	s_and_b64 s[8:9], s[4:5], vcc
	s_and_saveexec_b64 s[10:11], s[8:9]
	s_cbranch_execz .LBB87_61
; %bb.60:                               ;   in Loop: Header=BB87_4 Depth=1
	v_add_co_u32_e64 v2, s[8:9], v0, v26
	v_addc_co_u32_e64 v3, s[8:9], v1, v27, s[8:9]
	global_load_dwordx2 v[4:5], v[2:3], off
	v_pk_mul_f32 v[6:7], v[54:55], s[28:29] op_sel_hi:[0,1]
	v_pk_fma_f32 v[8:9], v[52:53], s[28:29], v[6:7] op_sel:[0,0,1] op_sel_hi:[1,1,0] neg_lo:[0,0,1] neg_hi:[0,0,1]
	v_pk_fma_f32 v[6:7], v[52:53], s[28:29], v[6:7] op_sel:[0,0,1] op_sel_hi:[0,1,0]
	v_mov_b32_e32 v9, v7
	s_waitcnt vmcnt(0)
	v_pk_add_f32 v[4:5], v[4:5], v[8:9]
	global_store_dwordx2 v[2:3], v[4:5], off
.LBB87_61:                              ;   in Loop: Header=BB87_4 Depth=1
	s_or_b64 exec, exec, s[10:11]
	s_and_b64 s[10:11], s[16:17], vcc
	s_and_saveexec_b64 s[8:9], s[10:11]
	s_cbranch_execz .LBB87_3
; %bb.62:                               ;   in Loop: Header=BB87_4 Depth=1
	v_lshlrev_b64 v[2:3], 3, v[20:21]
	v_add_co_u32_e32 v0, vcc, v0, v2
	v_addc_co_u32_e32 v1, vcc, v1, v3, vcc
	global_load_dwordx2 v[2:3], v[0:1], off
	v_pk_mul_f32 v[4:5], v[48:49], s[28:29] op_sel_hi:[0,1]
	v_pk_fma_f32 v[6:7], v[50:51], s[28:29], v[4:5] op_sel:[0,0,1] op_sel_hi:[1,1,0] neg_lo:[0,0,1] neg_hi:[0,0,1]
	v_pk_fma_f32 v[4:5], v[50:51], s[28:29], v[4:5] op_sel:[0,0,1] op_sel_hi:[0,1,0]
	v_mov_b32_e32 v7, v5
	s_waitcnt vmcnt(0)
	v_pk_add_f32 v[2:3], v[2:3], v[6:7]
	global_store_dwordx2 v[0:1], v[2:3], off
	s_branch .LBB87_3
.LBB87_63:
	s_endpgm
	.section	.rodata,"a",@progbits
	.p2align	6, 0x0
	.amdhsa_kernel _ZL30rocblas_trmm_outofplace_kernelI19rocblas_complex_numIfELi32ELi2ELb0ELb1ELb0ELb0ES1_KS1_S1_Ev17rocblas_diagonal_iiT6_lPT7_lllS6_lllPT8_llli
		.amdhsa_group_segment_fixed_size 16384
		.amdhsa_private_segment_fixed_size 0
		.amdhsa_kernarg_size 392
		.amdhsa_user_sgpr_count 6
		.amdhsa_user_sgpr_private_segment_buffer 1
		.amdhsa_user_sgpr_dispatch_ptr 0
		.amdhsa_user_sgpr_queue_ptr 0
		.amdhsa_user_sgpr_kernarg_segment_ptr 1
		.amdhsa_user_sgpr_dispatch_id 0
		.amdhsa_user_sgpr_flat_scratch_init 0
		.amdhsa_user_sgpr_kernarg_preload_length 0
		.amdhsa_user_sgpr_kernarg_preload_offset 0
		.amdhsa_user_sgpr_private_segment_size 0
		.amdhsa_uses_dynamic_stack 0
		.amdhsa_system_sgpr_private_segment_wavefront_offset 0
		.amdhsa_system_sgpr_workgroup_id_x 1
		.amdhsa_system_sgpr_workgroup_id_y 1
		.amdhsa_system_sgpr_workgroup_id_z 1
		.amdhsa_system_sgpr_workgroup_info 0
		.amdhsa_system_vgpr_workitem_id 1
		.amdhsa_next_free_vgpr 80
		.amdhsa_next_free_sgpr 55
		.amdhsa_accum_offset 80
		.amdhsa_reserve_vcc 1
		.amdhsa_reserve_flat_scratch 0
		.amdhsa_float_round_mode_32 0
		.amdhsa_float_round_mode_16_64 0
		.amdhsa_float_denorm_mode_32 3
		.amdhsa_float_denorm_mode_16_64 3
		.amdhsa_dx10_clamp 1
		.amdhsa_ieee_mode 1
		.amdhsa_fp16_overflow 0
		.amdhsa_tg_split 0
		.amdhsa_exception_fp_ieee_invalid_op 0
		.amdhsa_exception_fp_denorm_src 0
		.amdhsa_exception_fp_ieee_div_zero 0
		.amdhsa_exception_fp_ieee_overflow 0
		.amdhsa_exception_fp_ieee_underflow 0
		.amdhsa_exception_fp_ieee_inexact 0
		.amdhsa_exception_int_div_zero 0
	.end_amdhsa_kernel
	.section	.text._ZL30rocblas_trmm_outofplace_kernelI19rocblas_complex_numIfELi32ELi2ELb0ELb1ELb0ELb0ES1_KS1_S1_Ev17rocblas_diagonal_iiT6_lPT7_lllS6_lllPT8_llli,"axG",@progbits,_ZL30rocblas_trmm_outofplace_kernelI19rocblas_complex_numIfELi32ELi2ELb0ELb1ELb0ELb0ES1_KS1_S1_Ev17rocblas_diagonal_iiT6_lPT7_lllS6_lllPT8_llli,comdat
.Lfunc_end87:
	.size	_ZL30rocblas_trmm_outofplace_kernelI19rocblas_complex_numIfELi32ELi2ELb0ELb1ELb0ELb0ES1_KS1_S1_Ev17rocblas_diagonal_iiT6_lPT7_lllS6_lllPT8_llli, .Lfunc_end87-_ZL30rocblas_trmm_outofplace_kernelI19rocblas_complex_numIfELi32ELi2ELb0ELb1ELb0ELb0ES1_KS1_S1_Ev17rocblas_diagonal_iiT6_lPT7_lllS6_lllPT8_llli
                                        ; -- End function
	.section	.AMDGPU.csdata,"",@progbits
; Kernel info:
; codeLenInByte = 6560
; NumSgprs: 59
; NumVgprs: 80
; NumAgprs: 0
; TotalNumVgprs: 80
; ScratchSize: 0
; MemoryBound: 1
; FloatMode: 240
; IeeeMode: 1
; LDSByteSize: 16384 bytes/workgroup (compile time only)
; SGPRBlocks: 7
; VGPRBlocks: 9
; NumSGPRsForWavesPerEU: 59
; NumVGPRsForWavesPerEU: 80
; AccumOffset: 80
; Occupancy: 6
; WaveLimiterHint : 0
; COMPUTE_PGM_RSRC2:SCRATCH_EN: 0
; COMPUTE_PGM_RSRC2:USER_SGPR: 6
; COMPUTE_PGM_RSRC2:TRAP_HANDLER: 0
; COMPUTE_PGM_RSRC2:TGID_X_EN: 1
; COMPUTE_PGM_RSRC2:TGID_Y_EN: 1
; COMPUTE_PGM_RSRC2:TGID_Z_EN: 1
; COMPUTE_PGM_RSRC2:TIDIG_COMP_CNT: 1
; COMPUTE_PGM_RSRC3_GFX90A:ACCUM_OFFSET: 19
; COMPUTE_PGM_RSRC3_GFX90A:TG_SPLIT: 0
	.section	.text._ZL30rocblas_trmm_outofplace_kernelI19rocblas_complex_numIfELi32ELi2ELb0ELb0ELb1ELb0EPKS1_S2_S1_Ev17rocblas_diagonal_iiT6_lPT7_lllS7_lllPT8_llli,"axG",@progbits,_ZL30rocblas_trmm_outofplace_kernelI19rocblas_complex_numIfELi32ELi2ELb0ELb0ELb1ELb0EPKS1_S2_S1_Ev17rocblas_diagonal_iiT6_lPT7_lllS7_lllPT8_llli,comdat
	.globl	_ZL30rocblas_trmm_outofplace_kernelI19rocblas_complex_numIfELi32ELi2ELb0ELb0ELb1ELb0EPKS1_S2_S1_Ev17rocblas_diagonal_iiT6_lPT7_lllS7_lllPT8_llli ; -- Begin function _ZL30rocblas_trmm_outofplace_kernelI19rocblas_complex_numIfELi32ELi2ELb0ELb0ELb1ELb0EPKS1_S2_S1_Ev17rocblas_diagonal_iiT6_lPT7_lllS7_lllPT8_llli
	.p2align	8
	.type	_ZL30rocblas_trmm_outofplace_kernelI19rocblas_complex_numIfELi32ELi2ELb0ELb0ELb1ELb0EPKS1_S2_S1_Ev17rocblas_diagonal_iiT6_lPT7_lllS7_lllPT8_llli,@function
_ZL30rocblas_trmm_outofplace_kernelI19rocblas_complex_numIfELi32ELi2ELb0ELb0ELb1ELb0EPKS1_S2_S1_Ev17rocblas_diagonal_iiT6_lPT7_lllS7_lllPT8_llli: ; @_ZL30rocblas_trmm_outofplace_kernelI19rocblas_complex_numIfELi32ELi2ELb0ELb0ELb1ELb0EPKS1_S2_S1_Ev17rocblas_diagonal_iiT6_lPT7_lllS7_lllPT8_llli
; %bb.0:
	s_load_dwordx16 s[12:27], s[4:5], 0x10
	s_waitcnt lgkmcnt(0)
	s_mul_i32 s0, s8, s15
	s_mul_hi_u32 s1, s8, s14
	s_add_i32 s1, s1, s0
	s_mul_i32 s0, s8, s14
	s_lshl_b64 s[0:1], s[0:1], 3
	s_add_u32 s0, s12, s0
	s_addc_u32 s1, s13, s1
	s_load_dwordx2 s[34:35], s[0:1], 0x0
	s_waitcnt lgkmcnt(0)
	s_or_b32 s0, s34, s35
	s_bitset0_b32 s0, 31
	s_cmp_eq_u32 s0, 0
	s_cbranch_scc1 .LBB88_63
; %bb.1:
	s_load_dwordx4 s[28:31], s[4:5], 0x0
	s_waitcnt lgkmcnt(0)
	s_add_i32 s0, s30, -1
	s_ashr_i32 s1, s0, 31
	s_lshr_b32 s1, s1, 27
	s_add_i32 s0, s0, s1
	s_ashr_i32 s33, s0, 5
	s_cmp_gt_i32 s7, s33
	s_cbranch_scc1 .LBB88_63
; %bb.2:
	s_mul_i32 s0, s8, s23
	s_mul_hi_u32 s1, s8, s22
	s_add_i32 s1, s1, s0
	s_mul_i32 s0, s8, s22
	s_load_dwordx4 s[44:47], s[4:5], 0x70
	s_load_dword s48, s[4:5], 0x8c
	s_lshl_b64 s[12:13], s[0:1], 3
	s_add_u32 s0, s16, s12
	s_load_dwordx8 s[36:43], s[4:5], 0x50
	s_addc_u32 s1, s17, s13
	s_lshl_b64 s[14:15], s[18:19], 3
	s_add_u32 s2, s0, s14
	s_addc_u32 s3, s1, s15
	s_waitcnt lgkmcnt(0)
	s_mul_i32 s0, s8, s47
	s_mul_hi_u32 s1, s8, s46
	s_add_i32 s1, s1, s0
	s_mul_i32 s0, s8, s46
	s_lshl_b64 s[0:1], s[0:1], 3
	s_add_u32 s4, s40, s0
	s_addc_u32 s5, s41, s1
	s_lshl_b64 s[0:1], s[42:43], 3
	s_add_u32 s49, s4, s0
	v_and_b32_e32 v14, 0x3ff, v0
	s_addc_u32 s50, s5, s1
	v_mad_u64_u32 v[2:3], s[0:1], v14, s20, 0
	v_mov_b32_e32 v4, v3
	v_mad_u64_u32 v[4:5], s[0:1], v14, s21, v[4:5]
	v_mov_b32_e32 v3, v4
	v_lshlrev_b64 v[2:3], 3, v[2:3]
	v_mov_b32_e32 v4, s3
	v_add_co_u32_e32 v18, vcc, s2, v2
	s_cmpk_eq_i32 s28, 0x84
	v_bfe_u32 v12, v0, 10, 10
	v_lshl_add_u32 v0, s6, 5, v14
	v_addc_co_u32_e32 v19, vcc, v4, v3, vcc
	s_cselect_b64 s[22:23], -1, 0
	s_ashr_i32 s0, s29, 31
	v_ashrrev_i32_e32 v1, 31, v0
	v_mov_b32_e32 v3, s0
	v_sub_co_u32_e32 v2, vcc, s29, v0
	v_subb_co_u32_e32 v3, vcc, v3, v1, vcc
	v_sub_co_u32_e64 v61, s[10:11], 0, v14
	v_cmp_gt_i64_e32 vcc, 1, v[2:3]
	v_cmp_gt_i64_e64 s[0:1], 17, v[2:3]
	v_subb_co_u32_e64 v63, s[10:11], 0, 0, s[10:11]
	v_mad_u64_u32 v[2:3], s[10:11], s36, v12, 0
	v_mov_b32_e32 v4, v3
	s_ashr_i32 s31, s30, 31
	s_lshl_b64 s[40:41], s[20:21], 8
	s_lshl_b64 s[42:43], s[36:37], 8
	v_mad_u64_u32 v[4:5], s[10:11], s37, v12, v[4:5]
	s_add_u32 s46, s30, -16
	s_mul_i32 s9, s39, s8
	s_mul_hi_u32 s10, s38, s8
	s_addc_u32 s47, s31, -1
	s_add_i32 s9, s10, s9
	s_mul_i32 s8, s38, s8
	s_lshl_b32 s6, s48, 5
	s_lshl_b64 s[8:9], s[8:9], 3
	s_lshl_b64 s[10:11], s[26:27], 3
	s_add_u32 s8, s8, s10
	s_addc_u32 s9, s9, s11
	s_add_u32 s8, s24, s8
	v_lshlrev_b64 v[26:27], 3, v[0:1]
	s_addc_u32 s9, s25, s9
	v_cmp_gt_i32_e64 s[2:3], s29, v0
	v_add_u32_e32 v20, 16, v0
	v_mov_b32_e32 v0, s9
	v_add_co_u32_e64 v1, s[8:9], s8, v26
	v_addc_co_u32_e64 v0, s[8:9], v0, v27, s[8:9]
	s_movk_i32 s8, 0x80
	v_add_co_u32_e64 v28, s[8:9], s8, v1
	v_addc_co_u32_e64 v29, s[8:9], 0, v0, s[8:9]
	s_add_u32 s8, s16, s14
	s_addc_u32 s9, s17, s15
	s_add_u32 s8, s8, s12
	v_lshlrev_b32_e32 v6, 3, v14
	v_mov_b32_e32 v3, v4
	s_addc_u32 s9, s9, s13
	v_lshlrev_b64 v[24:25], 3, v[2:3]
	v_add_u32_e32 v2, 0x80, v6
	v_pk_mov_b32 v[0:1], s[8:9], s[8:9] op_sel:[0,1]
	v_mad_u64_u32 v[30:31], s[8:9], s20, v2, v[0:1]
	v_mov_b32_e32 v0, v31
	v_mad_u64_u32 v[0:1], s[8:9], s21, v2, v[0:1]
	v_mov_b32_e32 v31, v0
	v_mov_b32_e32 v0, 0x80
	v_lshl_add_u32 v1, v12, 3, v0
	v_mad_u64_u32 v[32:33], s[8:9], s36, v1, 0
	v_mov_b32_e32 v0, v33
	v_lshlrev_b32_e32 v15, 8, v12
	v_or_b32_e32 v55, 0x2000, v6
	v_mad_u64_u32 v[0:1], s[8:9], s37, v1, v[0:1]
	v_mov_b32_e32 v17, 0
	v_add_u32_e32 v53, v15, v6
	v_add_u32_e32 v57, v55, v15
	v_cmp_gt_i32_e64 s[4:5], s29, v20
	v_ashrrev_i32_e32 v21, 31, v20
	v_add_u32_e32 v59, 0x2080, v6
	v_lshl_add_u32 v22, s7, 5, v12
	v_mov_b32_e32 v13, v0
	v_mov_b32_e32 v16, 1.0
	s_branch .LBB88_4
.LBB88_3:                               ;   in Loop: Header=BB88_4 Depth=1
	s_or_b64 exec, exec, s[10:11]
	s_add_i32 s7, s48, s7
	s_cmp_le_i32 s7, s33
	v_add_u32_e32 v22, s6, v22
	s_cbranch_scc0 .LBB88_63
.LBB88_4:                               ; =>This Loop Header: Depth=1
                                        ;     Child Loop BB88_7 Depth 2
	s_lshl_b32 s38, s7, 5
	v_add_u32_e32 v34, s38, v12
	v_ashrrev_i32_e32 v35, 31, v34
	s_cmp_lt_i32 s7, 0
	v_mov_b32_e32 v64, v17
	v_mov_b32_e32 v66, v17
	v_mov_b32_e32 v60, v17
	v_mov_b32_e32 v62, v17
	v_mov_b32_e32 v56, v17
	v_mov_b32_e32 v58, v17
	v_mov_b32_e32 v54, v17
	v_mov_b32_e32 v52, v17
	s_cbranch_scc1 .LBB88_55
; %bb.5:                                ;   in Loop: Header=BB88_4 Depth=1
	v_ashrrev_i32_e32 v23, 31, v22
	v_add_co_u32_e64 v36, s[8:9], v61, v22
	v_addc_co_u32_e64 v37, s[8:9], v63, v23, s[8:9]
	v_add_co_u32_e64 v42, s[10:11], 16, v36
	v_add_co_u32_e64 v40, s[8:9], 16, v34
	v_addc_co_u32_e64 v43, s[10:11], 0, v37, s[10:11]
	v_addc_co_u32_e64 v41, s[8:9], 0, v35, s[8:9]
	v_add_co_u32_e64 v44, s[10:11], -16, v36
	v_lshlrev_b64 v[38:39], 3, v[22:23]
	v_cmp_le_i32_e64 s[16:17], s30, v34
	v_cmp_le_i64_e64 s[8:9], s[30:31], v[40:41]
	v_addc_co_u32_e64 v45, s[10:11], -1, v37, s[10:11]
	s_mov_b64 s[20:21], 0
	v_mov_b32_e32 v52, 0
	v_pk_mov_b32 v[46:47], v[18:19], v[18:19] op_sel:[0,1]
	v_pk_mov_b32 v[48:49], v[30:31], v[30:31] op_sel:[0,1]
	;; [unrolled: 1-line block ×3, first 2 shown]
	v_mov_b32_e32 v54, 0
	v_mov_b32_e32 v58, 0
	;; [unrolled: 1-line block ×7, first 2 shown]
	s_branch .LBB88_7
.LBB88_6:                               ;   in Loop: Header=BB88_7 Depth=2
	s_or_b64 exec, exec, s[10:11]
	s_waitcnt lgkmcnt(0)
	s_barrier
	ds_read2_b64 v[68:71], v55 offset1:32
	ds_read_b128 v[72:75], v15
	ds_read_b128 v[8:11], v15 offset:16
	ds_read_b128 v[4:7], v15 offset:32
	;; [unrolled: 1-line block ×3, first 2 shown]
	ds_read2_b64 v[76:79], v59 offset1:32
	s_waitcnt lgkmcnt(4)
	v_mul_f32_e32 v23, v73, v69
	v_fma_f32 v23, v72, v68, -v23
	v_mul_f32_e32 v33, v72, v69
	v_fmac_f32_e32 v33, v73, v68
	v_add_f32_e32 v23, v64, v23
	s_waitcnt lgkmcnt(0)
	v_mul_f32_e32 v64, v73, v77
	v_add_f32_e32 v33, v66, v33
	v_fma_f32 v80, v72, v76, -v64
	ds_read_b128 v[64:67], v15 offset:4096
	v_mul_f32_e32 v72, v72, v77
	v_fmac_f32_e32 v72, v73, v76
	v_add_f32_e32 v60, v60, v80
	ds_read_b128 v[80:83], v15 offset:4112
	v_add_f32_e32 v62, v62, v72
	s_waitcnt lgkmcnt(1)
	v_mul_f32_e32 v72, v65, v69
	v_mul_f32_e32 v69, v64, v69
	v_fma_f32 v72, v64, v68, -v72
	v_fmac_f32_e32 v69, v65, v68
	v_mul_f32_e32 v68, v65, v77
	v_fma_f32 v68, v64, v76, -v68
	v_mul_f32_e32 v64, v64, v77
	v_fmac_f32_e32 v64, v65, v76
	v_add_f32_e32 v52, v52, v64
	v_mul_f32_e32 v64, v75, v71
	v_mul_f32_e32 v65, v74, v71
	v_fma_f32 v64, v74, v70, -v64
	v_fmac_f32_e32 v65, v75, v70
	v_add_f32_e32 v23, v23, v64
	v_add_f32_e32 v33, v33, v65
	v_mul_f32_e32 v64, v75, v79
	v_mul_f32_e32 v65, v74, v79
	v_fma_f32 v64, v74, v78, -v64
	v_fmac_f32_e32 v65, v75, v78
	v_add_f32_e32 v60, v60, v64
	v_add_f32_e32 v62, v62, v65
	v_mul_f32_e32 v64, v67, v71
	v_mul_f32_e32 v65, v66, v71
	v_add_f32_e32 v58, v58, v69
	v_add_f32_e32 v54, v54, v68
	v_fma_f32 v64, v66, v70, -v64
	v_fmac_f32_e32 v65, v67, v70
	ds_read2_b64 v[68:71], v55 offset0:64 offset1:96
	v_add_f32_e32 v56, v56, v72
	v_add_f32_e32 v56, v56, v64
	v_mul_f32_e32 v64, v67, v79
	v_add_f32_e32 v58, v58, v65
	v_fma_f32 v64, v66, v78, -v64
	v_mul_f32_e32 v65, v66, v79
	v_fmac_f32_e32 v65, v67, v78
	v_add_f32_e32 v54, v54, v64
	s_waitcnt lgkmcnt(0)
	v_mul_f32_e32 v64, v9, v69
	v_add_f32_e32 v52, v52, v65
	v_fma_f32 v72, v8, v68, -v64
	ds_read2_b64 v[64:67], v59 offset0:64 offset1:96
	v_add_f32_e32 v23, v23, v72
	v_mul_f32_e32 v73, v8, v69
	v_fmac_f32_e32 v73, v9, v68
	v_add_f32_e32 v33, v33, v73
	s_waitcnt lgkmcnt(0)
	v_mul_f32_e32 v72, v9, v65
	v_fma_f32 v72, v8, v64, -v72
	v_mul_f32_e32 v8, v8, v65
	v_fmac_f32_e32 v8, v9, v64
	v_add_f32_e32 v9, v60, v72
	v_mul_f32_e32 v60, v81, v69
	v_fma_f32 v60, v80, v68, -v60
	v_add_f32_e32 v56, v56, v60
	v_mul_f32_e32 v60, v81, v65
	v_add_f32_e32 v8, v62, v8
	v_mul_f32_e32 v62, v80, v69
	v_fma_f32 v60, v80, v64, -v60
	v_fmac_f32_e32 v62, v81, v68
	v_add_f32_e32 v54, v54, v60
	v_mul_f32_e32 v60, v11, v71
	v_add_f32_e32 v58, v58, v62
	v_mul_f32_e32 v62, v80, v65
	v_fma_f32 v60, v10, v70, -v60
	v_fmac_f32_e32 v62, v81, v64
	v_add_f32_e32 v23, v23, v60
	v_mul_f32_e32 v60, v11, v67
	v_add_f32_e32 v52, v52, v62
	v_mul_f32_e32 v62, v10, v71
	v_fma_f32 v60, v10, v66, -v60
	v_mul_f32_e32 v10, v10, v67
	v_fmac_f32_e32 v62, v11, v70
	v_fmac_f32_e32 v10, v11, v66
	v_add_f32_e32 v33, v33, v62
	v_add_f32_e32 v62, v8, v10
	v_mul_f32_e32 v8, v83, v71
	v_add_f32_e32 v60, v9, v60
	v_fma_f32 v8, v82, v70, -v8
	v_mul_f32_e32 v9, v82, v71
	v_fmac_f32_e32 v9, v83, v70
	v_add_f32_e32 v56, v56, v8
	v_mul_f32_e32 v8, v83, v67
	v_add_f32_e32 v58, v58, v9
	v_fma_f32 v64, v82, v66, -v8
	ds_read2_b64 v[8:11], v55 offset0:128 offset1:160
	v_mul_f32_e32 v65, v82, v67
	v_fmac_f32_e32 v65, v83, v66
	v_add_f32_e32 v54, v54, v64
	v_add_f32_e32 v52, v52, v65
	s_waitcnt lgkmcnt(0)
	v_mul_f32_e32 v64, v5, v9
	v_fma_f32 v68, v4, v8, -v64
	ds_read2_b64 v[64:67], v59 offset0:128 offset1:160
	v_mul_f32_e32 v69, v4, v9
	v_fmac_f32_e32 v69, v5, v8
	v_add_f32_e32 v23, v23, v68
	v_add_f32_e32 v33, v33, v69
	s_waitcnt lgkmcnt(0)
	v_mul_f32_e32 v68, v5, v65
	v_fma_f32 v72, v4, v64, -v68
	ds_read_b128 v[68:71], v15 offset:4128
	v_mul_f32_e32 v4, v4, v65
	v_fmac_f32_e32 v4, v5, v64
	v_add_f32_e32 v5, v60, v72
	ds_read_b128 v[72:75], v15 offset:4144
	s_waitcnt lgkmcnt(1)
	v_mul_f32_e32 v60, v69, v9
	v_fma_f32 v60, v68, v8, -v60
	v_mul_f32_e32 v9, v68, v9
	v_fmac_f32_e32 v9, v69, v8
	v_add_f32_e32 v8, v56, v60
	v_mul_f32_e32 v56, v69, v65
	v_fma_f32 v56, v68, v64, -v56
	v_add_f32_e32 v54, v54, v56
	v_mul_f32_e32 v56, v7, v11
	v_add_f32_e32 v9, v58, v9
	v_mul_f32_e32 v58, v68, v65
	v_fma_f32 v56, v6, v10, -v56
	v_fmac_f32_e32 v58, v69, v64
	v_add_f32_e32 v23, v23, v56
	v_mul_f32_e32 v56, v7, v67
	v_add_f32_e32 v52, v52, v58
	v_mul_f32_e32 v58, v6, v11
	v_fma_f32 v56, v6, v66, -v56
	v_mul_f32_e32 v6, v6, v67
	v_add_f32_e32 v4, v62, v4
	v_fmac_f32_e32 v58, v7, v10
	v_fmac_f32_e32 v6, v7, v66
	v_add_f32_e32 v33, v33, v58
	v_add_f32_e32 v58, v4, v6
	v_mul_f32_e32 v4, v71, v11
	v_add_f32_e32 v56, v5, v56
	v_fma_f32 v4, v70, v10, -v4
	v_mul_f32_e32 v5, v70, v11
	v_fmac_f32_e32 v5, v71, v10
	v_add_f32_e32 v60, v8, v4
	v_mul_f32_e32 v4, v71, v67
	v_add_f32_e32 v62, v9, v5
	v_fma_f32 v8, v70, v66, -v4
	ds_read2_b64 v[4:7], v55 offset0:192 offset1:224
	v_mul_f32_e32 v9, v70, v67
	v_fmac_f32_e32 v9, v71, v66
	v_add_f32_e32 v54, v54, v8
	v_add_f32_e32 v52, v52, v9
	s_waitcnt lgkmcnt(0)
	v_mul_f32_e32 v8, v1, v5
	v_fma_f32 v64, v0, v4, -v8
	ds_read2_b64 v[8:11], v59 offset0:192 offset1:224
	v_add_f32_e32 v23, v23, v64
	v_mul_f32_e32 v65, v0, v5
	v_fmac_f32_e32 v65, v1, v4
	v_add_f32_e32 v33, v33, v65
	s_waitcnt lgkmcnt(0)
	v_mul_f32_e32 v64, v1, v9
	v_fma_f32 v64, v0, v8, -v64
	v_mul_f32_e32 v0, v0, v9
	v_fmac_f32_e32 v0, v1, v8
	v_add_f32_e32 v1, v56, v64
	v_mul_f32_e32 v56, v73, v5
	v_fma_f32 v56, v72, v4, -v56
	v_mul_f32_e32 v5, v72, v5
	v_fmac_f32_e32 v5, v73, v4
	v_add_f32_e32 v4, v60, v56
	v_mul_f32_e32 v56, v73, v9
	v_mul_f32_e32 v9, v72, v9
	v_fma_f32 v56, v72, v8, -v56
	v_fmac_f32_e32 v9, v73, v8
	v_mul_f32_e32 v8, v3, v7
	v_fma_f32 v8, v2, v6, -v8
	v_add_f32_e32 v23, v23, v8
	v_mul_f32_e32 v8, v3, v11
	v_add_f32_e32 v52, v52, v9
	v_mul_f32_e32 v9, v2, v7
	v_fma_f32 v8, v2, v10, -v8
	v_mul_f32_e32 v2, v2, v11
	v_add_f32_e32 v0, v58, v0
	v_fmac_f32_e32 v2, v3, v10
	v_add_f32_e32 v58, v0, v2
	v_mul_f32_e32 v0, v75, v7
	v_add_f32_e32 v54, v54, v56
	v_add_f32_e32 v56, v1, v8
	v_fma_f32 v0, v74, v6, -v0
	v_mul_f32_e32 v1, v74, v7
	v_add_f32_e32 v5, v62, v5
	v_fmac_f32_e32 v9, v3, v6
	v_fmac_f32_e32 v1, v75, v6
	v_add_f32_e32 v60, v4, v0
	v_mul_f32_e32 v0, v75, v11
	v_add_u32_e32 v4, 0x800, v55
	v_add_f32_e32 v33, v33, v9
	v_add_f32_e32 v62, v5, v1
	v_fma_f32 v5, v74, v10, -v0
	ds_read2_b64 v[0:3], v4 offset1:32
	ds_read_b128 v[6:9], v15 offset:64
	v_mul_f32_e32 v11, v74, v11
	v_fmac_f32_e32 v11, v75, v10
	v_add_f32_e32 v10, v54, v5
	v_add_f32_e32 v11, v52, v11
	s_waitcnt lgkmcnt(0)
	v_mul_f32_e32 v5, v7, v1
	v_fma_f32 v52, v6, v0, -v5
	v_add_u32_e32 v5, 0x800, v59
	ds_read2_b64 v[68:71], v5 offset1:32
	ds_read_b128 v[64:67], v15 offset:80
	ds_read_b128 v[72:75], v15 offset:4160
	v_add_f32_e32 v23, v23, v52
	v_mul_f32_e32 v54, v6, v1
	s_waitcnt lgkmcnt(2)
	v_mul_f32_e32 v52, v7, v69
	v_fma_f32 v52, v6, v68, -v52
	v_mul_f32_e32 v6, v6, v69
	v_fmac_f32_e32 v54, v7, v0
	v_fmac_f32_e32 v6, v7, v68
	v_add_f32_e32 v7, v56, v52
	s_waitcnt lgkmcnt(0)
	v_mul_f32_e32 v52, v73, v1
	v_fma_f32 v52, v72, v0, -v52
	v_mul_f32_e32 v1, v72, v1
	v_fmac_f32_e32 v1, v73, v0
	v_add_f32_e32 v0, v60, v52
	v_mul_f32_e32 v52, v73, v69
	v_fma_f32 v52, v72, v68, -v52
	v_add_f32_e32 v10, v10, v52
	v_mul_f32_e32 v52, v9, v3
	v_add_f32_e32 v33, v33, v54
	v_mul_f32_e32 v54, v72, v69
	v_fma_f32 v52, v8, v2, -v52
	v_fmac_f32_e32 v54, v73, v68
	v_add_f32_e32 v23, v23, v52
	v_mul_f32_e32 v52, v9, v71
	v_add_f32_e32 v11, v11, v54
	v_mul_f32_e32 v54, v8, v3
	v_fma_f32 v52, v8, v70, -v52
	v_mul_f32_e32 v8, v8, v71
	v_add_f32_e32 v6, v58, v6
	v_fmac_f32_e32 v54, v9, v2
	v_fmac_f32_e32 v8, v9, v70
	v_add_f32_e32 v33, v33, v54
	v_add_f32_e32 v54, v6, v8
	v_mul_f32_e32 v6, v75, v3
	v_fma_f32 v6, v74, v2, -v6
	v_mul_f32_e32 v3, v74, v3
	v_add_f32_e32 v1, v62, v1
	v_fmac_f32_e32 v3, v75, v2
	v_add_f32_e32 v56, v0, v6
	v_mul_f32_e32 v0, v75, v71
	v_add_f32_e32 v58, v1, v3
	v_fma_f32 v6, v74, v70, -v0
	ds_read2_b64 v[0:3], v4 offset0:64 offset1:96
	v_add_f32_e32 v52, v7, v52
	v_mul_f32_e32 v7, v74, v71
	v_fmac_f32_e32 v7, v75, v70
	v_add_f32_e32 v10, v10, v6
	s_waitcnt lgkmcnt(0)
	v_mul_f32_e32 v6, v65, v1
	v_add_f32_e32 v11, v11, v7
	v_fma_f32 v60, v64, v0, -v6
	ds_read2_b64 v[6:9], v5 offset0:64 offset1:96
	ds_read_b128 v[76:79], v15 offset:4176
	v_add_f32_e32 v23, v23, v60
	v_mul_f32_e32 v62, v64, v1
	v_fmac_f32_e32 v62, v65, v0
	s_waitcnt lgkmcnt(1)
	v_mul_f32_e32 v60, v65, v7
	v_fma_f32 v60, v64, v6, -v60
	v_add_f32_e32 v52, v52, v60
	s_waitcnt lgkmcnt(0)
	v_mul_f32_e32 v60, v77, v1
	v_fma_f32 v60, v76, v0, -v60
	v_mul_f32_e32 v1, v76, v1
	v_fmac_f32_e32 v1, v77, v0
	v_add_f32_e32 v0, v56, v60
	v_mul_f32_e32 v56, v77, v7
	v_add_f32_e32 v33, v33, v62
	v_mul_f32_e32 v62, v64, v7
	v_fma_f32 v56, v76, v6, -v56
	v_mul_f32_e32 v7, v76, v7
	v_fmac_f32_e32 v62, v65, v6
	v_fmac_f32_e32 v7, v77, v6
	v_add_f32_e32 v6, v10, v56
	v_mul_f32_e32 v10, v67, v3
	v_fma_f32 v10, v66, v2, -v10
	v_add_f32_e32 v10, v23, v10
	v_mul_f32_e32 v23, v67, v9
	v_add_f32_e32 v7, v11, v7
	v_mul_f32_e32 v11, v66, v3
	v_fma_f32 v23, v66, v8, -v23
	v_fmac_f32_e32 v11, v67, v2
	v_add_f32_e32 v23, v52, v23
	v_mul_f32_e32 v52, v79, v3
	v_add_f32_e32 v11, v33, v11
	v_mul_f32_e32 v33, v66, v9
	v_fma_f32 v52, v78, v2, -v52
	v_mul_f32_e32 v3, v78, v3
	v_add_f32_e32 v54, v54, v62
	v_add_f32_e32 v1, v58, v1
	v_fmac_f32_e32 v33, v67, v8
	v_fmac_f32_e32 v3, v79, v2
	v_add_f32_e32 v52, v0, v52
	v_mul_f32_e32 v0, v79, v9
	v_add_f32_e32 v33, v54, v33
	v_add_f32_e32 v54, v1, v3
	v_fma_f32 v56, v78, v8, -v0
	ds_read2_b64 v[0:3], v4 offset0:128 offset1:160
	ds_read_b128 v[64:67], v15 offset:96
	v_mul_f32_e32 v9, v78, v9
	ds_read2_b64 v[68:71], v5 offset0:128 offset1:160
	v_fmac_f32_e32 v9, v79, v8
	v_add_f32_e32 v56, v6, v56
	v_add_f32_e32 v58, v7, v9
	ds_read_b128 v[6:9], v15 offset:112
	ds_read_b128 v[72:75], v15 offset:4192
	s_waitcnt lgkmcnt(3)
	v_mul_f32_e32 v60, v65, v1
	v_fma_f32 v60, v64, v0, -v60
	v_add_f32_e32 v10, v10, v60
	s_waitcnt lgkmcnt(2)
	v_mul_f32_e32 v60, v65, v69
	v_fma_f32 v60, v64, v68, -v60
	v_add_f32_e32 v23, v23, v60
	s_waitcnt lgkmcnt(0)
	v_mul_f32_e32 v60, v73, v1
	v_mul_f32_e32 v62, v64, v1
	v_fma_f32 v60, v72, v0, -v60
	v_mul_f32_e32 v1, v72, v1
	v_fmac_f32_e32 v62, v65, v0
	v_fmac_f32_e32 v1, v73, v0
	v_add_f32_e32 v0, v52, v60
	v_mul_f32_e32 v52, v73, v69
	v_fma_f32 v52, v72, v68, -v52
	v_add_f32_e32 v52, v56, v52
	v_mul_f32_e32 v56, v67, v3
	v_add_f32_e32 v1, v54, v1
	v_mul_f32_e32 v54, v72, v69
	v_fma_f32 v56, v66, v2, -v56
	v_fmac_f32_e32 v54, v73, v68
	v_add_f32_e32 v10, v10, v56
	v_mul_f32_e32 v56, v67, v71
	v_add_f32_e32 v54, v58, v54
	v_mul_f32_e32 v58, v66, v3
	v_fma_f32 v56, v66, v70, -v56
	v_add_f32_e32 v11, v11, v62
	v_mul_f32_e32 v62, v64, v69
	v_fmac_f32_e32 v58, v67, v2
	v_add_f32_e32 v23, v23, v56
	v_mul_f32_e32 v56, v75, v3
	v_fmac_f32_e32 v62, v65, v68
	v_add_f32_e32 v11, v11, v58
	v_mul_f32_e32 v58, v66, v71
	v_fma_f32 v56, v74, v2, -v56
	v_mul_f32_e32 v3, v74, v3
	v_add_f32_e32 v33, v33, v62
	v_fmac_f32_e32 v58, v67, v70
	v_fmac_f32_e32 v3, v75, v2
	v_add_f32_e32 v56, v0, v56
	v_mul_f32_e32 v0, v75, v71
	v_add_f32_e32 v33, v33, v58
	v_add_f32_e32 v58, v1, v3
	v_fma_f32 v60, v74, v70, -v0
	ds_read2_b64 v[0:3], v4 offset0:192 offset1:224
	ds_read2_b64 v[64:67], v5 offset0:192 offset1:224
	ds_read_b128 v[76:79], v15 offset:4208
	v_mul_f32_e32 v4, v74, v71
	v_fmac_f32_e32 v4, v75, v70
	s_waitcnt lgkmcnt(2)
	v_mul_f32_e32 v5, v6, v1
	v_fmac_f32_e32 v5, v7, v0
	v_add_f32_e32 v4, v54, v4
	v_mul_f32_e32 v54, v7, v1
	v_add_f32_e32 v5, v11, v5
	s_waitcnt lgkmcnt(1)
	v_mul_f32_e32 v11, v7, v65
	v_fma_f32 v54, v6, v0, -v54
	v_fma_f32 v11, v6, v64, -v11
	v_mul_f32_e32 v6, v6, v65
	v_fmac_f32_e32 v6, v7, v64
	v_add_f32_e32 v7, v23, v11
	s_waitcnt lgkmcnt(0)
	v_mul_f32_e32 v23, v76, v65
	v_fmac_f32_e32 v23, v77, v64
	v_mul_f32_e32 v11, v77, v1
	v_add_f32_e32 v23, v4, v23
	v_mul_f32_e32 v4, v9, v3
	v_add_f32_e32 v10, v10, v54
	v_fma_f32 v11, v76, v0, -v11
	v_mul_f32_e32 v1, v76, v1
	v_fma_f32 v4, v8, v2, -v4
	v_fmac_f32_e32 v1, v77, v0
	v_add_f32_e32 v0, v56, v11
	v_mul_f32_e32 v11, v77, v65
	v_add_f32_e32 v10, v10, v4
	v_mul_f32_e32 v4, v9, v67
	v_add_f32_e32 v52, v52, v60
	v_add_f32_e32 v6, v33, v6
	v_fma_f32 v11, v76, v64, -v11
	v_mul_f32_e32 v33, v8, v3
	v_fma_f32 v4, v8, v66, -v4
	v_add_f32_e32 v11, v52, v11
	v_fmac_f32_e32 v33, v9, v2
	v_add_f32_e32 v52, v7, v4
	v_mul_f32_e32 v4, v79, v3
	v_add_f32_e32 v33, v5, v33
	v_mul_f32_e32 v5, v8, v67
	v_fma_f32 v4, v78, v2, -v4
	v_mul_f32_e32 v3, v78, v3
	v_add_f32_e32 v1, v58, v1
	v_fmac_f32_e32 v5, v9, v66
	v_fmac_f32_e32 v3, v79, v2
	v_add_f32_e32 v56, v0, v4
	v_mul_f32_e32 v0, v79, v67
	v_add_u32_e32 v4, 0x1000, v55
	v_add_f32_e32 v54, v6, v5
	v_add_f32_e32 v58, v1, v3
	v_fma_f32 v5, v78, v66, -v0
	ds_read2_b64 v[0:3], v4 offset1:32
	ds_read_b128 v[6:9], v15 offset:128
	v_mul_f32_e32 v60, v78, v67
	v_fmac_f32_e32 v60, v79, v66
	v_add_f32_e32 v11, v11, v5
	v_add_f32_e32 v23, v23, v60
	s_waitcnt lgkmcnt(0)
	v_mul_f32_e32 v5, v7, v1
	v_fma_f32 v60, v6, v0, -v5
	v_add_u32_e32 v5, 0x1000, v59
	ds_read2_b64 v[68:71], v5 offset1:32
	ds_read_b128 v[64:67], v15 offset:144
	ds_read_b128 v[72:75], v15 offset:4224
	v_add_f32_e32 v10, v10, v60
	v_mul_f32_e32 v62, v6, v1
	s_waitcnt lgkmcnt(2)
	v_mul_f32_e32 v60, v7, v69
	v_fma_f32 v60, v6, v68, -v60
	v_mul_f32_e32 v6, v6, v69
	v_fmac_f32_e32 v62, v7, v0
	v_fmac_f32_e32 v6, v7, v68
	v_add_f32_e32 v7, v52, v60
	s_waitcnt lgkmcnt(0)
	v_mul_f32_e32 v52, v73, v1
	v_fma_f32 v52, v72, v0, -v52
	v_mul_f32_e32 v1, v72, v1
	v_fmac_f32_e32 v1, v73, v0
	v_add_f32_e32 v0, v56, v52
	v_mul_f32_e32 v52, v73, v69
	v_fma_f32 v52, v72, v68, -v52
	v_add_f32_e32 v11, v11, v52
	v_mul_f32_e32 v52, v9, v3
	v_add_f32_e32 v6, v54, v6
	v_mul_f32_e32 v54, v72, v69
	v_fma_f32 v52, v8, v2, -v52
	v_fmac_f32_e32 v54, v73, v68
	v_add_f32_e32 v10, v10, v52
	v_mul_f32_e32 v52, v9, v71
	v_add_f32_e32 v23, v23, v54
	v_mul_f32_e32 v54, v8, v3
	v_fma_f32 v52, v8, v70, -v52
	v_mul_f32_e32 v8, v8, v71
	v_add_f32_e32 v33, v33, v62
	v_fmac_f32_e32 v54, v9, v2
	v_fmac_f32_e32 v8, v9, v70
	v_add_f32_e32 v33, v33, v54
	v_add_f32_e32 v54, v6, v8
	v_mul_f32_e32 v6, v75, v3
	v_fma_f32 v6, v74, v2, -v6
	v_mul_f32_e32 v3, v74, v3
	v_add_f32_e32 v1, v58, v1
	v_fmac_f32_e32 v3, v75, v2
	v_add_f32_e32 v56, v0, v6
	v_mul_f32_e32 v0, v75, v71
	v_add_f32_e32 v58, v1, v3
	v_fma_f32 v6, v74, v70, -v0
	ds_read2_b64 v[0:3], v4 offset0:64 offset1:96
	v_add_f32_e32 v52, v7, v52
	v_mul_f32_e32 v7, v74, v71
	v_fmac_f32_e32 v7, v75, v70
	v_add_f32_e32 v11, v11, v6
	s_waitcnt lgkmcnt(0)
	v_mul_f32_e32 v6, v65, v1
	v_add_f32_e32 v23, v23, v7
	v_fma_f32 v60, v64, v0, -v6
	ds_read2_b64 v[6:9], v5 offset0:64 offset1:96
	ds_read_b128 v[76:79], v15 offset:4240
	v_add_f32_e32 v10, v10, v60
	v_mul_f32_e32 v62, v64, v1
	v_fmac_f32_e32 v62, v65, v0
	s_waitcnt lgkmcnt(1)
	v_mul_f32_e32 v60, v65, v7
	v_fma_f32 v60, v64, v6, -v60
	v_add_f32_e32 v52, v52, v60
	s_waitcnt lgkmcnt(0)
	v_mul_f32_e32 v60, v77, v1
	v_fma_f32 v60, v76, v0, -v60
	v_mul_f32_e32 v1, v76, v1
	v_add_f32_e32 v33, v33, v62
	v_mul_f32_e32 v62, v64, v7
	v_fmac_f32_e32 v1, v77, v0
	v_add_f32_e32 v0, v56, v60
	v_mul_f32_e32 v56, v77, v7
	v_mul_f32_e32 v7, v76, v7
	v_fma_f32 v56, v76, v6, -v56
	v_fmac_f32_e32 v7, v77, v6
	v_fmac_f32_e32 v62, v65, v6
	v_add_f32_e32 v6, v11, v56
	v_add_f32_e32 v7, v23, v7
	v_mul_f32_e32 v11, v67, v3
	v_mul_f32_e32 v23, v66, v3
	v_fma_f32 v11, v66, v2, -v11
	v_fmac_f32_e32 v23, v67, v2
	v_add_f32_e32 v10, v10, v11
	v_add_f32_e32 v11, v33, v23
	v_mul_f32_e32 v23, v67, v9
	v_fma_f32 v23, v66, v8, -v23
	v_add_f32_e32 v23, v52, v23
	v_mul_f32_e32 v52, v79, v3
	v_mul_f32_e32 v33, v66, v9
	v_fma_f32 v52, v78, v2, -v52
	v_mul_f32_e32 v3, v78, v3
	v_add_f32_e32 v54, v54, v62
	v_add_f32_e32 v1, v58, v1
	v_fmac_f32_e32 v33, v67, v8
	v_fmac_f32_e32 v3, v79, v2
	v_add_f32_e32 v52, v0, v52
	v_mul_f32_e32 v0, v79, v9
	v_add_f32_e32 v33, v54, v33
	v_add_f32_e32 v54, v1, v3
	v_fma_f32 v56, v78, v8, -v0
	ds_read2_b64 v[0:3], v4 offset0:128 offset1:160
	ds_read_b128 v[64:67], v15 offset:160
	v_mul_f32_e32 v9, v78, v9
	ds_read2_b64 v[68:71], v5 offset0:128 offset1:160
	v_fmac_f32_e32 v9, v79, v8
	v_add_f32_e32 v56, v6, v56
	v_add_f32_e32 v58, v7, v9
	ds_read_b128 v[6:9], v15 offset:176
	ds_read_b128 v[72:75], v15 offset:4256
	s_waitcnt lgkmcnt(3)
	v_mul_f32_e32 v60, v65, v1
	v_fma_f32 v60, v64, v0, -v60
	v_add_f32_e32 v10, v10, v60
	s_waitcnt lgkmcnt(2)
	v_mul_f32_e32 v60, v65, v69
	v_fma_f32 v60, v64, v68, -v60
	v_add_f32_e32 v23, v23, v60
	s_waitcnt lgkmcnt(0)
	v_mul_f32_e32 v60, v73, v1
	v_mul_f32_e32 v62, v64, v1
	v_fma_f32 v60, v72, v0, -v60
	v_mul_f32_e32 v1, v72, v1
	v_fmac_f32_e32 v62, v65, v0
	v_fmac_f32_e32 v1, v73, v0
	v_add_f32_e32 v0, v52, v60
	v_mul_f32_e32 v52, v73, v69
	v_fma_f32 v52, v72, v68, -v52
	v_add_f32_e32 v52, v56, v52
	v_mul_f32_e32 v56, v67, v3
	v_add_f32_e32 v1, v54, v1
	v_mul_f32_e32 v54, v72, v69
	v_fma_f32 v56, v66, v2, -v56
	v_fmac_f32_e32 v54, v73, v68
	v_add_f32_e32 v10, v10, v56
	v_mul_f32_e32 v56, v67, v71
	v_add_f32_e32 v54, v58, v54
	v_mul_f32_e32 v58, v66, v3
	v_fma_f32 v56, v66, v70, -v56
	v_add_f32_e32 v11, v11, v62
	v_mul_f32_e32 v62, v64, v69
	v_fmac_f32_e32 v58, v67, v2
	v_add_f32_e32 v23, v23, v56
	v_mul_f32_e32 v56, v75, v3
	v_fmac_f32_e32 v62, v65, v68
	v_add_f32_e32 v11, v11, v58
	v_mul_f32_e32 v58, v66, v71
	v_fma_f32 v56, v74, v2, -v56
	v_mul_f32_e32 v3, v74, v3
	v_add_f32_e32 v33, v33, v62
	v_fmac_f32_e32 v58, v67, v70
	v_fmac_f32_e32 v3, v75, v2
	v_add_f32_e32 v56, v0, v56
	v_mul_f32_e32 v0, v75, v71
	v_add_f32_e32 v33, v33, v58
	v_add_f32_e32 v58, v1, v3
	v_fma_f32 v60, v74, v70, -v0
	ds_read2_b64 v[0:3], v4 offset0:192 offset1:224
	ds_read2_b64 v[64:67], v5 offset0:192 offset1:224
	ds_read_b128 v[76:79], v15 offset:4272
	v_mul_f32_e32 v4, v74, v71
	v_fmac_f32_e32 v4, v75, v70
	s_waitcnt lgkmcnt(2)
	v_mul_f32_e32 v5, v6, v1
	v_fmac_f32_e32 v5, v7, v0
	v_add_f32_e32 v4, v54, v4
	v_mul_f32_e32 v54, v7, v1
	v_add_f32_e32 v5, v11, v5
	s_waitcnt lgkmcnt(1)
	v_mul_f32_e32 v11, v7, v65
	v_fma_f32 v54, v6, v0, -v54
	v_fma_f32 v11, v6, v64, -v11
	v_mul_f32_e32 v6, v6, v65
	v_fmac_f32_e32 v6, v7, v64
	v_add_f32_e32 v7, v23, v11
	s_waitcnt lgkmcnt(0)
	v_mul_f32_e32 v23, v76, v65
	v_fmac_f32_e32 v23, v77, v64
	v_mul_f32_e32 v11, v77, v1
	v_add_f32_e32 v23, v4, v23
	v_mul_f32_e32 v4, v9, v3
	v_add_f32_e32 v10, v10, v54
	v_fma_f32 v11, v76, v0, -v11
	v_mul_f32_e32 v1, v76, v1
	v_fma_f32 v4, v8, v2, -v4
	v_fmac_f32_e32 v1, v77, v0
	v_add_f32_e32 v0, v56, v11
	v_mul_f32_e32 v11, v77, v65
	v_add_f32_e32 v10, v10, v4
	v_mul_f32_e32 v4, v9, v67
	v_add_f32_e32 v52, v52, v60
	v_add_f32_e32 v6, v33, v6
	v_fma_f32 v11, v76, v64, -v11
	v_mul_f32_e32 v33, v8, v3
	v_fma_f32 v4, v8, v66, -v4
	v_add_f32_e32 v11, v52, v11
	v_fmac_f32_e32 v33, v9, v2
	v_add_f32_e32 v52, v7, v4
	v_mul_f32_e32 v4, v79, v3
	v_add_f32_e32 v33, v5, v33
	v_mul_f32_e32 v5, v8, v67
	v_fma_f32 v4, v78, v2, -v4
	v_mul_f32_e32 v3, v78, v3
	v_add_f32_e32 v1, v58, v1
	v_fmac_f32_e32 v5, v9, v66
	v_fmac_f32_e32 v3, v79, v2
	v_add_f32_e32 v56, v0, v4
	v_mul_f32_e32 v0, v79, v67
	v_add_u32_e32 v4, 0x1800, v55
	v_add_f32_e32 v54, v6, v5
	v_add_f32_e32 v58, v1, v3
	v_fma_f32 v5, v78, v66, -v0
	ds_read2_b64 v[0:3], v4 offset1:32
	ds_read_b128 v[6:9], v15 offset:192
	v_mul_f32_e32 v60, v78, v67
	v_fmac_f32_e32 v60, v79, v66
	v_add_f32_e32 v11, v11, v5
	v_add_f32_e32 v23, v23, v60
	s_waitcnt lgkmcnt(0)
	v_mul_f32_e32 v5, v7, v1
	v_fma_f32 v60, v6, v0, -v5
	v_add_u32_e32 v5, 0x1800, v59
	ds_read2_b64 v[68:71], v5 offset1:32
	ds_read_b128 v[64:67], v15 offset:208
	ds_read_b128 v[72:75], v15 offset:4288
	v_add_f32_e32 v10, v10, v60
	v_mul_f32_e32 v62, v6, v1
	s_waitcnt lgkmcnt(2)
	v_mul_f32_e32 v60, v7, v69
	v_fma_f32 v60, v6, v68, -v60
	v_mul_f32_e32 v6, v6, v69
	v_fmac_f32_e32 v62, v7, v0
	v_fmac_f32_e32 v6, v7, v68
	v_add_f32_e32 v7, v52, v60
	s_waitcnt lgkmcnt(0)
	v_mul_f32_e32 v52, v73, v1
	v_fma_f32 v52, v72, v0, -v52
	v_mul_f32_e32 v1, v72, v1
	v_fmac_f32_e32 v1, v73, v0
	v_add_f32_e32 v0, v56, v52
	v_mul_f32_e32 v52, v73, v69
	v_fma_f32 v52, v72, v68, -v52
	v_add_f32_e32 v11, v11, v52
	v_mul_f32_e32 v52, v9, v3
	v_add_f32_e32 v6, v54, v6
	v_mul_f32_e32 v54, v72, v69
	v_fma_f32 v52, v8, v2, -v52
	v_fmac_f32_e32 v54, v73, v68
	v_add_f32_e32 v10, v10, v52
	v_mul_f32_e32 v52, v9, v71
	v_add_f32_e32 v23, v23, v54
	v_mul_f32_e32 v54, v8, v3
	v_fma_f32 v52, v8, v70, -v52
	v_mul_f32_e32 v8, v8, v71
	v_add_f32_e32 v33, v33, v62
	v_fmac_f32_e32 v54, v9, v2
	v_fmac_f32_e32 v8, v9, v70
	v_add_f32_e32 v33, v33, v54
	v_add_f32_e32 v54, v6, v8
	v_mul_f32_e32 v6, v75, v3
	v_fma_f32 v6, v74, v2, -v6
	v_mul_f32_e32 v3, v74, v3
	v_add_f32_e32 v1, v58, v1
	v_fmac_f32_e32 v3, v75, v2
	v_add_f32_e32 v56, v0, v6
	v_mul_f32_e32 v0, v75, v71
	v_add_f32_e32 v58, v1, v3
	v_fma_f32 v6, v74, v70, -v0
	ds_read2_b64 v[0:3], v4 offset0:64 offset1:96
	v_add_f32_e32 v52, v7, v52
	v_mul_f32_e32 v7, v74, v71
	v_fmac_f32_e32 v7, v75, v70
	v_add_f32_e32 v11, v11, v6
	s_waitcnt lgkmcnt(0)
	v_mul_f32_e32 v6, v65, v1
	v_add_f32_e32 v23, v23, v7
	v_fma_f32 v60, v64, v0, -v6
	ds_read2_b64 v[6:9], v5 offset0:64 offset1:96
	ds_read_b128 v[76:79], v15 offset:4304
	v_add_f32_e32 v10, v10, v60
	v_mul_f32_e32 v62, v64, v1
	v_fmac_f32_e32 v62, v65, v0
	s_waitcnt lgkmcnt(1)
	v_mul_f32_e32 v60, v65, v7
	v_fma_f32 v60, v64, v6, -v60
	v_add_f32_e32 v52, v52, v60
	s_waitcnt lgkmcnt(0)
	v_mul_f32_e32 v60, v77, v1
	v_fma_f32 v60, v76, v0, -v60
	v_mul_f32_e32 v1, v76, v1
	v_add_f32_e32 v33, v33, v62
	v_mul_f32_e32 v62, v64, v7
	v_fmac_f32_e32 v1, v77, v0
	v_add_f32_e32 v0, v56, v60
	v_mul_f32_e32 v56, v77, v7
	v_mul_f32_e32 v7, v76, v7
	v_fma_f32 v56, v76, v6, -v56
	v_fmac_f32_e32 v7, v77, v6
	v_fmac_f32_e32 v62, v65, v6
	v_add_f32_e32 v6, v11, v56
	v_add_f32_e32 v7, v23, v7
	v_mul_f32_e32 v11, v67, v3
	v_mul_f32_e32 v23, v66, v3
	v_fma_f32 v11, v66, v2, -v11
	v_fmac_f32_e32 v23, v67, v2
	v_add_f32_e32 v10, v10, v11
	v_add_f32_e32 v11, v33, v23
	v_mul_f32_e32 v23, v67, v9
	v_fma_f32 v23, v66, v8, -v23
	v_add_f32_e32 v23, v52, v23
	v_mul_f32_e32 v52, v79, v3
	v_mul_f32_e32 v33, v66, v9
	v_fma_f32 v52, v78, v2, -v52
	v_mul_f32_e32 v3, v78, v3
	v_add_f32_e32 v54, v54, v62
	v_add_f32_e32 v1, v58, v1
	v_fmac_f32_e32 v33, v67, v8
	v_fmac_f32_e32 v3, v79, v2
	v_add_f32_e32 v52, v0, v52
	v_mul_f32_e32 v0, v79, v9
	v_add_f32_e32 v33, v54, v33
	v_add_f32_e32 v54, v1, v3
	v_fma_f32 v56, v78, v8, -v0
	ds_read2_b64 v[0:3], v4 offset0:128 offset1:160
	ds_read_b128 v[64:67], v15 offset:224
	v_mul_f32_e32 v9, v78, v9
	ds_read2_b64 v[68:71], v5 offset0:128 offset1:160
	v_fmac_f32_e32 v9, v79, v8
	v_add_f32_e32 v56, v6, v56
	v_add_f32_e32 v58, v7, v9
	ds_read_b128 v[6:9], v15 offset:240
	ds_read_b128 v[72:75], v15 offset:4320
	s_waitcnt lgkmcnt(3)
	v_mul_f32_e32 v60, v65, v1
	v_fma_f32 v60, v64, v0, -v60
	v_add_f32_e32 v10, v10, v60
	s_waitcnt lgkmcnt(2)
	v_mul_f32_e32 v60, v65, v69
	v_fma_f32 v60, v64, v68, -v60
	v_add_f32_e32 v23, v23, v60
	s_waitcnt lgkmcnt(0)
	v_mul_f32_e32 v60, v73, v1
	v_mul_f32_e32 v62, v64, v1
	v_fma_f32 v60, v72, v0, -v60
	v_mul_f32_e32 v1, v72, v1
	v_fmac_f32_e32 v62, v65, v0
	v_fmac_f32_e32 v1, v73, v0
	v_add_f32_e32 v0, v52, v60
	v_mul_f32_e32 v52, v73, v69
	v_fma_f32 v52, v72, v68, -v52
	v_add_f32_e32 v52, v56, v52
	v_mul_f32_e32 v56, v67, v3
	v_add_f32_e32 v1, v54, v1
	v_mul_f32_e32 v54, v72, v69
	v_fma_f32 v56, v66, v2, -v56
	v_fmac_f32_e32 v54, v73, v68
	v_add_f32_e32 v10, v10, v56
	v_mul_f32_e32 v56, v67, v71
	v_add_f32_e32 v54, v58, v54
	v_mul_f32_e32 v58, v66, v3
	v_fma_f32 v56, v66, v70, -v56
	v_add_f32_e32 v11, v11, v62
	v_mul_f32_e32 v62, v64, v69
	v_fmac_f32_e32 v58, v67, v2
	v_add_f32_e32 v23, v23, v56
	v_mul_f32_e32 v56, v75, v3
	v_fmac_f32_e32 v62, v65, v68
	v_add_f32_e32 v11, v11, v58
	v_mul_f32_e32 v58, v66, v71
	v_fma_f32 v56, v74, v2, -v56
	v_mul_f32_e32 v3, v74, v3
	v_add_f32_e32 v33, v33, v62
	v_fmac_f32_e32 v58, v67, v70
	v_fmac_f32_e32 v3, v75, v2
	v_add_f32_e32 v56, v0, v56
	v_mul_f32_e32 v0, v75, v71
	v_add_f32_e32 v33, v33, v58
	v_add_f32_e32 v58, v1, v3
	v_fma_f32 v60, v74, v70, -v0
	ds_read2_b64 v[0:3], v4 offset0:192 offset1:224
	ds_read2_b64 v[66:69], v5 offset0:192 offset1:224
	ds_read_b128 v[76:79], v15 offset:4336
	v_mul_f32_e32 v4, v74, v71
	v_fmac_f32_e32 v4, v75, v70
	s_waitcnt lgkmcnt(2)
	v_mul_f32_e32 v5, v6, v1
	v_fmac_f32_e32 v5, v7, v0
	v_add_f32_e32 v4, v54, v4
	v_mul_f32_e32 v54, v7, v1
	v_add_f32_e32 v5, v11, v5
	s_waitcnt lgkmcnt(1)
	v_mul_f32_e32 v11, v7, v67
	v_fma_f32 v54, v6, v0, -v54
	v_fma_f32 v11, v6, v66, -v11
	v_mul_f32_e32 v6, v6, v67
	v_fmac_f32_e32 v6, v7, v66
	v_add_f32_e32 v7, v23, v11
	s_waitcnt lgkmcnt(0)
	v_mul_f32_e32 v11, v77, v1
	v_add_f32_e32 v6, v33, v6
	v_fma_f32 v11, v76, v0, -v11
	v_mul_f32_e32 v1, v76, v1
	v_mul_f32_e32 v33, v8, v3
	v_fmac_f32_e32 v1, v77, v0
	v_add_f32_e32 v0, v56, v11
	v_mul_f32_e32 v11, v77, v67
	v_mul_f32_e32 v23, v76, v67
	v_fmac_f32_e32 v33, v9, v2
	v_fma_f32 v11, v76, v66, -v11
	v_fmac_f32_e32 v23, v77, v66
	v_add_f32_e32 v66, v5, v33
	v_mul_f32_e32 v5, v9, v69
	v_fma_f32 v5, v8, v68, -v5
	v_add_f32_e32 v52, v52, v60
	v_add_f32_e32 v60, v7, v5
	v_mul_f32_e32 v5, v79, v3
	v_fma_f32 v5, v78, v2, -v5
	v_add_f32_e32 v56, v0, v5
	v_mul_f32_e32 v0, v79, v69
	v_add_f32_e32 v11, v52, v11
	v_fma_f32 v0, v78, v68, -v0
	v_add_f32_e32 v10, v10, v54
	v_add_f32_e32 v54, v11, v0
	v_mov_b32_e32 v0, s43
	v_add_co_u32_e64 v50, s[10:11], s42, v50
	v_add_f32_e32 v4, v4, v23
	v_mul_f32_e32 v23, v9, v3
	v_mul_f32_e32 v3, v78, v3
	v_addc_co_u32_e64 v51, s[10:11], v51, v0, s[10:11]
	v_add_f32_e32 v1, v58, v1
	v_fmac_f32_e32 v3, v79, v2
	v_mov_b32_e32 v0, s41
	v_add_co_u32_e64 v48, s[10:11], s40, v48
	v_fma_f32 v23, v8, v2, -v23
	v_mul_f32_e32 v8, v8, v69
	v_add_f32_e32 v58, v1, v3
	v_mul_f32_e32 v1, v78, v69
	s_add_u32 s20, s20, 32
	v_addc_co_u32_e64 v49, s[10:11], v49, v0, s[10:11]
	v_fmac_f32_e32 v8, v9, v68
	v_fmac_f32_e32 v1, v79, v68
	s_addc_u32 s21, s21, 0
	s_sub_i32 s12, s20, 32
	v_add_co_u32_e64 v46, s[10:11], s40, v46
	v_add_f32_e32 v64, v10, v23
	v_add_f32_e32 v62, v6, v8
	;; [unrolled: 1-line block ×3, first 2 shown]
	s_cmp_ge_i32 s12, s38
	v_addc_co_u32_e64 v47, s[10:11], v47, v0, s[10:11]
	s_barrier
	s_cbranch_scc1 .LBB88_55
.LBB88_7:                               ;   Parent Loop BB88_4 Depth=1
                                        ; =>  This Inner Loop Header: Depth=2
	v_mov_b32_e32 v0, s21
	v_add_co_u32_e64 v2, s[10:11], s20, v14
	v_addc_co_u32_e64 v3, s[10:11], 0, v0, s[10:11]
	v_add_co_u32_e64 v0, s[10:11], v46, v38
	v_addc_co_u32_e64 v1, s[10:11], v47, v39, s[10:11]
	v_cmp_eq_u64_e64 s[10:11], s[20:21], v[36:37]
	s_and_b64 s[26:27], s[22:23], s[10:11]
	v_cmp_gt_i64_e64 s[10:11], v[2:3], v[34:35]
	s_or_b64 s[14:15], s[16:17], s[10:11]
	v_cmp_le_i64_e64 s[12:13], s[30:31], v[2:3]
	s_or_b64 s[14:15], s[14:15], s[26:27]
	s_or_b64 s[14:15], s[12:13], s[14:15]
	s_xor_b64 s[14:15], s[14:15], -1
	s_and_saveexec_b64 s[18:19], s[14:15]
	s_xor_b64 s[14:15], exec, s[18:19]
	s_cbranch_execz .LBB88_9
; %bb.8:                                ;   in Loop: Header=BB88_7 Depth=2
	global_load_dwordx2 v[4:5], v[0:1], off
	s_waitcnt vmcnt(0)
	ds_write_b64 v53, v[4:5]
.LBB88_9:                               ;   in Loop: Header=BB88_7 Depth=2
	s_or_saveexec_b64 s[14:15], s[14:15]
	s_xor_b64 s[24:25], s[26:27], -1
	s_xor_b64 exec, exec, s[14:15]
	s_cbranch_execz .LBB88_15
; %bb.10:                               ;   in Loop: Header=BB88_7 Depth=2
	s_and_saveexec_b64 s[18:19], s[24:25]
	s_xor_b64 s[18:19], exec, s[18:19]
	s_cbranch_execz .LBB88_12
; %bb.11:                               ;   in Loop: Header=BB88_7 Depth=2
	v_mov_b32_e32 v4, v17
	v_mov_b32_e32 v5, v17
	ds_write_b64 v53, v[4:5]
.LBB88_12:                              ;   in Loop: Header=BB88_7 Depth=2
	s_andn2_saveexec_b64 s[18:19], s[18:19]
	s_cbranch_execz .LBB88_14
; %bb.13:                               ;   in Loop: Header=BB88_7 Depth=2
	ds_write_b64 v53, v[16:17]
.LBB88_14:                              ;   in Loop: Header=BB88_7 Depth=2
	s_or_b64 exec, exec, s[18:19]
.LBB88_15:                              ;   in Loop: Header=BB88_7 Depth=2
	s_or_b64 exec, exec, s[14:15]
	v_add_co_u32_e64 v4, s[14:15], 16, v2
	v_addc_co_u32_e64 v5, s[14:15], 0, v3, s[14:15]
	v_cmp_eq_u64_e64 s[14:15], s[20:21], v[44:45]
	v_cmp_gt_i64_e64 s[18:19], v[4:5], v[34:35]
	s_and_b64 s[28:29], s[22:23], s[14:15]
	s_or_b64 s[18:19], s[16:17], s[18:19]
	v_cmp_le_i64_e64 s[14:15], s[30:31], v[4:5]
	s_or_b64 s[18:19], s[18:19], s[28:29]
	s_or_b64 s[18:19], s[14:15], s[18:19]
	s_xor_b64 s[18:19], s[18:19], -1
	s_and_saveexec_b64 s[36:37], s[18:19]
	s_xor_b64 s[36:37], exec, s[36:37]
	s_cbranch_execz .LBB88_17
; %bb.16:                               ;   in Loop: Header=BB88_7 Depth=2
	v_add_co_u32_e64 v4, s[18:19], v48, v38
	v_addc_co_u32_e64 v5, s[18:19], v49, v39, s[18:19]
	global_load_dwordx2 v[4:5], v[4:5], off
	s_waitcnt vmcnt(0)
	ds_write_b64 v53, v[4:5] offset:128
.LBB88_17:                              ;   in Loop: Header=BB88_7 Depth=2
	s_andn2_saveexec_b64 s[18:19], s[36:37]
	s_cbranch_execz .LBB88_23
; %bb.18:                               ;   in Loop: Header=BB88_7 Depth=2
	s_xor_b64 s[28:29], s[28:29], -1
	s_and_saveexec_b64 s[36:37], s[28:29]
	s_xor_b64 s[28:29], exec, s[36:37]
	s_cbranch_execz .LBB88_20
; %bb.19:                               ;   in Loop: Header=BB88_7 Depth=2
	v_mov_b32_e32 v4, v17
	v_mov_b32_e32 v5, v17
	ds_write_b64 v53, v[4:5] offset:128
.LBB88_20:                              ;   in Loop: Header=BB88_7 Depth=2
	s_andn2_saveexec_b64 s[28:29], s[28:29]
	s_cbranch_execz .LBB88_22
; %bb.21:                               ;   in Loop: Header=BB88_7 Depth=2
	ds_write_b64 v53, v[16:17] offset:128
.LBB88_22:                              ;   in Loop: Header=BB88_7 Depth=2
	s_or_b64 exec, exec, s[28:29]
.LBB88_23:                              ;   in Loop: Header=BB88_7 Depth=2
	s_or_b64 exec, exec, s[18:19]
	v_cmp_eq_u64_e64 s[18:19], s[20:21], v[42:43]
	s_and_b64 s[28:29], s[22:23], s[18:19]
	v_cmp_gt_i64_e64 s[18:19], v[2:3], v[40:41]
	s_or_b64 s[18:19], s[8:9], s[18:19]
	s_or_b64 s[18:19], s[18:19], s[28:29]
	;; [unrolled: 1-line block ×3, first 2 shown]
	s_xor_b64 s[12:13], s[12:13], -1
	s_and_saveexec_b64 s[18:19], s[12:13]
	s_xor_b64 s[12:13], exec, s[18:19]
	s_cbranch_execz .LBB88_25
; %bb.24:                               ;   in Loop: Header=BB88_7 Depth=2
	global_load_dwordx2 v[0:1], v[0:1], off offset:128
	s_waitcnt vmcnt(0)
	ds_write_b64 v53, v[0:1] offset:4096
.LBB88_25:                              ;   in Loop: Header=BB88_7 Depth=2
	s_andn2_saveexec_b64 s[12:13], s[12:13]
	s_cbranch_execz .LBB88_31
; %bb.26:                               ;   in Loop: Header=BB88_7 Depth=2
	s_xor_b64 s[18:19], s[28:29], -1
	s_and_saveexec_b64 s[28:29], s[18:19]
	s_xor_b64 s[18:19], exec, s[28:29]
	s_cbranch_execz .LBB88_28
; %bb.27:                               ;   in Loop: Header=BB88_7 Depth=2
	v_mov_b32_e32 v0, v17
	v_mov_b32_e32 v1, v17
	ds_write_b64 v53, v[0:1] offset:4096
.LBB88_28:                              ;   in Loop: Header=BB88_7 Depth=2
	s_andn2_saveexec_b64 s[18:19], s[18:19]
	s_cbranch_execz .LBB88_30
; %bb.29:                               ;   in Loop: Header=BB88_7 Depth=2
	ds_write_b64 v53, v[16:17] offset:4096
.LBB88_30:                              ;   in Loop: Header=BB88_7 Depth=2
	s_or_b64 exec, exec, s[18:19]
.LBB88_31:                              ;   in Loop: Header=BB88_7 Depth=2
	s_or_b64 exec, exec, s[12:13]
	s_or_b64 s[10:11], s[8:9], s[10:11]
	s_or_b64 s[10:11], s[10:11], s[26:27]
	;; [unrolled: 1-line block ×3, first 2 shown]
	s_xor_b64 s[10:11], s[10:11], -1
	s_and_saveexec_b64 s[12:13], s[10:11]
	s_xor_b64 s[12:13], exec, s[12:13]
	s_cbranch_execz .LBB88_33
; %bb.32:                               ;   in Loop: Header=BB88_7 Depth=2
	v_add_co_u32_e64 v0, s[10:11], v48, v38
	v_addc_co_u32_e64 v1, s[10:11], v49, v39, s[10:11]
	global_load_dwordx2 v[0:1], v[0:1], off offset:128
	s_waitcnt vmcnt(0)
	ds_write_b64 v53, v[0:1] offset:4224
.LBB88_33:                              ;   in Loop: Header=BB88_7 Depth=2
	s_andn2_saveexec_b64 s[10:11], s[12:13]
	s_cbranch_execz .LBB88_39
; %bb.34:                               ;   in Loop: Header=BB88_7 Depth=2
	s_and_saveexec_b64 s[12:13], s[24:25]
	s_xor_b64 s[12:13], exec, s[12:13]
	s_cbranch_execz .LBB88_36
; %bb.35:                               ;   in Loop: Header=BB88_7 Depth=2
	v_mov_b32_e32 v0, v17
	v_mov_b32_e32 v1, v17
	ds_write_b64 v53, v[0:1] offset:4224
.LBB88_36:                              ;   in Loop: Header=BB88_7 Depth=2
	s_andn2_saveexec_b64 s[12:13], s[12:13]
	s_cbranch_execz .LBB88_38
; %bb.37:                               ;   in Loop: Header=BB88_7 Depth=2
	ds_write_b64 v53, v[16:17] offset:4224
.LBB88_38:                              ;   in Loop: Header=BB88_7 Depth=2
	s_or_b64 exec, exec, s[12:13]
.LBB88_39:                              ;   in Loop: Header=BB88_7 Depth=2
	s_or_b64 exec, exec, s[10:11]
	v_mov_b32_e32 v1, s21
	v_add_co_u32_e64 v0, s[10:11], s20, v12
	v_addc_co_u32_e64 v1, s[10:11], 0, v1, s[10:11]
	v_add_co_u32_e64 v2, s[10:11], v50, v24
	v_addc_co_u32_e64 v3, s[10:11], v51, v25, s[10:11]
	v_cmp_le_i64_e64 s[10:11], s[30:31], v[0:1]
	s_or_b64 s[12:13], s[10:11], vcc
	s_xor_b64 s[12:13], s[12:13], -1
	s_and_saveexec_b64 s[14:15], s[12:13]
	s_xor_b64 s[12:13], exec, s[14:15]
	s_cbranch_execz .LBB88_41
; %bb.40:                               ;   in Loop: Header=BB88_7 Depth=2
	global_load_dwordx2 v[4:5], v[2:3], off offset:-128
	s_waitcnt vmcnt(0)
	ds_write_b64 v57, v[4:5]
.LBB88_41:                              ;   in Loop: Header=BB88_7 Depth=2
	s_andn2_saveexec_b64 s[12:13], s[12:13]
	s_cbranch_execz .LBB88_43
; %bb.42:                               ;   in Loop: Header=BB88_7 Depth=2
	v_mov_b32_e32 v4, v17
	v_mov_b32_e32 v5, v17
	ds_write_b64 v57, v[4:5]
.LBB88_43:                              ;   in Loop: Header=BB88_7 Depth=2
	s_or_b64 exec, exec, s[12:13]
	s_or_b64 s[10:11], s[10:11], s[0:1]
	s_xor_b64 s[10:11], s[10:11], -1
	s_and_saveexec_b64 s[12:13], s[10:11]
	s_xor_b64 s[10:11], exec, s[12:13]
	s_cbranch_execz .LBB88_45
; %bb.44:                               ;   in Loop: Header=BB88_7 Depth=2
	global_load_dwordx2 v[2:3], v[2:3], off
	s_waitcnt vmcnt(0)
	ds_write_b64 v57, v[2:3] offset:128
.LBB88_45:                              ;   in Loop: Header=BB88_7 Depth=2
	s_andn2_saveexec_b64 s[10:11], s[10:11]
	s_cbranch_execz .LBB88_47
; %bb.46:                               ;   in Loop: Header=BB88_7 Depth=2
	v_mov_b32_e32 v2, v17
	v_mov_b32_e32 v3, v17
	ds_write_b64 v57, v[2:3] offset:128
.LBB88_47:                              ;   in Loop: Header=BB88_7 Depth=2
	s_or_b64 exec, exec, s[10:11]
	v_cmp_le_i64_e64 s[10:11], s[46:47], v[0:1]
	s_or_b64 s[12:13], s[10:11], vcc
	s_xor_b64 s[12:13], s[12:13], -1
	s_and_saveexec_b64 s[14:15], s[12:13]
	s_xor_b64 s[14:15], exec, s[14:15]
	s_cbranch_execz .LBB88_49
; %bb.48:                               ;   in Loop: Header=BB88_7 Depth=2
	v_add_co_u32_e64 v0, s[12:13], v50, v32
	v_addc_co_u32_e64 v1, s[12:13], v51, v13, s[12:13]
	global_load_dwordx2 v[0:1], v[0:1], off offset:-128
	s_waitcnt vmcnt(0)
	ds_write_b64 v57, v[0:1] offset:4096
.LBB88_49:                              ;   in Loop: Header=BB88_7 Depth=2
	s_andn2_saveexec_b64 s[12:13], s[14:15]
	s_cbranch_execz .LBB88_51
; %bb.50:                               ;   in Loop: Header=BB88_7 Depth=2
	v_mov_b32_e32 v0, v17
	v_mov_b32_e32 v1, v17
	ds_write_b64 v57, v[0:1] offset:4096
.LBB88_51:                              ;   in Loop: Header=BB88_7 Depth=2
	s_or_b64 exec, exec, s[12:13]
	s_or_b64 s[10:11], s[10:11], s[0:1]
	s_xor_b64 s[10:11], s[10:11], -1
	s_and_saveexec_b64 s[12:13], s[10:11]
	s_xor_b64 s[12:13], exec, s[12:13]
	s_cbranch_execz .LBB88_53
; %bb.52:                               ;   in Loop: Header=BB88_7 Depth=2
	v_add_co_u32_e64 v0, s[10:11], v50, v32
	v_addc_co_u32_e64 v1, s[10:11], v51, v13, s[10:11]
	global_load_dwordx2 v[0:1], v[0:1], off
	s_waitcnt vmcnt(0)
	ds_write_b64 v57, v[0:1] offset:4224
.LBB88_53:                              ;   in Loop: Header=BB88_7 Depth=2
	s_andn2_saveexec_b64 s[10:11], s[12:13]
	s_cbranch_execz .LBB88_6
; %bb.54:                               ;   in Loop: Header=BB88_7 Depth=2
	v_mov_b32_e32 v0, v17
	v_mov_b32_e32 v1, v17
	ds_write_b64 v57, v[0:1] offset:4224
	s_branch .LBB88_6
.LBB88_55:                              ;   in Loop: Header=BB88_4 Depth=1
	v_mul_lo_u32 v2, v35, s44
	v_mul_lo_u32 v3, v34, s45
	v_mad_u64_u32 v[0:1], s[10:11], v34, s44, 0
	v_add3_u32 v1, v1, v3, v2
	v_lshlrev_b64 v[0:1], 3, v[0:1]
	v_mov_b32_e32 v2, s50
	v_add_co_u32_e64 v0, s[10:11], s49, v0
	v_cmp_gt_i32_e64 s[8:9], s30, v34
	v_addc_co_u32_e64 v1, s[10:11], v2, v1, s[10:11]
	s_and_b64 s[10:11], s[2:3], s[8:9]
	s_and_saveexec_b64 s[12:13], s[10:11]
	s_cbranch_execz .LBB88_57
; %bb.56:                               ;   in Loop: Header=BB88_4 Depth=1
	v_add_co_u32_e64 v2, s[10:11], v0, v26
	v_addc_co_u32_e64 v3, s[10:11], v1, v27, s[10:11]
	global_load_dwordx2 v[4:5], v[2:3], off
	v_pk_mul_f32 v[6:7], v[66:67], s[34:35] op_sel_hi:[0,1]
	v_pk_fma_f32 v[8:9], v[64:65], s[34:35], v[6:7] op_sel:[0,0,1] op_sel_hi:[1,1,0] neg_lo:[0,0,1] neg_hi:[0,0,1]
	v_pk_fma_f32 v[6:7], v[64:65], s[34:35], v[6:7] op_sel:[0,0,1] op_sel_hi:[0,1,0]
	v_mov_b32_e32 v9, v7
	s_waitcnt vmcnt(0)
	v_pk_add_f32 v[4:5], v[4:5], v[8:9]
	global_store_dwordx2 v[2:3], v[4:5], off
.LBB88_57:                              ;   in Loop: Header=BB88_4 Depth=1
	s_or_b64 exec, exec, s[12:13]
	s_and_b64 s[8:9], s[4:5], s[8:9]
	s_and_saveexec_b64 s[10:11], s[8:9]
	s_cbranch_execz .LBB88_59
; %bb.58:                               ;   in Loop: Header=BB88_4 Depth=1
	v_lshlrev_b64 v[2:3], 3, v[20:21]
	v_add_co_u32_e64 v0, s[8:9], v0, v2
	v_addc_co_u32_e64 v1, s[8:9], v1, v3, s[8:9]
	global_load_dwordx2 v[2:3], v[0:1], off
	v_pk_mul_f32 v[4:5], v[62:63], s[34:35] op_sel_hi:[0,1]
	v_pk_fma_f32 v[6:7], v[60:61], s[34:35], v[4:5] op_sel:[0,0,1] op_sel_hi:[1,1,0] neg_lo:[0,0,1] neg_hi:[0,0,1]
	v_pk_fma_f32 v[4:5], v[60:61], s[34:35], v[4:5] op_sel:[0,0,1] op_sel_hi:[0,1,0]
	v_mov_b32_e32 v7, v5
	s_waitcnt vmcnt(0)
	v_pk_add_f32 v[2:3], v[2:3], v[6:7]
	global_store_dwordx2 v[0:1], v[2:3], off
.LBB88_59:                              ;   in Loop: Header=BB88_4 Depth=1
	s_or_b64 exec, exec, s[10:11]
	v_add_u32_e32 v0, 16, v34
	v_ashrrev_i32_e32 v1, 31, v0
	v_cmp_gt_i32_e64 s[8:9], s30, v0
	v_mul_lo_u32 v2, v1, s44
	v_mul_lo_u32 v3, v0, s45
	v_mad_u64_u32 v[0:1], s[10:11], v0, s44, 0
	v_add3_u32 v1, v1, v3, v2
	v_lshlrev_b64 v[0:1], 3, v[0:1]
	v_mov_b32_e32 v2, s50
	v_add_co_u32_e64 v0, s[10:11], s49, v0
	v_addc_co_u32_e64 v1, s[10:11], v2, v1, s[10:11]
	s_and_b64 s[10:11], s[2:3], s[8:9]
	s_and_saveexec_b64 s[12:13], s[10:11]
	s_cbranch_execz .LBB88_61
; %bb.60:                               ;   in Loop: Header=BB88_4 Depth=1
	v_add_co_u32_e64 v2, s[10:11], v0, v26
	v_addc_co_u32_e64 v3, s[10:11], v1, v27, s[10:11]
	global_load_dwordx2 v[4:5], v[2:3], off
	v_pk_mul_f32 v[6:7], v[58:59], s[34:35] op_sel_hi:[0,1]
	v_pk_fma_f32 v[8:9], v[56:57], s[34:35], v[6:7] op_sel:[0,0,1] op_sel_hi:[1,1,0] neg_lo:[0,0,1] neg_hi:[0,0,1]
	v_pk_fma_f32 v[6:7], v[56:57], s[34:35], v[6:7] op_sel:[0,0,1] op_sel_hi:[0,1,0]
	v_mov_b32_e32 v9, v7
	s_waitcnt vmcnt(0)
	v_pk_add_f32 v[4:5], v[4:5], v[8:9]
	global_store_dwordx2 v[2:3], v[4:5], off
.LBB88_61:                              ;   in Loop: Header=BB88_4 Depth=1
	s_or_b64 exec, exec, s[12:13]
	s_and_b64 s[8:9], s[4:5], s[8:9]
	s_and_saveexec_b64 s[10:11], s[8:9]
	s_cbranch_execz .LBB88_3
; %bb.62:                               ;   in Loop: Header=BB88_4 Depth=1
	v_lshlrev_b64 v[2:3], 3, v[20:21]
	v_add_co_u32_e64 v0, s[8:9], v0, v2
	v_addc_co_u32_e64 v1, s[8:9], v1, v3, s[8:9]
	global_load_dwordx2 v[2:3], v[0:1], off
	v_pk_mul_f32 v[4:5], v[52:53], s[34:35] op_sel_hi:[0,1]
	v_pk_fma_f32 v[6:7], v[54:55], s[34:35], v[4:5] op_sel:[0,0,1] op_sel_hi:[1,1,0] neg_lo:[0,0,1] neg_hi:[0,0,1]
	v_pk_fma_f32 v[4:5], v[54:55], s[34:35], v[4:5] op_sel:[0,0,1] op_sel_hi:[0,1,0]
	v_mov_b32_e32 v7, v5
	s_waitcnt vmcnt(0)
	v_pk_add_f32 v[2:3], v[2:3], v[6:7]
	global_store_dwordx2 v[0:1], v[2:3], off
	s_branch .LBB88_3
.LBB88_63:
	s_endpgm
	.section	.rodata,"a",@progbits
	.p2align	6, 0x0
	.amdhsa_kernel _ZL30rocblas_trmm_outofplace_kernelI19rocblas_complex_numIfELi32ELi2ELb0ELb0ELb1ELb0EPKS1_S2_S1_Ev17rocblas_diagonal_iiT6_lPT7_lllS7_lllPT8_llli
		.amdhsa_group_segment_fixed_size 16384
		.amdhsa_private_segment_fixed_size 0
		.amdhsa_kernarg_size 392
		.amdhsa_user_sgpr_count 6
		.amdhsa_user_sgpr_private_segment_buffer 1
		.amdhsa_user_sgpr_dispatch_ptr 0
		.amdhsa_user_sgpr_queue_ptr 0
		.amdhsa_user_sgpr_kernarg_segment_ptr 1
		.amdhsa_user_sgpr_dispatch_id 0
		.amdhsa_user_sgpr_flat_scratch_init 0
		.amdhsa_user_sgpr_kernarg_preload_length 0
		.amdhsa_user_sgpr_kernarg_preload_offset 0
		.amdhsa_user_sgpr_private_segment_size 0
		.amdhsa_uses_dynamic_stack 0
		.amdhsa_system_sgpr_private_segment_wavefront_offset 0
		.amdhsa_system_sgpr_workgroup_id_x 1
		.amdhsa_system_sgpr_workgroup_id_y 1
		.amdhsa_system_sgpr_workgroup_id_z 1
		.amdhsa_system_sgpr_workgroup_info 0
		.amdhsa_system_vgpr_workitem_id 1
		.amdhsa_next_free_vgpr 84
		.amdhsa_next_free_sgpr 51
		.amdhsa_accum_offset 84
		.amdhsa_reserve_vcc 1
		.amdhsa_reserve_flat_scratch 0
		.amdhsa_float_round_mode_32 0
		.amdhsa_float_round_mode_16_64 0
		.amdhsa_float_denorm_mode_32 3
		.amdhsa_float_denorm_mode_16_64 3
		.amdhsa_dx10_clamp 1
		.amdhsa_ieee_mode 1
		.amdhsa_fp16_overflow 0
		.amdhsa_tg_split 0
		.amdhsa_exception_fp_ieee_invalid_op 0
		.amdhsa_exception_fp_denorm_src 0
		.amdhsa_exception_fp_ieee_div_zero 0
		.amdhsa_exception_fp_ieee_overflow 0
		.amdhsa_exception_fp_ieee_underflow 0
		.amdhsa_exception_fp_ieee_inexact 0
		.amdhsa_exception_int_div_zero 0
	.end_amdhsa_kernel
	.section	.text._ZL30rocblas_trmm_outofplace_kernelI19rocblas_complex_numIfELi32ELi2ELb0ELb0ELb1ELb0EPKS1_S2_S1_Ev17rocblas_diagonal_iiT6_lPT7_lllS7_lllPT8_llli,"axG",@progbits,_ZL30rocblas_trmm_outofplace_kernelI19rocblas_complex_numIfELi32ELi2ELb0ELb0ELb1ELb0EPKS1_S2_S1_Ev17rocblas_diagonal_iiT6_lPT7_lllS7_lllPT8_llli,comdat
.Lfunc_end88:
	.size	_ZL30rocblas_trmm_outofplace_kernelI19rocblas_complex_numIfELi32ELi2ELb0ELb0ELb1ELb0EPKS1_S2_S1_Ev17rocblas_diagonal_iiT6_lPT7_lllS7_lllPT8_llli, .Lfunc_end88-_ZL30rocblas_trmm_outofplace_kernelI19rocblas_complex_numIfELi32ELi2ELb0ELb0ELb1ELb0EPKS1_S2_S1_Ev17rocblas_diagonal_iiT6_lPT7_lllS7_lllPT8_llli
                                        ; -- End function
	.section	.AMDGPU.csdata,"",@progbits
; Kernel info:
; codeLenInByte = 6784
; NumSgprs: 55
; NumVgprs: 84
; NumAgprs: 0
; TotalNumVgprs: 84
; ScratchSize: 0
; MemoryBound: 1
; FloatMode: 240
; IeeeMode: 1
; LDSByteSize: 16384 bytes/workgroup (compile time only)
; SGPRBlocks: 6
; VGPRBlocks: 10
; NumSGPRsForWavesPerEU: 55
; NumVGPRsForWavesPerEU: 84
; AccumOffset: 84
; Occupancy: 5
; WaveLimiterHint : 0
; COMPUTE_PGM_RSRC2:SCRATCH_EN: 0
; COMPUTE_PGM_RSRC2:USER_SGPR: 6
; COMPUTE_PGM_RSRC2:TRAP_HANDLER: 0
; COMPUTE_PGM_RSRC2:TGID_X_EN: 1
; COMPUTE_PGM_RSRC2:TGID_Y_EN: 1
; COMPUTE_PGM_RSRC2:TGID_Z_EN: 1
; COMPUTE_PGM_RSRC2:TIDIG_COMP_CNT: 1
; COMPUTE_PGM_RSRC3_GFX90A:ACCUM_OFFSET: 20
; COMPUTE_PGM_RSRC3_GFX90A:TG_SPLIT: 0
	.section	.text._ZL30rocblas_trmm_outofplace_kernelI19rocblas_complex_numIfELi32ELi2ELb0ELb0ELb1ELb0ES1_KS1_S1_Ev17rocblas_diagonal_iiT6_lPT7_lllS6_lllPT8_llli,"axG",@progbits,_ZL30rocblas_trmm_outofplace_kernelI19rocblas_complex_numIfELi32ELi2ELb0ELb0ELb1ELb0ES1_KS1_S1_Ev17rocblas_diagonal_iiT6_lPT7_lllS6_lllPT8_llli,comdat
	.globl	_ZL30rocblas_trmm_outofplace_kernelI19rocblas_complex_numIfELi32ELi2ELb0ELb0ELb1ELb0ES1_KS1_S1_Ev17rocblas_diagonal_iiT6_lPT7_lllS6_lllPT8_llli ; -- Begin function _ZL30rocblas_trmm_outofplace_kernelI19rocblas_complex_numIfELi32ELi2ELb0ELb0ELb1ELb0ES1_KS1_S1_Ev17rocblas_diagonal_iiT6_lPT7_lllS6_lllPT8_llli
	.p2align	8
	.type	_ZL30rocblas_trmm_outofplace_kernelI19rocblas_complex_numIfELi32ELi2ELb0ELb0ELb1ELb0ES1_KS1_S1_Ev17rocblas_diagonal_iiT6_lPT7_lllS6_lllPT8_llli,@function
_ZL30rocblas_trmm_outofplace_kernelI19rocblas_complex_numIfELi32ELi2ELb0ELb0ELb1ELb0ES1_KS1_S1_Ev17rocblas_diagonal_iiT6_lPT7_lllS6_lllPT8_llli: ; @_ZL30rocblas_trmm_outofplace_kernelI19rocblas_complex_numIfELi32ELi2ELb0ELb0ELb1ELb0ES1_KS1_S1_Ev17rocblas_diagonal_iiT6_lPT7_lllS6_lllPT8_llli
; %bb.0:
	s_load_dwordx4 s[28:31], s[4:5], 0x0
	s_load_dword s35, s[4:5], 0x10
	s_waitcnt lgkmcnt(0)
	s_or_b32 s0, s31, s35
	s_bitset0_b32 s0, 31
	s_cmp_eq_u32 s0, 0
	s_cbranch_scc1 .LBB89_63
; %bb.1:
	s_add_i32 s0, s30, -1
	s_ashr_i32 s1, s0, 31
	s_lshr_b32 s1, s1, 27
	s_add_i32 s0, s0, s1
	s_ashr_i32 s33, s0, 5
	s_cmp_gt_i32 s7, s33
	s_cbranch_scc1 .LBB89_63
; %bb.2:
	s_load_dwordx16 s[12:27], s[4:5], 0x20
	s_load_dwordx8 s[36:43], s[4:5], 0x60
	v_and_b32_e32 v14, 0x3ff, v0
	v_bfe_u32 v12, v0, 10, 10
	v_lshl_add_u32 v0, s6, 5, v14
	s_waitcnt lgkmcnt(0)
	s_mul_i32 s0, s8, s19
	s_mul_hi_u32 s1, s8, s18
	s_add_i32 s1, s1, s0
	s_mul_i32 s0, s8, s18
	s_lshl_b64 s[18:19], s[0:1], 3
	s_add_u32 s0, s12, s18
	s_addc_u32 s1, s13, s19
	s_lshl_b64 s[14:15], s[14:15], 3
	s_add_u32 s2, s0, s14
	s_addc_u32 s3, s1, s15
	s_mul_i32 s0, s8, s43
	s_mul_hi_u32 s1, s8, s42
	s_add_i32 s1, s1, s0
	s_mul_i32 s0, s8, s42
	s_lshl_b64 s[0:1], s[0:1], 3
	s_add_u32 s9, s36, s0
	s_addc_u32 s10, s37, s1
	s_lshl_b64 s[0:1], s[38:39], 3
	s_add_u32 s46, s9, s0
	s_addc_u32 s47, s10, s1
	v_mad_u64_u32 v[2:3], s[0:1], v14, s16, 0
	v_mov_b32_e32 v4, v3
	v_mad_u64_u32 v[4:5], s[0:1], v14, s17, v[4:5]
	v_mov_b32_e32 v3, v4
	v_lshlrev_b64 v[2:3], 3, v[2:3]
	v_mov_b32_e32 v4, s3
	v_add_co_u32_e32 v18, vcc, s2, v2
	s_cmpk_eq_i32 s28, 0x84
	v_addc_co_u32_e32 v19, vcc, v4, v3, vcc
	s_cselect_b64 s[36:37], -1, 0
	s_ashr_i32 s0, s29, 31
	v_ashrrev_i32_e32 v1, 31, v0
	v_mov_b32_e32 v3, s0
	v_sub_co_u32_e32 v2, vcc, s29, v0
	v_subb_co_u32_e32 v3, vcc, v3, v1, vcc
	v_sub_co_u32_e64 v61, s[10:11], 0, v14
	s_load_dword s6, s[4:5], 0x8c
	v_cmp_gt_i64_e32 vcc, 1, v[2:3]
	v_cmp_gt_i64_e64 s[0:1], 17, v[2:3]
	v_subb_co_u32_e64 v63, s[10:11], 0, 0, s[10:11]
	v_mad_u64_u32 v[2:3], s[10:11], s24, v12, 0
	v_mov_b32_e32 v4, v3
	s_mov_b32 s34, s31
	s_ashr_i32 s31, s30, 31
	s_lshl_b64 s[38:39], s[16:17], 8
	s_lshl_b64 s[42:43], s[24:25], 8
	v_mad_u64_u32 v[4:5], s[10:11], s25, v12, v[4:5]
	s_add_u32 s44, s30, -16
	s_mul_i32 s9, s27, s8
	s_mul_hi_u32 s10, s26, s8
	s_addc_u32 s45, s31, -1
	s_add_i32 s9, s10, s9
	s_mul_i32 s8, s26, s8
	s_waitcnt lgkmcnt(0)
	s_lshl_b32 s48, s6, 5
	s_lshl_b64 s[8:9], s[8:9], 3
	s_lshl_b64 s[10:11], s[22:23], 3
	s_add_u32 s8, s8, s10
	s_addc_u32 s9, s9, s11
	s_add_u32 s8, s20, s8
	v_lshlrev_b64 v[26:27], 3, v[0:1]
	s_addc_u32 s9, s21, s9
	v_cmp_gt_i32_e64 s[2:3], s29, v0
	v_add_u32_e32 v20, 16, v0
	v_mov_b32_e32 v0, s9
	v_add_co_u32_e64 v1, s[8:9], s8, v26
	v_addc_co_u32_e64 v0, s[8:9], v0, v27, s[8:9]
	s_movk_i32 s8, 0x80
	v_add_co_u32_e64 v28, s[8:9], s8, v1
	v_addc_co_u32_e64 v29, s[8:9], 0, v0, s[8:9]
	s_add_u32 s8, s12, s14
	s_addc_u32 s9, s13, s15
	s_add_u32 s8, s8, s18
	v_lshlrev_b32_e32 v6, 3, v14
	v_mov_b32_e32 v3, v4
	s_addc_u32 s9, s9, s19
	v_lshlrev_b64 v[24:25], 3, v[2:3]
	v_add_u32_e32 v2, 0x80, v6
	v_pk_mov_b32 v[0:1], s[8:9], s[8:9] op_sel:[0,1]
	v_mad_u64_u32 v[30:31], s[8:9], s16, v2, v[0:1]
	v_mov_b32_e32 v0, v31
	v_mad_u64_u32 v[0:1], s[8:9], s17, v2, v[0:1]
	v_mov_b32_e32 v31, v0
	v_mov_b32_e32 v0, 0x80
	v_lshl_add_u32 v1, v12, 3, v0
	v_mad_u64_u32 v[32:33], s[8:9], s24, v1, 0
	v_mov_b32_e32 v0, v33
	v_lshlrev_b32_e32 v15, 8, v12
	v_or_b32_e32 v55, 0x2000, v6
	v_mad_u64_u32 v[0:1], s[8:9], s25, v1, v[0:1]
	v_mov_b32_e32 v17, 0
	v_add_u32_e32 v53, v15, v6
	v_add_u32_e32 v57, v55, v15
	v_cmp_gt_i32_e64 s[4:5], s29, v20
	v_ashrrev_i32_e32 v21, 31, v20
	v_add_u32_e32 v59, 0x2080, v6
	v_lshl_add_u32 v22, s7, 5, v12
	v_mov_b32_e32 v13, v0
	v_mov_b32_e32 v16, 1.0
	s_branch .LBB89_4
.LBB89_3:                               ;   in Loop: Header=BB89_4 Depth=1
	s_or_b64 exec, exec, s[10:11]
	s_add_i32 s7, s6, s7
	s_cmp_le_i32 s7, s33
	v_add_u32_e32 v22, s48, v22
	s_cbranch_scc0 .LBB89_63
.LBB89_4:                               ; =>This Loop Header: Depth=1
                                        ;     Child Loop BB89_7 Depth 2
	s_lshl_b32 s49, s7, 5
	v_add_u32_e32 v34, s49, v12
	v_ashrrev_i32_e32 v35, 31, v34
	s_cmp_lt_i32 s7, 0
	v_mov_b32_e32 v64, v17
	v_mov_b32_e32 v66, v17
	;; [unrolled: 1-line block ×8, first 2 shown]
	s_cbranch_scc1 .LBB89_55
; %bb.5:                                ;   in Loop: Header=BB89_4 Depth=1
	v_ashrrev_i32_e32 v23, 31, v22
	v_add_co_u32_e64 v36, s[8:9], v61, v22
	v_addc_co_u32_e64 v37, s[8:9], v63, v23, s[8:9]
	v_add_co_u32_e64 v42, s[10:11], 16, v36
	v_add_co_u32_e64 v40, s[8:9], 16, v34
	v_addc_co_u32_e64 v43, s[10:11], 0, v37, s[10:11]
	v_addc_co_u32_e64 v41, s[8:9], 0, v35, s[8:9]
	v_add_co_u32_e64 v44, s[10:11], -16, v36
	v_lshlrev_b64 v[38:39], 3, v[22:23]
	v_cmp_le_i32_e64 s[16:17], s30, v34
	v_cmp_le_i64_e64 s[8:9], s[30:31], v[40:41]
	v_addc_co_u32_e64 v45, s[10:11], -1, v37, s[10:11]
	s_mov_b64 s[20:21], 0
	v_mov_b32_e32 v52, 0
	v_pk_mov_b32 v[46:47], v[18:19], v[18:19] op_sel:[0,1]
	v_pk_mov_b32 v[48:49], v[30:31], v[30:31] op_sel:[0,1]
	v_pk_mov_b32 v[50:51], v[28:29], v[28:29] op_sel:[0,1]
	v_mov_b32_e32 v54, 0
	v_mov_b32_e32 v58, 0
	;; [unrolled: 1-line block ×7, first 2 shown]
	s_branch .LBB89_7
.LBB89_6:                               ;   in Loop: Header=BB89_7 Depth=2
	s_or_b64 exec, exec, s[10:11]
	s_waitcnt lgkmcnt(0)
	s_barrier
	ds_read2_b64 v[68:71], v55 offset1:32
	ds_read_b128 v[72:75], v15
	ds_read_b128 v[8:11], v15 offset:16
	ds_read_b128 v[4:7], v15 offset:32
	;; [unrolled: 1-line block ×3, first 2 shown]
	ds_read2_b64 v[76:79], v59 offset1:32
	s_waitcnt lgkmcnt(4)
	v_mul_f32_e32 v23, v73, v69
	v_fma_f32 v23, v72, v68, -v23
	v_mul_f32_e32 v33, v72, v69
	v_fmac_f32_e32 v33, v73, v68
	v_add_f32_e32 v23, v64, v23
	s_waitcnt lgkmcnt(0)
	v_mul_f32_e32 v64, v73, v77
	v_add_f32_e32 v33, v66, v33
	v_fma_f32 v80, v72, v76, -v64
	ds_read_b128 v[64:67], v15 offset:4096
	v_mul_f32_e32 v72, v72, v77
	v_fmac_f32_e32 v72, v73, v76
	v_add_f32_e32 v60, v60, v80
	ds_read_b128 v[80:83], v15 offset:4112
	v_add_f32_e32 v62, v62, v72
	s_waitcnt lgkmcnt(1)
	v_mul_f32_e32 v72, v65, v69
	v_mul_f32_e32 v69, v64, v69
	v_fma_f32 v72, v64, v68, -v72
	v_fmac_f32_e32 v69, v65, v68
	v_mul_f32_e32 v68, v65, v77
	v_fma_f32 v68, v64, v76, -v68
	v_mul_f32_e32 v64, v64, v77
	v_fmac_f32_e32 v64, v65, v76
	v_add_f32_e32 v52, v52, v64
	v_mul_f32_e32 v64, v75, v71
	v_mul_f32_e32 v65, v74, v71
	v_fma_f32 v64, v74, v70, -v64
	v_fmac_f32_e32 v65, v75, v70
	v_add_f32_e32 v23, v23, v64
	v_add_f32_e32 v33, v33, v65
	v_mul_f32_e32 v64, v75, v79
	v_mul_f32_e32 v65, v74, v79
	v_fma_f32 v64, v74, v78, -v64
	v_fmac_f32_e32 v65, v75, v78
	v_add_f32_e32 v60, v60, v64
	v_add_f32_e32 v62, v62, v65
	v_mul_f32_e32 v64, v67, v71
	v_mul_f32_e32 v65, v66, v71
	v_add_f32_e32 v58, v58, v69
	v_add_f32_e32 v54, v54, v68
	v_fma_f32 v64, v66, v70, -v64
	v_fmac_f32_e32 v65, v67, v70
	ds_read2_b64 v[68:71], v55 offset0:64 offset1:96
	v_add_f32_e32 v56, v56, v72
	v_add_f32_e32 v56, v56, v64
	v_mul_f32_e32 v64, v67, v79
	v_add_f32_e32 v58, v58, v65
	v_fma_f32 v64, v66, v78, -v64
	v_mul_f32_e32 v65, v66, v79
	v_fmac_f32_e32 v65, v67, v78
	v_add_f32_e32 v54, v54, v64
	s_waitcnt lgkmcnt(0)
	v_mul_f32_e32 v64, v9, v69
	v_add_f32_e32 v52, v52, v65
	v_fma_f32 v72, v8, v68, -v64
	ds_read2_b64 v[64:67], v59 offset0:64 offset1:96
	v_add_f32_e32 v23, v23, v72
	v_mul_f32_e32 v73, v8, v69
	v_fmac_f32_e32 v73, v9, v68
	v_add_f32_e32 v33, v33, v73
	s_waitcnt lgkmcnt(0)
	v_mul_f32_e32 v72, v9, v65
	v_fma_f32 v72, v8, v64, -v72
	v_mul_f32_e32 v8, v8, v65
	v_fmac_f32_e32 v8, v9, v64
	v_add_f32_e32 v9, v60, v72
	v_mul_f32_e32 v60, v81, v69
	v_fma_f32 v60, v80, v68, -v60
	v_add_f32_e32 v56, v56, v60
	v_mul_f32_e32 v60, v81, v65
	v_add_f32_e32 v8, v62, v8
	v_mul_f32_e32 v62, v80, v69
	v_fma_f32 v60, v80, v64, -v60
	v_fmac_f32_e32 v62, v81, v68
	v_add_f32_e32 v54, v54, v60
	v_mul_f32_e32 v60, v11, v71
	v_add_f32_e32 v58, v58, v62
	v_mul_f32_e32 v62, v80, v65
	v_fma_f32 v60, v10, v70, -v60
	v_fmac_f32_e32 v62, v81, v64
	v_add_f32_e32 v23, v23, v60
	v_mul_f32_e32 v60, v11, v67
	v_add_f32_e32 v52, v52, v62
	v_mul_f32_e32 v62, v10, v71
	v_fma_f32 v60, v10, v66, -v60
	v_mul_f32_e32 v10, v10, v67
	v_fmac_f32_e32 v62, v11, v70
	v_fmac_f32_e32 v10, v11, v66
	v_add_f32_e32 v33, v33, v62
	v_add_f32_e32 v62, v8, v10
	v_mul_f32_e32 v8, v83, v71
	v_add_f32_e32 v60, v9, v60
	v_fma_f32 v8, v82, v70, -v8
	v_mul_f32_e32 v9, v82, v71
	v_fmac_f32_e32 v9, v83, v70
	v_add_f32_e32 v56, v56, v8
	v_mul_f32_e32 v8, v83, v67
	v_add_f32_e32 v58, v58, v9
	v_fma_f32 v64, v82, v66, -v8
	ds_read2_b64 v[8:11], v55 offset0:128 offset1:160
	v_mul_f32_e32 v65, v82, v67
	v_fmac_f32_e32 v65, v83, v66
	v_add_f32_e32 v54, v54, v64
	v_add_f32_e32 v52, v52, v65
	s_waitcnt lgkmcnt(0)
	v_mul_f32_e32 v64, v5, v9
	v_fma_f32 v68, v4, v8, -v64
	ds_read2_b64 v[64:67], v59 offset0:128 offset1:160
	v_mul_f32_e32 v69, v4, v9
	v_fmac_f32_e32 v69, v5, v8
	v_add_f32_e32 v23, v23, v68
	v_add_f32_e32 v33, v33, v69
	s_waitcnt lgkmcnt(0)
	v_mul_f32_e32 v68, v5, v65
	v_fma_f32 v72, v4, v64, -v68
	ds_read_b128 v[68:71], v15 offset:4128
	v_mul_f32_e32 v4, v4, v65
	v_fmac_f32_e32 v4, v5, v64
	v_add_f32_e32 v5, v60, v72
	ds_read_b128 v[72:75], v15 offset:4144
	s_waitcnt lgkmcnt(1)
	v_mul_f32_e32 v60, v69, v9
	v_fma_f32 v60, v68, v8, -v60
	v_mul_f32_e32 v9, v68, v9
	v_fmac_f32_e32 v9, v69, v8
	v_add_f32_e32 v8, v56, v60
	v_mul_f32_e32 v56, v69, v65
	v_fma_f32 v56, v68, v64, -v56
	v_add_f32_e32 v54, v54, v56
	v_mul_f32_e32 v56, v7, v11
	v_add_f32_e32 v9, v58, v9
	v_mul_f32_e32 v58, v68, v65
	v_fma_f32 v56, v6, v10, -v56
	v_fmac_f32_e32 v58, v69, v64
	v_add_f32_e32 v23, v23, v56
	v_mul_f32_e32 v56, v7, v67
	v_add_f32_e32 v52, v52, v58
	v_mul_f32_e32 v58, v6, v11
	v_fma_f32 v56, v6, v66, -v56
	v_mul_f32_e32 v6, v6, v67
	v_add_f32_e32 v4, v62, v4
	v_fmac_f32_e32 v58, v7, v10
	v_fmac_f32_e32 v6, v7, v66
	v_add_f32_e32 v33, v33, v58
	v_add_f32_e32 v58, v4, v6
	v_mul_f32_e32 v4, v71, v11
	v_add_f32_e32 v56, v5, v56
	v_fma_f32 v4, v70, v10, -v4
	v_mul_f32_e32 v5, v70, v11
	v_fmac_f32_e32 v5, v71, v10
	v_add_f32_e32 v60, v8, v4
	v_mul_f32_e32 v4, v71, v67
	v_add_f32_e32 v62, v9, v5
	v_fma_f32 v8, v70, v66, -v4
	ds_read2_b64 v[4:7], v55 offset0:192 offset1:224
	v_mul_f32_e32 v9, v70, v67
	v_fmac_f32_e32 v9, v71, v66
	v_add_f32_e32 v54, v54, v8
	v_add_f32_e32 v52, v52, v9
	s_waitcnt lgkmcnt(0)
	v_mul_f32_e32 v8, v1, v5
	v_fma_f32 v64, v0, v4, -v8
	ds_read2_b64 v[8:11], v59 offset0:192 offset1:224
	v_add_f32_e32 v23, v23, v64
	v_mul_f32_e32 v65, v0, v5
	v_fmac_f32_e32 v65, v1, v4
	v_add_f32_e32 v33, v33, v65
	s_waitcnt lgkmcnt(0)
	v_mul_f32_e32 v64, v1, v9
	v_fma_f32 v64, v0, v8, -v64
	v_mul_f32_e32 v0, v0, v9
	v_fmac_f32_e32 v0, v1, v8
	v_add_f32_e32 v1, v56, v64
	v_mul_f32_e32 v56, v73, v5
	v_fma_f32 v56, v72, v4, -v56
	v_mul_f32_e32 v5, v72, v5
	v_fmac_f32_e32 v5, v73, v4
	v_add_f32_e32 v4, v60, v56
	v_mul_f32_e32 v56, v73, v9
	v_mul_f32_e32 v9, v72, v9
	v_fma_f32 v56, v72, v8, -v56
	v_fmac_f32_e32 v9, v73, v8
	v_mul_f32_e32 v8, v3, v7
	v_fma_f32 v8, v2, v6, -v8
	v_add_f32_e32 v23, v23, v8
	v_mul_f32_e32 v8, v3, v11
	v_add_f32_e32 v52, v52, v9
	v_mul_f32_e32 v9, v2, v7
	v_fma_f32 v8, v2, v10, -v8
	v_mul_f32_e32 v2, v2, v11
	v_add_f32_e32 v0, v58, v0
	v_fmac_f32_e32 v2, v3, v10
	v_add_f32_e32 v58, v0, v2
	v_mul_f32_e32 v0, v75, v7
	v_add_f32_e32 v54, v54, v56
	v_add_f32_e32 v56, v1, v8
	v_fma_f32 v0, v74, v6, -v0
	v_mul_f32_e32 v1, v74, v7
	v_add_f32_e32 v5, v62, v5
	v_fmac_f32_e32 v9, v3, v6
	v_fmac_f32_e32 v1, v75, v6
	v_add_f32_e32 v60, v4, v0
	v_mul_f32_e32 v0, v75, v11
	v_add_u32_e32 v4, 0x800, v55
	v_add_f32_e32 v33, v33, v9
	v_add_f32_e32 v62, v5, v1
	v_fma_f32 v5, v74, v10, -v0
	ds_read2_b64 v[0:3], v4 offset1:32
	ds_read_b128 v[6:9], v15 offset:64
	v_mul_f32_e32 v11, v74, v11
	v_fmac_f32_e32 v11, v75, v10
	v_add_f32_e32 v10, v54, v5
	v_add_f32_e32 v11, v52, v11
	s_waitcnt lgkmcnt(0)
	v_mul_f32_e32 v5, v7, v1
	v_fma_f32 v52, v6, v0, -v5
	v_add_u32_e32 v5, 0x800, v59
	ds_read2_b64 v[68:71], v5 offset1:32
	ds_read_b128 v[64:67], v15 offset:80
	ds_read_b128 v[72:75], v15 offset:4160
	v_add_f32_e32 v23, v23, v52
	v_mul_f32_e32 v54, v6, v1
	s_waitcnt lgkmcnt(2)
	v_mul_f32_e32 v52, v7, v69
	v_fma_f32 v52, v6, v68, -v52
	v_mul_f32_e32 v6, v6, v69
	v_fmac_f32_e32 v54, v7, v0
	v_fmac_f32_e32 v6, v7, v68
	v_add_f32_e32 v7, v56, v52
	s_waitcnt lgkmcnt(0)
	v_mul_f32_e32 v52, v73, v1
	v_fma_f32 v52, v72, v0, -v52
	v_mul_f32_e32 v1, v72, v1
	v_fmac_f32_e32 v1, v73, v0
	v_add_f32_e32 v0, v60, v52
	v_mul_f32_e32 v52, v73, v69
	v_fma_f32 v52, v72, v68, -v52
	v_add_f32_e32 v10, v10, v52
	v_mul_f32_e32 v52, v9, v3
	v_add_f32_e32 v33, v33, v54
	v_mul_f32_e32 v54, v72, v69
	v_fma_f32 v52, v8, v2, -v52
	v_fmac_f32_e32 v54, v73, v68
	v_add_f32_e32 v23, v23, v52
	v_mul_f32_e32 v52, v9, v71
	v_add_f32_e32 v11, v11, v54
	v_mul_f32_e32 v54, v8, v3
	v_fma_f32 v52, v8, v70, -v52
	v_mul_f32_e32 v8, v8, v71
	v_add_f32_e32 v6, v58, v6
	v_fmac_f32_e32 v54, v9, v2
	v_fmac_f32_e32 v8, v9, v70
	v_add_f32_e32 v33, v33, v54
	v_add_f32_e32 v54, v6, v8
	v_mul_f32_e32 v6, v75, v3
	v_fma_f32 v6, v74, v2, -v6
	v_mul_f32_e32 v3, v74, v3
	v_add_f32_e32 v1, v62, v1
	v_fmac_f32_e32 v3, v75, v2
	v_add_f32_e32 v56, v0, v6
	v_mul_f32_e32 v0, v75, v71
	v_add_f32_e32 v58, v1, v3
	v_fma_f32 v6, v74, v70, -v0
	ds_read2_b64 v[0:3], v4 offset0:64 offset1:96
	v_add_f32_e32 v52, v7, v52
	v_mul_f32_e32 v7, v74, v71
	v_fmac_f32_e32 v7, v75, v70
	v_add_f32_e32 v10, v10, v6
	s_waitcnt lgkmcnt(0)
	v_mul_f32_e32 v6, v65, v1
	v_add_f32_e32 v11, v11, v7
	v_fma_f32 v60, v64, v0, -v6
	ds_read2_b64 v[6:9], v5 offset0:64 offset1:96
	ds_read_b128 v[76:79], v15 offset:4176
	v_add_f32_e32 v23, v23, v60
	v_mul_f32_e32 v62, v64, v1
	v_fmac_f32_e32 v62, v65, v0
	s_waitcnt lgkmcnt(1)
	v_mul_f32_e32 v60, v65, v7
	v_fma_f32 v60, v64, v6, -v60
	v_add_f32_e32 v52, v52, v60
	s_waitcnt lgkmcnt(0)
	v_mul_f32_e32 v60, v77, v1
	v_fma_f32 v60, v76, v0, -v60
	v_mul_f32_e32 v1, v76, v1
	v_fmac_f32_e32 v1, v77, v0
	v_add_f32_e32 v0, v56, v60
	v_mul_f32_e32 v56, v77, v7
	v_add_f32_e32 v33, v33, v62
	v_mul_f32_e32 v62, v64, v7
	v_fma_f32 v56, v76, v6, -v56
	v_mul_f32_e32 v7, v76, v7
	v_fmac_f32_e32 v62, v65, v6
	v_fmac_f32_e32 v7, v77, v6
	v_add_f32_e32 v6, v10, v56
	v_mul_f32_e32 v10, v67, v3
	v_fma_f32 v10, v66, v2, -v10
	v_add_f32_e32 v10, v23, v10
	v_mul_f32_e32 v23, v67, v9
	v_add_f32_e32 v7, v11, v7
	v_mul_f32_e32 v11, v66, v3
	v_fma_f32 v23, v66, v8, -v23
	v_fmac_f32_e32 v11, v67, v2
	v_add_f32_e32 v23, v52, v23
	v_mul_f32_e32 v52, v79, v3
	v_add_f32_e32 v11, v33, v11
	v_mul_f32_e32 v33, v66, v9
	v_fma_f32 v52, v78, v2, -v52
	v_mul_f32_e32 v3, v78, v3
	v_add_f32_e32 v54, v54, v62
	v_add_f32_e32 v1, v58, v1
	v_fmac_f32_e32 v33, v67, v8
	v_fmac_f32_e32 v3, v79, v2
	v_add_f32_e32 v52, v0, v52
	v_mul_f32_e32 v0, v79, v9
	v_add_f32_e32 v33, v54, v33
	v_add_f32_e32 v54, v1, v3
	v_fma_f32 v56, v78, v8, -v0
	ds_read2_b64 v[0:3], v4 offset0:128 offset1:160
	ds_read_b128 v[64:67], v15 offset:96
	v_mul_f32_e32 v9, v78, v9
	ds_read2_b64 v[68:71], v5 offset0:128 offset1:160
	v_fmac_f32_e32 v9, v79, v8
	v_add_f32_e32 v56, v6, v56
	v_add_f32_e32 v58, v7, v9
	ds_read_b128 v[6:9], v15 offset:112
	ds_read_b128 v[72:75], v15 offset:4192
	s_waitcnt lgkmcnt(3)
	v_mul_f32_e32 v60, v65, v1
	v_fma_f32 v60, v64, v0, -v60
	v_add_f32_e32 v10, v10, v60
	s_waitcnt lgkmcnt(2)
	v_mul_f32_e32 v60, v65, v69
	v_fma_f32 v60, v64, v68, -v60
	v_add_f32_e32 v23, v23, v60
	s_waitcnt lgkmcnt(0)
	v_mul_f32_e32 v60, v73, v1
	v_mul_f32_e32 v62, v64, v1
	v_fma_f32 v60, v72, v0, -v60
	v_mul_f32_e32 v1, v72, v1
	v_fmac_f32_e32 v62, v65, v0
	v_fmac_f32_e32 v1, v73, v0
	v_add_f32_e32 v0, v52, v60
	v_mul_f32_e32 v52, v73, v69
	v_fma_f32 v52, v72, v68, -v52
	v_add_f32_e32 v52, v56, v52
	v_mul_f32_e32 v56, v67, v3
	v_add_f32_e32 v1, v54, v1
	v_mul_f32_e32 v54, v72, v69
	v_fma_f32 v56, v66, v2, -v56
	v_fmac_f32_e32 v54, v73, v68
	v_add_f32_e32 v10, v10, v56
	v_mul_f32_e32 v56, v67, v71
	v_add_f32_e32 v54, v58, v54
	v_mul_f32_e32 v58, v66, v3
	v_fma_f32 v56, v66, v70, -v56
	v_add_f32_e32 v11, v11, v62
	v_mul_f32_e32 v62, v64, v69
	v_fmac_f32_e32 v58, v67, v2
	v_add_f32_e32 v23, v23, v56
	v_mul_f32_e32 v56, v75, v3
	v_fmac_f32_e32 v62, v65, v68
	v_add_f32_e32 v11, v11, v58
	v_mul_f32_e32 v58, v66, v71
	v_fma_f32 v56, v74, v2, -v56
	v_mul_f32_e32 v3, v74, v3
	v_add_f32_e32 v33, v33, v62
	v_fmac_f32_e32 v58, v67, v70
	v_fmac_f32_e32 v3, v75, v2
	v_add_f32_e32 v56, v0, v56
	v_mul_f32_e32 v0, v75, v71
	v_add_f32_e32 v33, v33, v58
	v_add_f32_e32 v58, v1, v3
	v_fma_f32 v60, v74, v70, -v0
	ds_read2_b64 v[0:3], v4 offset0:192 offset1:224
	ds_read2_b64 v[64:67], v5 offset0:192 offset1:224
	ds_read_b128 v[76:79], v15 offset:4208
	v_mul_f32_e32 v4, v74, v71
	v_fmac_f32_e32 v4, v75, v70
	s_waitcnt lgkmcnt(2)
	v_mul_f32_e32 v5, v6, v1
	v_fmac_f32_e32 v5, v7, v0
	v_add_f32_e32 v4, v54, v4
	v_mul_f32_e32 v54, v7, v1
	v_add_f32_e32 v5, v11, v5
	s_waitcnt lgkmcnt(1)
	v_mul_f32_e32 v11, v7, v65
	v_fma_f32 v54, v6, v0, -v54
	v_fma_f32 v11, v6, v64, -v11
	v_mul_f32_e32 v6, v6, v65
	v_fmac_f32_e32 v6, v7, v64
	v_add_f32_e32 v7, v23, v11
	s_waitcnt lgkmcnt(0)
	v_mul_f32_e32 v23, v76, v65
	v_fmac_f32_e32 v23, v77, v64
	v_mul_f32_e32 v11, v77, v1
	v_add_f32_e32 v23, v4, v23
	v_mul_f32_e32 v4, v9, v3
	v_add_f32_e32 v10, v10, v54
	v_fma_f32 v11, v76, v0, -v11
	v_mul_f32_e32 v1, v76, v1
	v_fma_f32 v4, v8, v2, -v4
	v_fmac_f32_e32 v1, v77, v0
	v_add_f32_e32 v0, v56, v11
	v_mul_f32_e32 v11, v77, v65
	v_add_f32_e32 v10, v10, v4
	v_mul_f32_e32 v4, v9, v67
	v_add_f32_e32 v52, v52, v60
	v_add_f32_e32 v6, v33, v6
	v_fma_f32 v11, v76, v64, -v11
	v_mul_f32_e32 v33, v8, v3
	v_fma_f32 v4, v8, v66, -v4
	v_add_f32_e32 v11, v52, v11
	v_fmac_f32_e32 v33, v9, v2
	v_add_f32_e32 v52, v7, v4
	v_mul_f32_e32 v4, v79, v3
	v_add_f32_e32 v33, v5, v33
	v_mul_f32_e32 v5, v8, v67
	v_fma_f32 v4, v78, v2, -v4
	v_mul_f32_e32 v3, v78, v3
	v_add_f32_e32 v1, v58, v1
	v_fmac_f32_e32 v5, v9, v66
	v_fmac_f32_e32 v3, v79, v2
	v_add_f32_e32 v56, v0, v4
	v_mul_f32_e32 v0, v79, v67
	v_add_u32_e32 v4, 0x1000, v55
	v_add_f32_e32 v54, v6, v5
	v_add_f32_e32 v58, v1, v3
	v_fma_f32 v5, v78, v66, -v0
	ds_read2_b64 v[0:3], v4 offset1:32
	ds_read_b128 v[6:9], v15 offset:128
	v_mul_f32_e32 v60, v78, v67
	v_fmac_f32_e32 v60, v79, v66
	v_add_f32_e32 v11, v11, v5
	v_add_f32_e32 v23, v23, v60
	s_waitcnt lgkmcnt(0)
	v_mul_f32_e32 v5, v7, v1
	v_fma_f32 v60, v6, v0, -v5
	v_add_u32_e32 v5, 0x1000, v59
	ds_read2_b64 v[68:71], v5 offset1:32
	ds_read_b128 v[64:67], v15 offset:144
	ds_read_b128 v[72:75], v15 offset:4224
	v_add_f32_e32 v10, v10, v60
	v_mul_f32_e32 v62, v6, v1
	s_waitcnt lgkmcnt(2)
	v_mul_f32_e32 v60, v7, v69
	v_fma_f32 v60, v6, v68, -v60
	v_mul_f32_e32 v6, v6, v69
	v_fmac_f32_e32 v62, v7, v0
	v_fmac_f32_e32 v6, v7, v68
	v_add_f32_e32 v7, v52, v60
	s_waitcnt lgkmcnt(0)
	v_mul_f32_e32 v52, v73, v1
	v_fma_f32 v52, v72, v0, -v52
	v_mul_f32_e32 v1, v72, v1
	v_fmac_f32_e32 v1, v73, v0
	v_add_f32_e32 v0, v56, v52
	v_mul_f32_e32 v52, v73, v69
	v_fma_f32 v52, v72, v68, -v52
	v_add_f32_e32 v11, v11, v52
	v_mul_f32_e32 v52, v9, v3
	v_add_f32_e32 v6, v54, v6
	v_mul_f32_e32 v54, v72, v69
	v_fma_f32 v52, v8, v2, -v52
	v_fmac_f32_e32 v54, v73, v68
	v_add_f32_e32 v10, v10, v52
	v_mul_f32_e32 v52, v9, v71
	v_add_f32_e32 v23, v23, v54
	v_mul_f32_e32 v54, v8, v3
	v_fma_f32 v52, v8, v70, -v52
	v_mul_f32_e32 v8, v8, v71
	v_add_f32_e32 v33, v33, v62
	v_fmac_f32_e32 v54, v9, v2
	v_fmac_f32_e32 v8, v9, v70
	v_add_f32_e32 v33, v33, v54
	v_add_f32_e32 v54, v6, v8
	v_mul_f32_e32 v6, v75, v3
	v_fma_f32 v6, v74, v2, -v6
	v_mul_f32_e32 v3, v74, v3
	v_add_f32_e32 v1, v58, v1
	v_fmac_f32_e32 v3, v75, v2
	v_add_f32_e32 v56, v0, v6
	v_mul_f32_e32 v0, v75, v71
	v_add_f32_e32 v58, v1, v3
	v_fma_f32 v6, v74, v70, -v0
	ds_read2_b64 v[0:3], v4 offset0:64 offset1:96
	v_add_f32_e32 v52, v7, v52
	v_mul_f32_e32 v7, v74, v71
	v_fmac_f32_e32 v7, v75, v70
	v_add_f32_e32 v11, v11, v6
	s_waitcnt lgkmcnt(0)
	v_mul_f32_e32 v6, v65, v1
	v_add_f32_e32 v23, v23, v7
	v_fma_f32 v60, v64, v0, -v6
	ds_read2_b64 v[6:9], v5 offset0:64 offset1:96
	ds_read_b128 v[76:79], v15 offset:4240
	v_add_f32_e32 v10, v10, v60
	v_mul_f32_e32 v62, v64, v1
	v_fmac_f32_e32 v62, v65, v0
	s_waitcnt lgkmcnt(1)
	v_mul_f32_e32 v60, v65, v7
	v_fma_f32 v60, v64, v6, -v60
	v_add_f32_e32 v52, v52, v60
	s_waitcnt lgkmcnt(0)
	v_mul_f32_e32 v60, v77, v1
	v_fma_f32 v60, v76, v0, -v60
	v_mul_f32_e32 v1, v76, v1
	v_add_f32_e32 v33, v33, v62
	v_mul_f32_e32 v62, v64, v7
	v_fmac_f32_e32 v1, v77, v0
	v_add_f32_e32 v0, v56, v60
	v_mul_f32_e32 v56, v77, v7
	v_mul_f32_e32 v7, v76, v7
	v_fma_f32 v56, v76, v6, -v56
	v_fmac_f32_e32 v7, v77, v6
	v_fmac_f32_e32 v62, v65, v6
	v_add_f32_e32 v6, v11, v56
	v_add_f32_e32 v7, v23, v7
	v_mul_f32_e32 v11, v67, v3
	v_mul_f32_e32 v23, v66, v3
	v_fma_f32 v11, v66, v2, -v11
	v_fmac_f32_e32 v23, v67, v2
	v_add_f32_e32 v10, v10, v11
	v_add_f32_e32 v11, v33, v23
	v_mul_f32_e32 v23, v67, v9
	v_fma_f32 v23, v66, v8, -v23
	v_add_f32_e32 v23, v52, v23
	v_mul_f32_e32 v52, v79, v3
	v_mul_f32_e32 v33, v66, v9
	v_fma_f32 v52, v78, v2, -v52
	v_mul_f32_e32 v3, v78, v3
	v_add_f32_e32 v54, v54, v62
	v_add_f32_e32 v1, v58, v1
	v_fmac_f32_e32 v33, v67, v8
	v_fmac_f32_e32 v3, v79, v2
	v_add_f32_e32 v52, v0, v52
	v_mul_f32_e32 v0, v79, v9
	v_add_f32_e32 v33, v54, v33
	v_add_f32_e32 v54, v1, v3
	v_fma_f32 v56, v78, v8, -v0
	ds_read2_b64 v[0:3], v4 offset0:128 offset1:160
	ds_read_b128 v[64:67], v15 offset:160
	v_mul_f32_e32 v9, v78, v9
	ds_read2_b64 v[68:71], v5 offset0:128 offset1:160
	v_fmac_f32_e32 v9, v79, v8
	v_add_f32_e32 v56, v6, v56
	v_add_f32_e32 v58, v7, v9
	ds_read_b128 v[6:9], v15 offset:176
	ds_read_b128 v[72:75], v15 offset:4256
	s_waitcnt lgkmcnt(3)
	v_mul_f32_e32 v60, v65, v1
	v_fma_f32 v60, v64, v0, -v60
	v_add_f32_e32 v10, v10, v60
	s_waitcnt lgkmcnt(2)
	v_mul_f32_e32 v60, v65, v69
	v_fma_f32 v60, v64, v68, -v60
	v_add_f32_e32 v23, v23, v60
	s_waitcnt lgkmcnt(0)
	v_mul_f32_e32 v60, v73, v1
	v_mul_f32_e32 v62, v64, v1
	v_fma_f32 v60, v72, v0, -v60
	v_mul_f32_e32 v1, v72, v1
	v_fmac_f32_e32 v62, v65, v0
	v_fmac_f32_e32 v1, v73, v0
	v_add_f32_e32 v0, v52, v60
	v_mul_f32_e32 v52, v73, v69
	v_fma_f32 v52, v72, v68, -v52
	v_add_f32_e32 v52, v56, v52
	v_mul_f32_e32 v56, v67, v3
	v_add_f32_e32 v1, v54, v1
	v_mul_f32_e32 v54, v72, v69
	v_fma_f32 v56, v66, v2, -v56
	v_fmac_f32_e32 v54, v73, v68
	v_add_f32_e32 v10, v10, v56
	v_mul_f32_e32 v56, v67, v71
	v_add_f32_e32 v54, v58, v54
	v_mul_f32_e32 v58, v66, v3
	v_fma_f32 v56, v66, v70, -v56
	v_add_f32_e32 v11, v11, v62
	v_mul_f32_e32 v62, v64, v69
	v_fmac_f32_e32 v58, v67, v2
	v_add_f32_e32 v23, v23, v56
	v_mul_f32_e32 v56, v75, v3
	v_fmac_f32_e32 v62, v65, v68
	v_add_f32_e32 v11, v11, v58
	v_mul_f32_e32 v58, v66, v71
	v_fma_f32 v56, v74, v2, -v56
	v_mul_f32_e32 v3, v74, v3
	v_add_f32_e32 v33, v33, v62
	v_fmac_f32_e32 v58, v67, v70
	v_fmac_f32_e32 v3, v75, v2
	v_add_f32_e32 v56, v0, v56
	v_mul_f32_e32 v0, v75, v71
	v_add_f32_e32 v33, v33, v58
	v_add_f32_e32 v58, v1, v3
	v_fma_f32 v60, v74, v70, -v0
	ds_read2_b64 v[0:3], v4 offset0:192 offset1:224
	ds_read2_b64 v[64:67], v5 offset0:192 offset1:224
	ds_read_b128 v[76:79], v15 offset:4272
	v_mul_f32_e32 v4, v74, v71
	v_fmac_f32_e32 v4, v75, v70
	s_waitcnt lgkmcnt(2)
	v_mul_f32_e32 v5, v6, v1
	v_fmac_f32_e32 v5, v7, v0
	v_add_f32_e32 v4, v54, v4
	v_mul_f32_e32 v54, v7, v1
	v_add_f32_e32 v5, v11, v5
	s_waitcnt lgkmcnt(1)
	v_mul_f32_e32 v11, v7, v65
	v_fma_f32 v54, v6, v0, -v54
	v_fma_f32 v11, v6, v64, -v11
	v_mul_f32_e32 v6, v6, v65
	v_fmac_f32_e32 v6, v7, v64
	v_add_f32_e32 v7, v23, v11
	s_waitcnt lgkmcnt(0)
	v_mul_f32_e32 v23, v76, v65
	v_fmac_f32_e32 v23, v77, v64
	v_mul_f32_e32 v11, v77, v1
	v_add_f32_e32 v23, v4, v23
	v_mul_f32_e32 v4, v9, v3
	v_add_f32_e32 v10, v10, v54
	v_fma_f32 v11, v76, v0, -v11
	v_mul_f32_e32 v1, v76, v1
	v_fma_f32 v4, v8, v2, -v4
	v_fmac_f32_e32 v1, v77, v0
	v_add_f32_e32 v0, v56, v11
	v_mul_f32_e32 v11, v77, v65
	v_add_f32_e32 v10, v10, v4
	v_mul_f32_e32 v4, v9, v67
	v_add_f32_e32 v52, v52, v60
	v_add_f32_e32 v6, v33, v6
	v_fma_f32 v11, v76, v64, -v11
	v_mul_f32_e32 v33, v8, v3
	v_fma_f32 v4, v8, v66, -v4
	v_add_f32_e32 v11, v52, v11
	v_fmac_f32_e32 v33, v9, v2
	v_add_f32_e32 v52, v7, v4
	v_mul_f32_e32 v4, v79, v3
	v_add_f32_e32 v33, v5, v33
	v_mul_f32_e32 v5, v8, v67
	v_fma_f32 v4, v78, v2, -v4
	v_mul_f32_e32 v3, v78, v3
	v_add_f32_e32 v1, v58, v1
	v_fmac_f32_e32 v5, v9, v66
	v_fmac_f32_e32 v3, v79, v2
	v_add_f32_e32 v56, v0, v4
	v_mul_f32_e32 v0, v79, v67
	v_add_u32_e32 v4, 0x1800, v55
	v_add_f32_e32 v54, v6, v5
	v_add_f32_e32 v58, v1, v3
	v_fma_f32 v5, v78, v66, -v0
	ds_read2_b64 v[0:3], v4 offset1:32
	ds_read_b128 v[6:9], v15 offset:192
	v_mul_f32_e32 v60, v78, v67
	v_fmac_f32_e32 v60, v79, v66
	v_add_f32_e32 v11, v11, v5
	v_add_f32_e32 v23, v23, v60
	s_waitcnt lgkmcnt(0)
	v_mul_f32_e32 v5, v7, v1
	v_fma_f32 v60, v6, v0, -v5
	v_add_u32_e32 v5, 0x1800, v59
	ds_read2_b64 v[68:71], v5 offset1:32
	ds_read_b128 v[64:67], v15 offset:208
	ds_read_b128 v[72:75], v15 offset:4288
	v_add_f32_e32 v10, v10, v60
	v_mul_f32_e32 v62, v6, v1
	s_waitcnt lgkmcnt(2)
	v_mul_f32_e32 v60, v7, v69
	v_fma_f32 v60, v6, v68, -v60
	v_mul_f32_e32 v6, v6, v69
	v_fmac_f32_e32 v62, v7, v0
	v_fmac_f32_e32 v6, v7, v68
	v_add_f32_e32 v7, v52, v60
	s_waitcnt lgkmcnt(0)
	v_mul_f32_e32 v52, v73, v1
	v_fma_f32 v52, v72, v0, -v52
	v_mul_f32_e32 v1, v72, v1
	v_fmac_f32_e32 v1, v73, v0
	v_add_f32_e32 v0, v56, v52
	v_mul_f32_e32 v52, v73, v69
	v_fma_f32 v52, v72, v68, -v52
	v_add_f32_e32 v11, v11, v52
	v_mul_f32_e32 v52, v9, v3
	v_add_f32_e32 v6, v54, v6
	v_mul_f32_e32 v54, v72, v69
	v_fma_f32 v52, v8, v2, -v52
	v_fmac_f32_e32 v54, v73, v68
	v_add_f32_e32 v10, v10, v52
	v_mul_f32_e32 v52, v9, v71
	v_add_f32_e32 v23, v23, v54
	v_mul_f32_e32 v54, v8, v3
	v_fma_f32 v52, v8, v70, -v52
	v_mul_f32_e32 v8, v8, v71
	v_add_f32_e32 v33, v33, v62
	v_fmac_f32_e32 v54, v9, v2
	v_fmac_f32_e32 v8, v9, v70
	v_add_f32_e32 v33, v33, v54
	v_add_f32_e32 v54, v6, v8
	v_mul_f32_e32 v6, v75, v3
	v_fma_f32 v6, v74, v2, -v6
	v_mul_f32_e32 v3, v74, v3
	v_add_f32_e32 v1, v58, v1
	v_fmac_f32_e32 v3, v75, v2
	v_add_f32_e32 v56, v0, v6
	v_mul_f32_e32 v0, v75, v71
	v_add_f32_e32 v58, v1, v3
	v_fma_f32 v6, v74, v70, -v0
	ds_read2_b64 v[0:3], v4 offset0:64 offset1:96
	v_add_f32_e32 v52, v7, v52
	v_mul_f32_e32 v7, v74, v71
	v_fmac_f32_e32 v7, v75, v70
	v_add_f32_e32 v11, v11, v6
	s_waitcnt lgkmcnt(0)
	v_mul_f32_e32 v6, v65, v1
	v_add_f32_e32 v23, v23, v7
	v_fma_f32 v60, v64, v0, -v6
	ds_read2_b64 v[6:9], v5 offset0:64 offset1:96
	ds_read_b128 v[76:79], v15 offset:4304
	v_add_f32_e32 v10, v10, v60
	v_mul_f32_e32 v62, v64, v1
	v_fmac_f32_e32 v62, v65, v0
	s_waitcnt lgkmcnt(1)
	v_mul_f32_e32 v60, v65, v7
	v_fma_f32 v60, v64, v6, -v60
	v_add_f32_e32 v52, v52, v60
	s_waitcnt lgkmcnt(0)
	v_mul_f32_e32 v60, v77, v1
	v_fma_f32 v60, v76, v0, -v60
	v_mul_f32_e32 v1, v76, v1
	v_add_f32_e32 v33, v33, v62
	v_mul_f32_e32 v62, v64, v7
	v_fmac_f32_e32 v1, v77, v0
	v_add_f32_e32 v0, v56, v60
	v_mul_f32_e32 v56, v77, v7
	v_mul_f32_e32 v7, v76, v7
	v_fma_f32 v56, v76, v6, -v56
	v_fmac_f32_e32 v7, v77, v6
	v_fmac_f32_e32 v62, v65, v6
	v_add_f32_e32 v6, v11, v56
	v_add_f32_e32 v7, v23, v7
	v_mul_f32_e32 v11, v67, v3
	v_mul_f32_e32 v23, v66, v3
	v_fma_f32 v11, v66, v2, -v11
	v_fmac_f32_e32 v23, v67, v2
	v_add_f32_e32 v10, v10, v11
	v_add_f32_e32 v11, v33, v23
	v_mul_f32_e32 v23, v67, v9
	v_fma_f32 v23, v66, v8, -v23
	v_add_f32_e32 v23, v52, v23
	v_mul_f32_e32 v52, v79, v3
	v_mul_f32_e32 v33, v66, v9
	v_fma_f32 v52, v78, v2, -v52
	v_mul_f32_e32 v3, v78, v3
	v_add_f32_e32 v54, v54, v62
	v_add_f32_e32 v1, v58, v1
	v_fmac_f32_e32 v33, v67, v8
	v_fmac_f32_e32 v3, v79, v2
	v_add_f32_e32 v52, v0, v52
	v_mul_f32_e32 v0, v79, v9
	v_add_f32_e32 v33, v54, v33
	v_add_f32_e32 v54, v1, v3
	v_fma_f32 v56, v78, v8, -v0
	ds_read2_b64 v[0:3], v4 offset0:128 offset1:160
	ds_read_b128 v[64:67], v15 offset:224
	v_mul_f32_e32 v9, v78, v9
	ds_read2_b64 v[68:71], v5 offset0:128 offset1:160
	v_fmac_f32_e32 v9, v79, v8
	v_add_f32_e32 v56, v6, v56
	v_add_f32_e32 v58, v7, v9
	ds_read_b128 v[6:9], v15 offset:240
	ds_read_b128 v[72:75], v15 offset:4320
	s_waitcnt lgkmcnt(3)
	v_mul_f32_e32 v60, v65, v1
	v_fma_f32 v60, v64, v0, -v60
	v_add_f32_e32 v10, v10, v60
	s_waitcnt lgkmcnt(2)
	v_mul_f32_e32 v60, v65, v69
	v_fma_f32 v60, v64, v68, -v60
	v_add_f32_e32 v23, v23, v60
	s_waitcnt lgkmcnt(0)
	v_mul_f32_e32 v60, v73, v1
	v_mul_f32_e32 v62, v64, v1
	v_fma_f32 v60, v72, v0, -v60
	v_mul_f32_e32 v1, v72, v1
	v_fmac_f32_e32 v62, v65, v0
	v_fmac_f32_e32 v1, v73, v0
	v_add_f32_e32 v0, v52, v60
	v_mul_f32_e32 v52, v73, v69
	v_fma_f32 v52, v72, v68, -v52
	v_add_f32_e32 v52, v56, v52
	v_mul_f32_e32 v56, v67, v3
	v_add_f32_e32 v1, v54, v1
	v_mul_f32_e32 v54, v72, v69
	v_fma_f32 v56, v66, v2, -v56
	v_fmac_f32_e32 v54, v73, v68
	v_add_f32_e32 v10, v10, v56
	v_mul_f32_e32 v56, v67, v71
	v_add_f32_e32 v54, v58, v54
	v_mul_f32_e32 v58, v66, v3
	v_fma_f32 v56, v66, v70, -v56
	v_add_f32_e32 v11, v11, v62
	v_mul_f32_e32 v62, v64, v69
	v_fmac_f32_e32 v58, v67, v2
	v_add_f32_e32 v23, v23, v56
	v_mul_f32_e32 v56, v75, v3
	v_fmac_f32_e32 v62, v65, v68
	v_add_f32_e32 v11, v11, v58
	v_mul_f32_e32 v58, v66, v71
	v_fma_f32 v56, v74, v2, -v56
	v_mul_f32_e32 v3, v74, v3
	v_add_f32_e32 v33, v33, v62
	v_fmac_f32_e32 v58, v67, v70
	v_fmac_f32_e32 v3, v75, v2
	v_add_f32_e32 v56, v0, v56
	v_mul_f32_e32 v0, v75, v71
	v_add_f32_e32 v33, v33, v58
	v_add_f32_e32 v58, v1, v3
	v_fma_f32 v60, v74, v70, -v0
	ds_read2_b64 v[0:3], v4 offset0:192 offset1:224
	ds_read2_b64 v[66:69], v5 offset0:192 offset1:224
	ds_read_b128 v[76:79], v15 offset:4336
	v_mul_f32_e32 v4, v74, v71
	v_fmac_f32_e32 v4, v75, v70
	s_waitcnt lgkmcnt(2)
	v_mul_f32_e32 v5, v6, v1
	v_fmac_f32_e32 v5, v7, v0
	v_add_f32_e32 v4, v54, v4
	v_mul_f32_e32 v54, v7, v1
	v_add_f32_e32 v5, v11, v5
	s_waitcnt lgkmcnt(1)
	v_mul_f32_e32 v11, v7, v67
	v_fma_f32 v54, v6, v0, -v54
	v_fma_f32 v11, v6, v66, -v11
	v_mul_f32_e32 v6, v6, v67
	v_fmac_f32_e32 v6, v7, v66
	v_add_f32_e32 v7, v23, v11
	s_waitcnt lgkmcnt(0)
	v_mul_f32_e32 v11, v77, v1
	v_add_f32_e32 v6, v33, v6
	v_fma_f32 v11, v76, v0, -v11
	v_mul_f32_e32 v1, v76, v1
	v_mul_f32_e32 v33, v8, v3
	v_fmac_f32_e32 v1, v77, v0
	v_add_f32_e32 v0, v56, v11
	v_mul_f32_e32 v11, v77, v67
	v_mul_f32_e32 v23, v76, v67
	v_fmac_f32_e32 v33, v9, v2
	v_fma_f32 v11, v76, v66, -v11
	v_fmac_f32_e32 v23, v77, v66
	v_add_f32_e32 v66, v5, v33
	v_mul_f32_e32 v5, v9, v69
	v_fma_f32 v5, v8, v68, -v5
	v_add_f32_e32 v52, v52, v60
	v_add_f32_e32 v60, v7, v5
	v_mul_f32_e32 v5, v79, v3
	v_fma_f32 v5, v78, v2, -v5
	v_add_f32_e32 v56, v0, v5
	v_mul_f32_e32 v0, v79, v69
	v_add_f32_e32 v11, v52, v11
	v_fma_f32 v0, v78, v68, -v0
	v_add_f32_e32 v10, v10, v54
	v_add_f32_e32 v54, v11, v0
	v_mov_b32_e32 v0, s43
	v_add_co_u32_e64 v50, s[10:11], s42, v50
	v_add_f32_e32 v4, v4, v23
	v_mul_f32_e32 v23, v9, v3
	v_mul_f32_e32 v3, v78, v3
	v_addc_co_u32_e64 v51, s[10:11], v51, v0, s[10:11]
	v_add_f32_e32 v1, v58, v1
	v_fmac_f32_e32 v3, v79, v2
	v_mov_b32_e32 v0, s39
	v_add_co_u32_e64 v48, s[10:11], s38, v48
	v_fma_f32 v23, v8, v2, -v23
	v_mul_f32_e32 v8, v8, v69
	v_add_f32_e32 v58, v1, v3
	v_mul_f32_e32 v1, v78, v69
	s_add_u32 s20, s20, 32
	v_addc_co_u32_e64 v49, s[10:11], v49, v0, s[10:11]
	v_fmac_f32_e32 v8, v9, v68
	v_fmac_f32_e32 v1, v79, v68
	s_addc_u32 s21, s21, 0
	s_sub_i32 s12, s20, 32
	v_add_co_u32_e64 v46, s[10:11], s38, v46
	v_add_f32_e32 v64, v10, v23
	v_add_f32_e32 v62, v6, v8
	;; [unrolled: 1-line block ×3, first 2 shown]
	s_cmp_ge_i32 s12, s49
	v_addc_co_u32_e64 v47, s[10:11], v47, v0, s[10:11]
	s_barrier
	s_cbranch_scc1 .LBB89_55
.LBB89_7:                               ;   Parent Loop BB89_4 Depth=1
                                        ; =>  This Inner Loop Header: Depth=2
	v_mov_b32_e32 v0, s21
	v_add_co_u32_e64 v2, s[10:11], s20, v14
	v_addc_co_u32_e64 v3, s[10:11], 0, v0, s[10:11]
	v_add_co_u32_e64 v0, s[10:11], v46, v38
	v_addc_co_u32_e64 v1, s[10:11], v47, v39, s[10:11]
	v_cmp_eq_u64_e64 s[10:11], s[20:21], v[36:37]
	s_and_b64 s[24:25], s[36:37], s[10:11]
	v_cmp_gt_i64_e64 s[10:11], v[2:3], v[34:35]
	s_or_b64 s[14:15], s[16:17], s[10:11]
	v_cmp_le_i64_e64 s[12:13], s[30:31], v[2:3]
	s_or_b64 s[14:15], s[14:15], s[24:25]
	s_or_b64 s[14:15], s[12:13], s[14:15]
	s_xor_b64 s[14:15], s[14:15], -1
	s_and_saveexec_b64 s[18:19], s[14:15]
	s_xor_b64 s[14:15], exec, s[18:19]
	s_cbranch_execz .LBB89_9
; %bb.8:                                ;   in Loop: Header=BB89_7 Depth=2
	global_load_dwordx2 v[4:5], v[0:1], off
	s_waitcnt vmcnt(0)
	ds_write_b64 v53, v[4:5]
.LBB89_9:                               ;   in Loop: Header=BB89_7 Depth=2
	s_or_saveexec_b64 s[14:15], s[14:15]
	s_xor_b64 s[22:23], s[24:25], -1
	s_xor_b64 exec, exec, s[14:15]
	s_cbranch_execz .LBB89_15
; %bb.10:                               ;   in Loop: Header=BB89_7 Depth=2
	s_and_saveexec_b64 s[18:19], s[22:23]
	s_xor_b64 s[18:19], exec, s[18:19]
	s_cbranch_execz .LBB89_12
; %bb.11:                               ;   in Loop: Header=BB89_7 Depth=2
	v_mov_b32_e32 v4, v17
	v_mov_b32_e32 v5, v17
	ds_write_b64 v53, v[4:5]
.LBB89_12:                              ;   in Loop: Header=BB89_7 Depth=2
	s_andn2_saveexec_b64 s[18:19], s[18:19]
	s_cbranch_execz .LBB89_14
; %bb.13:                               ;   in Loop: Header=BB89_7 Depth=2
	ds_write_b64 v53, v[16:17]
.LBB89_14:                              ;   in Loop: Header=BB89_7 Depth=2
	s_or_b64 exec, exec, s[18:19]
.LBB89_15:                              ;   in Loop: Header=BB89_7 Depth=2
	s_or_b64 exec, exec, s[14:15]
	v_add_co_u32_e64 v4, s[14:15], 16, v2
	v_addc_co_u32_e64 v5, s[14:15], 0, v3, s[14:15]
	v_cmp_eq_u64_e64 s[14:15], s[20:21], v[44:45]
	v_cmp_gt_i64_e64 s[18:19], v[4:5], v[34:35]
	s_and_b64 s[26:27], s[36:37], s[14:15]
	s_or_b64 s[18:19], s[16:17], s[18:19]
	v_cmp_le_i64_e64 s[14:15], s[30:31], v[4:5]
	s_or_b64 s[18:19], s[18:19], s[26:27]
	s_or_b64 s[18:19], s[14:15], s[18:19]
	s_xor_b64 s[18:19], s[18:19], -1
	s_and_saveexec_b64 s[28:29], s[18:19]
	s_xor_b64 s[28:29], exec, s[28:29]
	s_cbranch_execz .LBB89_17
; %bb.16:                               ;   in Loop: Header=BB89_7 Depth=2
	v_add_co_u32_e64 v4, s[18:19], v48, v38
	v_addc_co_u32_e64 v5, s[18:19], v49, v39, s[18:19]
	global_load_dwordx2 v[4:5], v[4:5], off
	s_waitcnt vmcnt(0)
	ds_write_b64 v53, v[4:5] offset:128
.LBB89_17:                              ;   in Loop: Header=BB89_7 Depth=2
	s_andn2_saveexec_b64 s[18:19], s[28:29]
	s_cbranch_execz .LBB89_23
; %bb.18:                               ;   in Loop: Header=BB89_7 Depth=2
	s_xor_b64 s[26:27], s[26:27], -1
	s_and_saveexec_b64 s[28:29], s[26:27]
	s_xor_b64 s[26:27], exec, s[28:29]
	s_cbranch_execz .LBB89_20
; %bb.19:                               ;   in Loop: Header=BB89_7 Depth=2
	v_mov_b32_e32 v4, v17
	v_mov_b32_e32 v5, v17
	ds_write_b64 v53, v[4:5] offset:128
.LBB89_20:                              ;   in Loop: Header=BB89_7 Depth=2
	s_andn2_saveexec_b64 s[26:27], s[26:27]
	s_cbranch_execz .LBB89_22
; %bb.21:                               ;   in Loop: Header=BB89_7 Depth=2
	ds_write_b64 v53, v[16:17] offset:128
.LBB89_22:                              ;   in Loop: Header=BB89_7 Depth=2
	s_or_b64 exec, exec, s[26:27]
.LBB89_23:                              ;   in Loop: Header=BB89_7 Depth=2
	s_or_b64 exec, exec, s[18:19]
	v_cmp_eq_u64_e64 s[18:19], s[20:21], v[42:43]
	s_and_b64 s[26:27], s[36:37], s[18:19]
	v_cmp_gt_i64_e64 s[18:19], v[2:3], v[40:41]
	s_or_b64 s[18:19], s[8:9], s[18:19]
	s_or_b64 s[18:19], s[18:19], s[26:27]
	;; [unrolled: 1-line block ×3, first 2 shown]
	s_xor_b64 s[12:13], s[12:13], -1
	s_and_saveexec_b64 s[18:19], s[12:13]
	s_xor_b64 s[12:13], exec, s[18:19]
	s_cbranch_execz .LBB89_25
; %bb.24:                               ;   in Loop: Header=BB89_7 Depth=2
	global_load_dwordx2 v[0:1], v[0:1], off offset:128
	s_waitcnt vmcnt(0)
	ds_write_b64 v53, v[0:1] offset:4096
.LBB89_25:                              ;   in Loop: Header=BB89_7 Depth=2
	s_andn2_saveexec_b64 s[12:13], s[12:13]
	s_cbranch_execz .LBB89_31
; %bb.26:                               ;   in Loop: Header=BB89_7 Depth=2
	s_xor_b64 s[18:19], s[26:27], -1
	s_and_saveexec_b64 s[26:27], s[18:19]
	s_xor_b64 s[18:19], exec, s[26:27]
	s_cbranch_execz .LBB89_28
; %bb.27:                               ;   in Loop: Header=BB89_7 Depth=2
	v_mov_b32_e32 v0, v17
	v_mov_b32_e32 v1, v17
	ds_write_b64 v53, v[0:1] offset:4096
.LBB89_28:                              ;   in Loop: Header=BB89_7 Depth=2
	s_andn2_saveexec_b64 s[18:19], s[18:19]
	s_cbranch_execz .LBB89_30
; %bb.29:                               ;   in Loop: Header=BB89_7 Depth=2
	ds_write_b64 v53, v[16:17] offset:4096
.LBB89_30:                              ;   in Loop: Header=BB89_7 Depth=2
	s_or_b64 exec, exec, s[18:19]
.LBB89_31:                              ;   in Loop: Header=BB89_7 Depth=2
	s_or_b64 exec, exec, s[12:13]
	s_or_b64 s[10:11], s[8:9], s[10:11]
	s_or_b64 s[10:11], s[10:11], s[24:25]
	;; [unrolled: 1-line block ×3, first 2 shown]
	s_xor_b64 s[10:11], s[10:11], -1
	s_and_saveexec_b64 s[12:13], s[10:11]
	s_xor_b64 s[12:13], exec, s[12:13]
	s_cbranch_execz .LBB89_33
; %bb.32:                               ;   in Loop: Header=BB89_7 Depth=2
	v_add_co_u32_e64 v0, s[10:11], v48, v38
	v_addc_co_u32_e64 v1, s[10:11], v49, v39, s[10:11]
	global_load_dwordx2 v[0:1], v[0:1], off offset:128
	s_waitcnt vmcnt(0)
	ds_write_b64 v53, v[0:1] offset:4224
.LBB89_33:                              ;   in Loop: Header=BB89_7 Depth=2
	s_andn2_saveexec_b64 s[10:11], s[12:13]
	s_cbranch_execz .LBB89_39
; %bb.34:                               ;   in Loop: Header=BB89_7 Depth=2
	s_and_saveexec_b64 s[12:13], s[22:23]
	s_xor_b64 s[12:13], exec, s[12:13]
	s_cbranch_execz .LBB89_36
; %bb.35:                               ;   in Loop: Header=BB89_7 Depth=2
	v_mov_b32_e32 v0, v17
	v_mov_b32_e32 v1, v17
	ds_write_b64 v53, v[0:1] offset:4224
.LBB89_36:                              ;   in Loop: Header=BB89_7 Depth=2
	s_andn2_saveexec_b64 s[12:13], s[12:13]
	s_cbranch_execz .LBB89_38
; %bb.37:                               ;   in Loop: Header=BB89_7 Depth=2
	ds_write_b64 v53, v[16:17] offset:4224
.LBB89_38:                              ;   in Loop: Header=BB89_7 Depth=2
	s_or_b64 exec, exec, s[12:13]
.LBB89_39:                              ;   in Loop: Header=BB89_7 Depth=2
	s_or_b64 exec, exec, s[10:11]
	v_mov_b32_e32 v1, s21
	v_add_co_u32_e64 v0, s[10:11], s20, v12
	v_addc_co_u32_e64 v1, s[10:11], 0, v1, s[10:11]
	v_add_co_u32_e64 v2, s[10:11], v50, v24
	v_addc_co_u32_e64 v3, s[10:11], v51, v25, s[10:11]
	v_cmp_le_i64_e64 s[10:11], s[30:31], v[0:1]
	s_or_b64 s[12:13], s[10:11], vcc
	s_xor_b64 s[12:13], s[12:13], -1
	s_and_saveexec_b64 s[14:15], s[12:13]
	s_xor_b64 s[12:13], exec, s[14:15]
	s_cbranch_execz .LBB89_41
; %bb.40:                               ;   in Loop: Header=BB89_7 Depth=2
	global_load_dwordx2 v[4:5], v[2:3], off offset:-128
	s_waitcnt vmcnt(0)
	ds_write_b64 v57, v[4:5]
.LBB89_41:                              ;   in Loop: Header=BB89_7 Depth=2
	s_andn2_saveexec_b64 s[12:13], s[12:13]
	s_cbranch_execz .LBB89_43
; %bb.42:                               ;   in Loop: Header=BB89_7 Depth=2
	v_mov_b32_e32 v4, v17
	v_mov_b32_e32 v5, v17
	ds_write_b64 v57, v[4:5]
.LBB89_43:                              ;   in Loop: Header=BB89_7 Depth=2
	s_or_b64 exec, exec, s[12:13]
	s_or_b64 s[10:11], s[10:11], s[0:1]
	s_xor_b64 s[10:11], s[10:11], -1
	s_and_saveexec_b64 s[12:13], s[10:11]
	s_xor_b64 s[10:11], exec, s[12:13]
	s_cbranch_execz .LBB89_45
; %bb.44:                               ;   in Loop: Header=BB89_7 Depth=2
	global_load_dwordx2 v[2:3], v[2:3], off
	s_waitcnt vmcnt(0)
	ds_write_b64 v57, v[2:3] offset:128
.LBB89_45:                              ;   in Loop: Header=BB89_7 Depth=2
	s_andn2_saveexec_b64 s[10:11], s[10:11]
	s_cbranch_execz .LBB89_47
; %bb.46:                               ;   in Loop: Header=BB89_7 Depth=2
	v_mov_b32_e32 v2, v17
	v_mov_b32_e32 v3, v17
	ds_write_b64 v57, v[2:3] offset:128
.LBB89_47:                              ;   in Loop: Header=BB89_7 Depth=2
	s_or_b64 exec, exec, s[10:11]
	v_cmp_le_i64_e64 s[10:11], s[44:45], v[0:1]
	s_or_b64 s[12:13], s[10:11], vcc
	s_xor_b64 s[12:13], s[12:13], -1
	s_and_saveexec_b64 s[14:15], s[12:13]
	s_xor_b64 s[14:15], exec, s[14:15]
	s_cbranch_execz .LBB89_49
; %bb.48:                               ;   in Loop: Header=BB89_7 Depth=2
	v_add_co_u32_e64 v0, s[12:13], v50, v32
	v_addc_co_u32_e64 v1, s[12:13], v51, v13, s[12:13]
	global_load_dwordx2 v[0:1], v[0:1], off offset:-128
	s_waitcnt vmcnt(0)
	ds_write_b64 v57, v[0:1] offset:4096
.LBB89_49:                              ;   in Loop: Header=BB89_7 Depth=2
	s_andn2_saveexec_b64 s[12:13], s[14:15]
	s_cbranch_execz .LBB89_51
; %bb.50:                               ;   in Loop: Header=BB89_7 Depth=2
	v_mov_b32_e32 v0, v17
	v_mov_b32_e32 v1, v17
	ds_write_b64 v57, v[0:1] offset:4096
.LBB89_51:                              ;   in Loop: Header=BB89_7 Depth=2
	s_or_b64 exec, exec, s[12:13]
	s_or_b64 s[10:11], s[10:11], s[0:1]
	s_xor_b64 s[10:11], s[10:11], -1
	s_and_saveexec_b64 s[12:13], s[10:11]
	s_xor_b64 s[12:13], exec, s[12:13]
	s_cbranch_execz .LBB89_53
; %bb.52:                               ;   in Loop: Header=BB89_7 Depth=2
	v_add_co_u32_e64 v0, s[10:11], v50, v32
	v_addc_co_u32_e64 v1, s[10:11], v51, v13, s[10:11]
	global_load_dwordx2 v[0:1], v[0:1], off
	s_waitcnt vmcnt(0)
	ds_write_b64 v57, v[0:1] offset:4224
.LBB89_53:                              ;   in Loop: Header=BB89_7 Depth=2
	s_andn2_saveexec_b64 s[10:11], s[12:13]
	s_cbranch_execz .LBB89_6
; %bb.54:                               ;   in Loop: Header=BB89_7 Depth=2
	v_mov_b32_e32 v0, v17
	v_mov_b32_e32 v1, v17
	ds_write_b64 v57, v[0:1] offset:4224
	s_branch .LBB89_6
.LBB89_55:                              ;   in Loop: Header=BB89_4 Depth=1
	v_mul_lo_u32 v2, v35, s40
	v_mul_lo_u32 v3, v34, s41
	v_mad_u64_u32 v[0:1], s[10:11], v34, s40, 0
	v_add3_u32 v1, v1, v3, v2
	v_lshlrev_b64 v[0:1], 3, v[0:1]
	v_mov_b32_e32 v2, s47
	v_add_co_u32_e64 v0, s[10:11], s46, v0
	v_cmp_gt_i32_e64 s[8:9], s30, v34
	v_addc_co_u32_e64 v1, s[10:11], v2, v1, s[10:11]
	s_and_b64 s[10:11], s[2:3], s[8:9]
	s_and_saveexec_b64 s[12:13], s[10:11]
	s_cbranch_execz .LBB89_57
; %bb.56:                               ;   in Loop: Header=BB89_4 Depth=1
	v_add_co_u32_e64 v2, s[10:11], v0, v26
	v_addc_co_u32_e64 v3, s[10:11], v1, v27, s[10:11]
	global_load_dwordx2 v[4:5], v[2:3], off
	v_pk_mul_f32 v[6:7], v[66:67], s[34:35] op_sel_hi:[0,1]
	v_pk_fma_f32 v[8:9], v[64:65], s[34:35], v[6:7] op_sel:[0,0,1] op_sel_hi:[1,1,0] neg_lo:[0,0,1] neg_hi:[0,0,1]
	v_pk_fma_f32 v[6:7], v[64:65], s[34:35], v[6:7] op_sel:[0,0,1] op_sel_hi:[0,1,0]
	v_mov_b32_e32 v9, v7
	s_waitcnt vmcnt(0)
	v_pk_add_f32 v[4:5], v[4:5], v[8:9]
	global_store_dwordx2 v[2:3], v[4:5], off
.LBB89_57:                              ;   in Loop: Header=BB89_4 Depth=1
	s_or_b64 exec, exec, s[12:13]
	s_and_b64 s[8:9], s[4:5], s[8:9]
	s_and_saveexec_b64 s[10:11], s[8:9]
	s_cbranch_execz .LBB89_59
; %bb.58:                               ;   in Loop: Header=BB89_4 Depth=1
	v_lshlrev_b64 v[2:3], 3, v[20:21]
	v_add_co_u32_e64 v0, s[8:9], v0, v2
	v_addc_co_u32_e64 v1, s[8:9], v1, v3, s[8:9]
	global_load_dwordx2 v[2:3], v[0:1], off
	v_pk_mul_f32 v[4:5], v[62:63], s[34:35] op_sel_hi:[0,1]
	v_pk_fma_f32 v[6:7], v[60:61], s[34:35], v[4:5] op_sel:[0,0,1] op_sel_hi:[1,1,0] neg_lo:[0,0,1] neg_hi:[0,0,1]
	v_pk_fma_f32 v[4:5], v[60:61], s[34:35], v[4:5] op_sel:[0,0,1] op_sel_hi:[0,1,0]
	v_mov_b32_e32 v7, v5
	s_waitcnt vmcnt(0)
	v_pk_add_f32 v[2:3], v[2:3], v[6:7]
	global_store_dwordx2 v[0:1], v[2:3], off
.LBB89_59:                              ;   in Loop: Header=BB89_4 Depth=1
	s_or_b64 exec, exec, s[10:11]
	v_add_u32_e32 v0, 16, v34
	v_ashrrev_i32_e32 v1, 31, v0
	v_cmp_gt_i32_e64 s[8:9], s30, v0
	v_mul_lo_u32 v2, v1, s40
	v_mul_lo_u32 v3, v0, s41
	v_mad_u64_u32 v[0:1], s[10:11], v0, s40, 0
	v_add3_u32 v1, v1, v3, v2
	v_lshlrev_b64 v[0:1], 3, v[0:1]
	v_mov_b32_e32 v2, s47
	v_add_co_u32_e64 v0, s[10:11], s46, v0
	v_addc_co_u32_e64 v1, s[10:11], v2, v1, s[10:11]
	s_and_b64 s[10:11], s[2:3], s[8:9]
	s_and_saveexec_b64 s[12:13], s[10:11]
	s_cbranch_execz .LBB89_61
; %bb.60:                               ;   in Loop: Header=BB89_4 Depth=1
	v_add_co_u32_e64 v2, s[10:11], v0, v26
	v_addc_co_u32_e64 v3, s[10:11], v1, v27, s[10:11]
	global_load_dwordx2 v[4:5], v[2:3], off
	v_pk_mul_f32 v[6:7], v[58:59], s[34:35] op_sel_hi:[0,1]
	v_pk_fma_f32 v[8:9], v[56:57], s[34:35], v[6:7] op_sel:[0,0,1] op_sel_hi:[1,1,0] neg_lo:[0,0,1] neg_hi:[0,0,1]
	v_pk_fma_f32 v[6:7], v[56:57], s[34:35], v[6:7] op_sel:[0,0,1] op_sel_hi:[0,1,0]
	v_mov_b32_e32 v9, v7
	s_waitcnt vmcnt(0)
	v_pk_add_f32 v[4:5], v[4:5], v[8:9]
	global_store_dwordx2 v[2:3], v[4:5], off
.LBB89_61:                              ;   in Loop: Header=BB89_4 Depth=1
	s_or_b64 exec, exec, s[12:13]
	s_and_b64 s[8:9], s[4:5], s[8:9]
	s_and_saveexec_b64 s[10:11], s[8:9]
	s_cbranch_execz .LBB89_3
; %bb.62:                               ;   in Loop: Header=BB89_4 Depth=1
	v_lshlrev_b64 v[2:3], 3, v[20:21]
	v_add_co_u32_e64 v0, s[8:9], v0, v2
	v_addc_co_u32_e64 v1, s[8:9], v1, v3, s[8:9]
	global_load_dwordx2 v[2:3], v[0:1], off
	v_pk_mul_f32 v[4:5], v[52:53], s[34:35] op_sel_hi:[0,1]
	v_pk_fma_f32 v[6:7], v[54:55], s[34:35], v[4:5] op_sel:[0,0,1] op_sel_hi:[1,1,0] neg_lo:[0,0,1] neg_hi:[0,0,1]
	v_pk_fma_f32 v[4:5], v[54:55], s[34:35], v[4:5] op_sel:[0,0,1] op_sel_hi:[0,1,0]
	v_mov_b32_e32 v7, v5
	s_waitcnt vmcnt(0)
	v_pk_add_f32 v[2:3], v[2:3], v[6:7]
	global_store_dwordx2 v[0:1], v[2:3], off
	s_branch .LBB89_3
.LBB89_63:
	s_endpgm
	.section	.rodata,"a",@progbits
	.p2align	6, 0x0
	.amdhsa_kernel _ZL30rocblas_trmm_outofplace_kernelI19rocblas_complex_numIfELi32ELi2ELb0ELb0ELb1ELb0ES1_KS1_S1_Ev17rocblas_diagonal_iiT6_lPT7_lllS6_lllPT8_llli
		.amdhsa_group_segment_fixed_size 16384
		.amdhsa_private_segment_fixed_size 0
		.amdhsa_kernarg_size 392
		.amdhsa_user_sgpr_count 6
		.amdhsa_user_sgpr_private_segment_buffer 1
		.amdhsa_user_sgpr_dispatch_ptr 0
		.amdhsa_user_sgpr_queue_ptr 0
		.amdhsa_user_sgpr_kernarg_segment_ptr 1
		.amdhsa_user_sgpr_dispatch_id 0
		.amdhsa_user_sgpr_flat_scratch_init 0
		.amdhsa_user_sgpr_kernarg_preload_length 0
		.amdhsa_user_sgpr_kernarg_preload_offset 0
		.amdhsa_user_sgpr_private_segment_size 0
		.amdhsa_uses_dynamic_stack 0
		.amdhsa_system_sgpr_private_segment_wavefront_offset 0
		.amdhsa_system_sgpr_workgroup_id_x 1
		.amdhsa_system_sgpr_workgroup_id_y 1
		.amdhsa_system_sgpr_workgroup_id_z 1
		.amdhsa_system_sgpr_workgroup_info 0
		.amdhsa_system_vgpr_workitem_id 1
		.amdhsa_next_free_vgpr 84
		.amdhsa_next_free_sgpr 50
		.amdhsa_accum_offset 84
		.amdhsa_reserve_vcc 1
		.amdhsa_reserve_flat_scratch 0
		.amdhsa_float_round_mode_32 0
		.amdhsa_float_round_mode_16_64 0
		.amdhsa_float_denorm_mode_32 3
		.amdhsa_float_denorm_mode_16_64 3
		.amdhsa_dx10_clamp 1
		.amdhsa_ieee_mode 1
		.amdhsa_fp16_overflow 0
		.amdhsa_tg_split 0
		.amdhsa_exception_fp_ieee_invalid_op 0
		.amdhsa_exception_fp_denorm_src 0
		.amdhsa_exception_fp_ieee_div_zero 0
		.amdhsa_exception_fp_ieee_overflow 0
		.amdhsa_exception_fp_ieee_underflow 0
		.amdhsa_exception_fp_ieee_inexact 0
		.amdhsa_exception_int_div_zero 0
	.end_amdhsa_kernel
	.section	.text._ZL30rocblas_trmm_outofplace_kernelI19rocblas_complex_numIfELi32ELi2ELb0ELb0ELb1ELb0ES1_KS1_S1_Ev17rocblas_diagonal_iiT6_lPT7_lllS6_lllPT8_llli,"axG",@progbits,_ZL30rocblas_trmm_outofplace_kernelI19rocblas_complex_numIfELi32ELi2ELb0ELb0ELb1ELb0ES1_KS1_S1_Ev17rocblas_diagonal_iiT6_lPT7_lllS6_lllPT8_llli,comdat
.Lfunc_end89:
	.size	_ZL30rocblas_trmm_outofplace_kernelI19rocblas_complex_numIfELi32ELi2ELb0ELb0ELb1ELb0ES1_KS1_S1_Ev17rocblas_diagonal_iiT6_lPT7_lllS6_lllPT8_llli, .Lfunc_end89-_ZL30rocblas_trmm_outofplace_kernelI19rocblas_complex_numIfELi32ELi2ELb0ELb0ELb1ELb0ES1_KS1_S1_Ev17rocblas_diagonal_iiT6_lPT7_lllS6_lllPT8_llli
                                        ; -- End function
	.section	.AMDGPU.csdata,"",@progbits
; Kernel info:
; codeLenInByte = 6748
; NumSgprs: 54
; NumVgprs: 84
; NumAgprs: 0
; TotalNumVgprs: 84
; ScratchSize: 0
; MemoryBound: 1
; FloatMode: 240
; IeeeMode: 1
; LDSByteSize: 16384 bytes/workgroup (compile time only)
; SGPRBlocks: 6
; VGPRBlocks: 10
; NumSGPRsForWavesPerEU: 54
; NumVGPRsForWavesPerEU: 84
; AccumOffset: 84
; Occupancy: 5
; WaveLimiterHint : 0
; COMPUTE_PGM_RSRC2:SCRATCH_EN: 0
; COMPUTE_PGM_RSRC2:USER_SGPR: 6
; COMPUTE_PGM_RSRC2:TRAP_HANDLER: 0
; COMPUTE_PGM_RSRC2:TGID_X_EN: 1
; COMPUTE_PGM_RSRC2:TGID_Y_EN: 1
; COMPUTE_PGM_RSRC2:TGID_Z_EN: 1
; COMPUTE_PGM_RSRC2:TIDIG_COMP_CNT: 1
; COMPUTE_PGM_RSRC3_GFX90A:ACCUM_OFFSET: 20
; COMPUTE_PGM_RSRC3_GFX90A:TG_SPLIT: 0
	.section	.text._ZL30rocblas_trmm_outofplace_kernelI19rocblas_complex_numIfELi32ELi2ELb0ELb1ELb1ELb0EPKS1_S2_S1_Ev17rocblas_diagonal_iiT6_lPT7_lllS7_lllPT8_llli,"axG",@progbits,_ZL30rocblas_trmm_outofplace_kernelI19rocblas_complex_numIfELi32ELi2ELb0ELb1ELb1ELb0EPKS1_S2_S1_Ev17rocblas_diagonal_iiT6_lPT7_lllS7_lllPT8_llli,comdat
	.globl	_ZL30rocblas_trmm_outofplace_kernelI19rocblas_complex_numIfELi32ELi2ELb0ELb1ELb1ELb0EPKS1_S2_S1_Ev17rocblas_diagonal_iiT6_lPT7_lllS7_lllPT8_llli ; -- Begin function _ZL30rocblas_trmm_outofplace_kernelI19rocblas_complex_numIfELi32ELi2ELb0ELb1ELb1ELb0EPKS1_S2_S1_Ev17rocblas_diagonal_iiT6_lPT7_lllS7_lllPT8_llli
	.p2align	8
	.type	_ZL30rocblas_trmm_outofplace_kernelI19rocblas_complex_numIfELi32ELi2ELb0ELb1ELb1ELb0EPKS1_S2_S1_Ev17rocblas_diagonal_iiT6_lPT7_lllS7_lllPT8_llli,@function
_ZL30rocblas_trmm_outofplace_kernelI19rocblas_complex_numIfELi32ELi2ELb0ELb1ELb1ELb0EPKS1_S2_S1_Ev17rocblas_diagonal_iiT6_lPT7_lllS7_lllPT8_llli: ; @_ZL30rocblas_trmm_outofplace_kernelI19rocblas_complex_numIfELi32ELi2ELb0ELb1ELb1ELb0EPKS1_S2_S1_Ev17rocblas_diagonal_iiT6_lPT7_lllS7_lllPT8_llli
; %bb.0:
	s_load_dwordx16 s[16:31], s[4:5], 0x10
	s_waitcnt lgkmcnt(0)
	s_mul_i32 s0, s8, s19
	s_mul_hi_u32 s1, s8, s18
	s_add_i32 s1, s1, s0
	s_mul_i32 s0, s8, s18
	s_lshl_b64 s[0:1], s[0:1], 3
	s_add_u32 s0, s16, s0
	s_addc_u32 s1, s17, s1
	s_load_dwordx2 s[34:35], s[0:1], 0x0
	s_waitcnt lgkmcnt(0)
	s_or_b32 s0, s34, s35
	s_bitset0_b32 s0, 31
	s_cmp_eq_u32 s0, 0
	s_cbranch_scc1 .LBB90_63
; %bb.1:
	s_load_dwordx4 s[44:47], s[4:5], 0x0
	s_waitcnt lgkmcnt(0)
	s_add_i32 s0, s46, -1
	s_ashr_i32 s1, s0, 31
	s_lshr_b32 s1, s1, 27
	s_add_i32 s0, s0, s1
	s_ashr_i32 s33, s0, 5
	s_cmp_gt_i32 s7, s33
	s_cbranch_scc1 .LBB90_63
; %bb.2:
	s_load_dwordx8 s[36:43], s[4:5], 0x50
	s_load_dwordx4 s[48:51], s[4:5], 0x70
	s_load_dword s56, s[4:5], 0x8c
	v_and_b32_e32 v4, 0x3ff, v0
	v_bfe_u32 v47, v0, 10, 10
	s_waitcnt lgkmcnt(0)
	s_mul_i32 s1, s8, s39
	s_mul_hi_u32 s2, s8, s38
	s_mul_i32 s0, s8, s38
	s_add_i32 s1, s2, s1
	s_lshl_b64 s[0:1], s[0:1], 3
	s_add_u32 s2, s28, s0
	s_addc_u32 s3, s29, s1
	s_lshl_b64 s[0:1], s[30:31], 3
	s_add_u32 s2, s2, s0
	s_addc_u32 s3, s3, s1
	s_mul_i32 s0, s8, s51
	s_mul_hi_u32 s1, s8, s50
	s_add_i32 s1, s1, s0
	s_mul_i32 s0, s8, s50
	s_lshl_b64 s[0:1], s[0:1], 3
	s_add_u32 s4, s40, s0
	s_addc_u32 s5, s41, s1
	s_lshl_b64 s[0:1], s[42:43], 3
	s_add_u32 s57, s4, s0
	s_addc_u32 s58, s5, s1
	s_cmpk_eq_i32 s44, 0x84
	s_cselect_b64 s[28:29], -1, 0
	s_ashr_i32 s47, s46, 31
	s_ashr_i32 s0, s45, 31
	s_lshl_b64 s[30:31], s[24:25], 8
	s_lshl_b64 s[38:39], s[36:37], 8
	v_lshl_add_u32 v0, s6, 5, v4
	s_add_u32 s40, s46, -16
	v_ashrrev_i32_e32 v1, 31, v0
	s_addc_u32 s41, s47, -1
	s_lshl_b32 s9, s7, 5
	v_lshlrev_b64 v[12:13], 3, v[0:1]
	v_add_u32_e32 v18, s9, v4
	v_add_u32_e32 v20, s9, v47
	s_mul_i32 s9, s27, s8
	s_mul_hi_u32 s10, s26, s8
	v_mov_b32_e32 v2, s3
	v_add_co_u32_e32 v14, vcc, s2, v12
	s_add_i32 s9, s10, s9
	s_mul_i32 s8, s26, s8
	v_addc_co_u32_e32 v15, vcc, v2, v13, vcc
	s_lshl_b32 s6, s56, 5
	s_lshl_b64 s[42:43], s[36:37], 3
	s_lshl_b64 s[8:9], s[8:9], 3
	;; [unrolled: 1-line block ×3, first 2 shown]
	v_mov_b32_e32 v3, s0
	v_sub_co_u32_e32 v2, vcc, s45, v0
	s_add_u32 s8, s8, s10
	v_subb_co_u32_e32 v3, vcc, v3, v1, vcc
	v_lshlrev_b32_e32 v1, 3, v4
	s_addc_u32 s9, s9, s11
	v_lshlrev_b32_e32 v49, 8, v47
	v_or_b32_e32 v53, 0x2000, v1
	v_add_u32_e32 v16, 16, v0
	s_add_u32 s20, s20, s8
	v_add_u32_e32 v51, v49, v1
	v_cmp_gt_i64_e64 s[0:1], 1, v[2:3]
	v_add_u32_e32 v55, v53, v49
	v_cmp_gt_i64_e64 s[2:3], 17, v[2:3]
	v_cmp_gt_i32_e64 s[4:5], s45, v0
	v_cmp_gt_i32_e64 s[16:17], s45, v16
	v_ashrrev_i32_e32 v17, 31, v16
	v_add_u32_e32 v57, 0x2080, v1
	s_addc_u32 s21, s21, s9
	s_lshl_b64 s[22:23], s[24:25], 3
	s_movk_i32 s59, 0x80
	v_mov_b32_e32 v23, 0
	v_mov_b32_e32 v22, 1.0
	s_branch .LBB90_4
.LBB90_3:                               ;   in Loop: Header=BB90_4 Depth=1
	s_or_b64 exec, exec, s[8:9]
	s_add_i32 s7, s56, s7
	v_add_u32_e32 v18, s6, v18
	s_cmp_le_i32 s7, s33
	v_add_u32_e32 v20, s6, v20
	s_cbranch_scc0 .LBB90_63
.LBB90_4:                               ; =>This Loop Header: Depth=1
                                        ;     Child Loop BB90_7 Depth 2
	s_lshl_b32 s8, s7, 5
	v_add_u32_e32 v24, s8, v47
	s_sub_i32 s60, s46, s8
	v_ashrrev_i32_e32 v19, 31, v18
	v_ashrrev_i32_e32 v21, 31, v20
	;; [unrolled: 1-line block ×3, first 2 shown]
	s_cmp_lt_i32 s60, 1
	v_mov_b32_e32 v58, v23
	v_mov_b32_e32 v60, v23
	;; [unrolled: 1-line block ×8, first 2 shown]
	s_cbranch_scc1 .LBB90_55
; %bb.5:                                ;   in Loop: Header=BB90_4 Depth=1
	v_mov_b32_e32 v0, 0x80
	v_mov_b32_e32 v1, 0
	v_sub_co_u32_e32 v26, vcc, v20, v18
	v_mad_u64_u32 v[28:29], s[8:9], s42, v20, v[0:1]
	v_mul_lo_u32 v2, s42, v21
	v_mul_lo_u32 v3, s43, v20
	v_subb_co_u32_e32 v27, vcc, v21, v19, vcc
	v_add3_u32 v29, v3, v29, v2
	v_lshlrev_b64 v[2:3], 3, v[18:19]
	v_add_co_u32_e32 v4, vcc, 0x80, v2
	v_addc_co_u32_e32 v2, vcc, 0, v3, vcc
	v_mul_lo_u32 v5, s24, v2
	v_pk_mov_b32 v[2:3], s[20:21], s[20:21] op_sel:[0,1]
	v_lshlrev_b64 v[30:31], 3, v[20:21]
	v_mad_u64_u32 v[32:33], s[8:9], s24, v4, v[2:3]
	v_mad_u64_u32 v[34:35], s[8:9], s22, v18, v[2:3]
	v_mul_lo_u32 v2, s22, v19
	v_mul_lo_u32 v3, s23, v18
	v_add3_u32 v35, v3, v35, v2
	v_add_co_u32_e32 v2, vcc, s59, v30
	v_mad_u64_u32 v[36:37], s[8:9], s36, v2, v[0:1]
	v_add_co_u32_e64 v40, s[10:11], 16, v26
	v_addc_co_u32_e32 v3, vcc, 0, v31, vcc
	v_add_co_u32_e64 v38, s[8:9], 16, v24
	v_addc_co_u32_e64 v41, s[10:11], 0, v27, s[10:11]
	v_mul_lo_u32 v6, s25, v4
	v_mul_lo_u32 v3, s36, v3
	;; [unrolled: 1-line block ×3, first 2 shown]
	v_addc_co_u32_e64 v39, s[8:9], 0, v25, s[8:9]
	v_add_co_u32_e64 v42, s[10:11], -16, v26
	v_add3_u32 v33, v6, v33, v5
	v_add3_u32 v37, v4, v37, v3
	v_cmp_le_i32_e32 vcc, s46, v24
	v_cmp_le_i64_e64 s[8:9], s[46:47], v[38:39]
	v_addc_co_u32_e64 v43, s[10:11], -1, v27, s[10:11]
	s_mov_b64 s[26:27], 0
	v_mov_b32_e32 v46, 0
	v_pk_mov_b32 v[44:45], v[14:15], v[14:15] op_sel:[0,1]
	v_mov_b32_e32 v48, 0
	v_mov_b32_e32 v52, 0
	;; [unrolled: 1-line block ×7, first 2 shown]
	s_branch .LBB90_7
.LBB90_6:                               ;   in Loop: Header=BB90_7 Depth=2
	s_or_b64 exec, exec, s[10:11]
	s_waitcnt lgkmcnt(0)
	s_barrier
	ds_read2_b64 v[62:65], v53 offset1:32
	ds_read_b128 v[66:69], v49
	ds_read_b128 v[8:11], v49 offset:16
	ds_read_b128 v[4:7], v49 offset:32
	;; [unrolled: 1-line block ×3, first 2 shown]
	ds_read2_b64 v[70:73], v57 offset1:32
	s_waitcnt lgkmcnt(4)
	v_mul_f32_e32 v59, v67, v63
	v_fma_f32 v59, v66, v62, -v59
	v_mul_f32_e32 v61, v66, v63
	v_fmac_f32_e32 v61, v67, v62
	v_add_f32_e32 v78, v58, v59
	s_waitcnt lgkmcnt(0)
	v_mul_f32_e32 v58, v67, v71
	v_add_f32_e32 v79, v60, v61
	v_fma_f32 v74, v66, v70, -v58
	ds_read_b128 v[58:61], v49 offset:4096
	v_mul_f32_e32 v66, v66, v71
	v_fmac_f32_e32 v66, v67, v70
	v_add_f32_e32 v54, v54, v74
	ds_read_b128 v[74:77], v49 offset:4112
	v_add_f32_e32 v56, v56, v66
	s_waitcnt lgkmcnt(1)
	v_mul_f32_e32 v66, v59, v63
	v_mul_f32_e32 v63, v58, v63
	v_fma_f32 v66, v58, v62, -v66
	v_fmac_f32_e32 v63, v59, v62
	v_mul_f32_e32 v62, v59, v71
	v_fma_f32 v62, v58, v70, -v62
	v_mul_f32_e32 v58, v58, v71
	v_fmac_f32_e32 v58, v59, v70
	v_add_f32_e32 v46, v46, v58
	v_mul_f32_e32 v58, v69, v65
	v_mul_f32_e32 v59, v68, v65
	v_fma_f32 v58, v68, v64, -v58
	v_fmac_f32_e32 v59, v69, v64
	v_add_f32_e32 v50, v50, v66
	v_add_f32_e32 v66, v78, v58
	;; [unrolled: 1-line block ×3, first 2 shown]
	v_mul_f32_e32 v58, v69, v73
	v_mul_f32_e32 v59, v68, v73
	v_fma_f32 v58, v68, v72, -v58
	v_fmac_f32_e32 v59, v69, v72
	v_add_f32_e32 v54, v54, v58
	v_add_f32_e32 v56, v56, v59
	v_mul_f32_e32 v58, v61, v65
	v_mul_f32_e32 v59, v60, v65
	v_add_f32_e32 v52, v52, v63
	v_add_f32_e32 v48, v48, v62
	v_fma_f32 v58, v60, v64, -v58
	v_fmac_f32_e32 v59, v61, v64
	ds_read2_b64 v[62:65], v53 offset0:64 offset1:96
	v_add_f32_e32 v50, v50, v58
	v_mul_f32_e32 v58, v61, v73
	v_add_f32_e32 v52, v52, v59
	v_fma_f32 v58, v60, v72, -v58
	v_mul_f32_e32 v59, v60, v73
	v_fmac_f32_e32 v59, v61, v72
	v_add_f32_e32 v48, v48, v58
	s_waitcnt lgkmcnt(0)
	v_mul_f32_e32 v58, v9, v63
	v_add_f32_e32 v46, v46, v59
	v_fma_f32 v68, v8, v62, -v58
	ds_read2_b64 v[58:61], v57 offset0:64 offset1:96
	v_add_f32_e32 v66, v66, v68
	v_mul_f32_e32 v69, v8, v63
	v_fmac_f32_e32 v69, v9, v62
	v_add_f32_e32 v67, v67, v69
	s_waitcnt lgkmcnt(0)
	v_mul_f32_e32 v68, v9, v59
	v_fma_f32 v68, v8, v58, -v68
	v_mul_f32_e32 v8, v8, v59
	v_fmac_f32_e32 v8, v9, v58
	v_add_f32_e32 v9, v54, v68
	v_mul_f32_e32 v54, v75, v63
	v_add_f32_e32 v8, v56, v8
	v_fma_f32 v54, v74, v62, -v54
	v_mul_f32_e32 v56, v74, v63
	v_fmac_f32_e32 v56, v75, v62
	v_add_f32_e32 v50, v50, v54
	v_mul_f32_e32 v54, v75, v59
	v_add_f32_e32 v52, v52, v56
	v_fma_f32 v54, v74, v58, -v54
	v_mul_f32_e32 v56, v74, v59
	v_fmac_f32_e32 v56, v75, v58
	v_add_f32_e32 v48, v48, v54
	v_mul_f32_e32 v54, v11, v65
	v_mul_f32_e32 v58, v11, v61
	v_add_f32_e32 v46, v46, v56
	v_fma_f32 v54, v10, v64, -v54
	v_mul_f32_e32 v56, v10, v65
	v_fma_f32 v58, v10, v60, -v58
	v_mul_f32_e32 v10, v10, v61
	v_fmac_f32_e32 v56, v11, v64
	v_fmac_f32_e32 v10, v11, v60
	v_add_f32_e32 v56, v67, v56
	v_add_f32_e32 v67, v8, v10
	v_mul_f32_e32 v8, v77, v65
	v_add_f32_e32 v54, v66, v54
	v_add_f32_e32 v66, v9, v58
	v_fma_f32 v8, v76, v64, -v8
	v_mul_f32_e32 v9, v76, v65
	v_fmac_f32_e32 v9, v77, v64
	v_add_f32_e32 v50, v50, v8
	v_mul_f32_e32 v8, v77, v61
	v_add_f32_e32 v52, v52, v9
	v_fma_f32 v58, v76, v60, -v8
	ds_read2_b64 v[8:11], v53 offset0:128 offset1:160
	v_mul_f32_e32 v59, v76, v61
	v_fmac_f32_e32 v59, v77, v60
	v_add_f32_e32 v48, v48, v58
	v_add_f32_e32 v46, v46, v59
	s_waitcnt lgkmcnt(0)
	v_mul_f32_e32 v58, v5, v9
	v_fma_f32 v62, v4, v8, -v58
	ds_read2_b64 v[58:61], v57 offset0:128 offset1:160
	v_mul_f32_e32 v63, v4, v9
	v_fmac_f32_e32 v63, v5, v8
	v_add_f32_e32 v54, v54, v62
	v_add_f32_e32 v56, v56, v63
	s_waitcnt lgkmcnt(0)
	v_mul_f32_e32 v62, v5, v59
	v_fma_f32 v68, v4, v58, -v62
	ds_read_b128 v[62:65], v49 offset:4128
	v_mul_f32_e32 v4, v4, v59
	v_fmac_f32_e32 v4, v5, v58
	v_add_f32_e32 v5, v66, v68
	v_add_f32_e32 v4, v67, v4
	ds_read_b128 v[66:69], v49 offset:4144
	s_waitcnt lgkmcnt(1)
	v_mul_f32_e32 v70, v63, v9
	v_fma_f32 v70, v62, v8, -v70
	v_mul_f32_e32 v9, v62, v9
	v_fmac_f32_e32 v9, v63, v8
	v_add_f32_e32 v8, v50, v70
	v_mul_f32_e32 v50, v63, v59
	v_fma_f32 v50, v62, v58, -v50
	v_add_f32_e32 v48, v48, v50
	v_mul_f32_e32 v50, v7, v11
	v_add_f32_e32 v9, v52, v9
	v_mul_f32_e32 v52, v62, v59
	v_fma_f32 v50, v6, v10, -v50
	v_fmac_f32_e32 v52, v63, v58
	v_add_f32_e32 v50, v54, v50
	v_mul_f32_e32 v54, v7, v61
	v_add_f32_e32 v46, v46, v52
	v_mul_f32_e32 v52, v6, v11
	v_fma_f32 v54, v6, v60, -v54
	v_mul_f32_e32 v6, v6, v61
	v_fmac_f32_e32 v52, v7, v10
	v_fmac_f32_e32 v6, v7, v60
	v_add_f32_e32 v52, v56, v52
	v_add_f32_e32 v56, v4, v6
	v_mul_f32_e32 v4, v65, v11
	v_add_f32_e32 v54, v5, v54
	v_fma_f32 v4, v64, v10, -v4
	v_mul_f32_e32 v5, v64, v11
	v_fmac_f32_e32 v5, v65, v10
	v_add_f32_e32 v58, v8, v4
	v_mul_f32_e32 v4, v65, v61
	v_add_f32_e32 v59, v9, v5
	v_fma_f32 v8, v64, v60, -v4
	ds_read2_b64 v[4:7], v53 offset0:192 offset1:224
	v_mul_f32_e32 v9, v64, v61
	v_fmac_f32_e32 v9, v65, v60
	v_add_f32_e32 v48, v48, v8
	v_add_f32_e32 v46, v46, v9
	s_waitcnt lgkmcnt(0)
	v_mul_f32_e32 v8, v1, v5
	v_fma_f32 v60, v0, v4, -v8
	ds_read2_b64 v[8:11], v57 offset0:192 offset1:224
	v_add_f32_e32 v50, v50, v60
	v_mul_f32_e32 v61, v0, v5
	v_fmac_f32_e32 v61, v1, v4
	v_add_f32_e32 v52, v52, v61
	s_waitcnt lgkmcnt(0)
	v_mul_f32_e32 v60, v1, v9
	v_fma_f32 v60, v0, v8, -v60
	v_mul_f32_e32 v0, v0, v9
	v_fmac_f32_e32 v0, v1, v8
	v_add_f32_e32 v1, v54, v60
	v_mul_f32_e32 v54, v67, v5
	v_fma_f32 v54, v66, v4, -v54
	v_mul_f32_e32 v5, v66, v5
	v_fmac_f32_e32 v5, v67, v4
	v_add_f32_e32 v4, v58, v54
	v_mul_f32_e32 v54, v67, v9
	v_mul_f32_e32 v9, v66, v9
	v_fma_f32 v54, v66, v8, -v54
	v_fmac_f32_e32 v9, v67, v8
	v_mul_f32_e32 v8, v3, v7
	v_fma_f32 v8, v2, v6, -v8
	v_add_f32_e32 v50, v50, v8
	v_mul_f32_e32 v8, v3, v11
	v_add_f32_e32 v46, v46, v9
	v_mul_f32_e32 v9, v2, v7
	v_fma_f32 v8, v2, v10, -v8
	v_mul_f32_e32 v2, v2, v11
	v_add_f32_e32 v0, v56, v0
	v_fmac_f32_e32 v2, v3, v10
	v_add_f32_e32 v56, v0, v2
	v_mul_f32_e32 v0, v69, v7
	v_add_f32_e32 v48, v48, v54
	v_add_f32_e32 v54, v1, v8
	v_fma_f32 v0, v68, v6, -v0
	v_mul_f32_e32 v1, v68, v7
	v_add_f32_e32 v5, v59, v5
	v_fmac_f32_e32 v9, v3, v6
	v_fmac_f32_e32 v1, v69, v6
	v_add_f32_e32 v74, v4, v0
	v_mul_f32_e32 v0, v69, v11
	v_add_u32_e32 v4, 0x800, v53
	v_add_f32_e32 v52, v52, v9
	v_add_f32_e32 v75, v5, v1
	v_fma_f32 v5, v68, v10, -v0
	ds_read2_b64 v[0:3], v4 offset1:32
	ds_read_b128 v[6:9], v49 offset:64
	v_mul_f32_e32 v11, v68, v11
	v_fmac_f32_e32 v11, v69, v10
	v_add_f32_e32 v10, v48, v5
	v_add_f32_e32 v11, v46, v11
	s_waitcnt lgkmcnt(0)
	v_mul_f32_e32 v5, v7, v1
	v_fma_f32 v46, v6, v0, -v5
	v_add_u32_e32 v5, 0x800, v57
	ds_read2_b64 v[62:65], v5 offset1:32
	ds_read_b128 v[58:61], v49 offset:80
	ds_read_b128 v[66:69], v49 offset:4160
	v_add_f32_e32 v46, v50, v46
	v_mul_f32_e32 v48, v6, v1
	s_waitcnt lgkmcnt(2)
	v_mul_f32_e32 v50, v7, v63
	v_fma_f32 v50, v6, v62, -v50
	v_mul_f32_e32 v6, v6, v63
	v_fmac_f32_e32 v48, v7, v0
	v_fmac_f32_e32 v6, v7, v62
	v_add_f32_e32 v7, v54, v50
	s_waitcnt lgkmcnt(0)
	v_mul_f32_e32 v50, v67, v1
	v_fma_f32 v50, v66, v0, -v50
	v_mul_f32_e32 v1, v66, v1
	v_fmac_f32_e32 v1, v67, v0
	v_add_f32_e32 v0, v74, v50
	v_mul_f32_e32 v50, v67, v63
	v_fma_f32 v50, v66, v62, -v50
	v_add_f32_e32 v10, v10, v50
	v_mul_f32_e32 v50, v9, v3
	v_add_f32_e32 v48, v52, v48
	v_mul_f32_e32 v52, v66, v63
	v_fma_f32 v50, v8, v2, -v50
	v_fmac_f32_e32 v52, v67, v62
	v_add_f32_e32 v46, v46, v50
	v_mul_f32_e32 v50, v9, v65
	v_add_f32_e32 v11, v11, v52
	v_mul_f32_e32 v52, v8, v3
	v_fma_f32 v50, v8, v64, -v50
	v_mul_f32_e32 v8, v8, v65
	v_add_f32_e32 v6, v56, v6
	v_fmac_f32_e32 v52, v9, v2
	v_fmac_f32_e32 v8, v9, v64
	v_add_f32_e32 v48, v48, v52
	v_add_f32_e32 v52, v6, v8
	v_mul_f32_e32 v6, v69, v3
	v_fma_f32 v6, v68, v2, -v6
	v_mul_f32_e32 v3, v68, v3
	v_add_f32_e32 v1, v75, v1
	v_fmac_f32_e32 v3, v69, v2
	v_add_f32_e32 v54, v0, v6
	v_mul_f32_e32 v0, v69, v65
	v_add_f32_e32 v56, v1, v3
	v_fma_f32 v6, v68, v64, -v0
	ds_read2_b64 v[0:3], v4 offset0:64 offset1:96
	v_add_f32_e32 v50, v7, v50
	v_mul_f32_e32 v7, v68, v65
	v_fmac_f32_e32 v7, v69, v64
	v_add_f32_e32 v10, v10, v6
	s_waitcnt lgkmcnt(0)
	v_mul_f32_e32 v6, v59, v1
	v_add_f32_e32 v11, v11, v7
	v_fma_f32 v62, v58, v0, -v6
	ds_read2_b64 v[6:9], v5 offset0:64 offset1:96
	ds_read_b128 v[70:73], v49 offset:4176
	v_add_f32_e32 v46, v46, v62
	v_mul_f32_e32 v63, v58, v1
	v_fmac_f32_e32 v63, v59, v0
	s_waitcnt lgkmcnt(1)
	v_mul_f32_e32 v62, v59, v7
	v_fma_f32 v62, v58, v6, -v62
	v_mul_f32_e32 v58, v58, v7
	v_fmac_f32_e32 v58, v59, v6
	v_add_f32_e32 v52, v52, v58
	s_waitcnt lgkmcnt(0)
	v_mul_f32_e32 v58, v71, v1
	v_fma_f32 v58, v70, v0, -v58
	v_mul_f32_e32 v1, v70, v1
	v_fmac_f32_e32 v1, v71, v0
	v_add_f32_e32 v0, v54, v58
	v_mul_f32_e32 v54, v71, v7
	v_fma_f32 v54, v70, v6, -v54
	v_mul_f32_e32 v7, v70, v7
	v_fmac_f32_e32 v7, v71, v6
	v_add_f32_e32 v6, v10, v54
	v_mul_f32_e32 v10, v61, v3
	v_fma_f32 v10, v60, v2, -v10
	v_add_f32_e32 v10, v46, v10
	v_mul_f32_e32 v46, v61, v9
	v_add_f32_e32 v50, v50, v62
	v_add_f32_e32 v7, v11, v7
	v_mul_f32_e32 v11, v60, v3
	v_fma_f32 v46, v60, v8, -v46
	v_add_f32_e32 v48, v48, v63
	v_fmac_f32_e32 v11, v61, v2
	v_add_f32_e32 v46, v50, v46
	v_mul_f32_e32 v50, v73, v3
	v_add_f32_e32 v11, v48, v11
	v_mul_f32_e32 v48, v60, v9
	v_fma_f32 v50, v72, v2, -v50
	v_mul_f32_e32 v3, v72, v3
	v_add_f32_e32 v1, v56, v1
	v_fmac_f32_e32 v48, v61, v8
	v_fmac_f32_e32 v3, v73, v2
	v_add_f32_e32 v50, v0, v50
	v_mul_f32_e32 v0, v73, v9
	v_add_f32_e32 v48, v52, v48
	v_add_f32_e32 v52, v1, v3
	v_fma_f32 v54, v72, v8, -v0
	ds_read2_b64 v[0:3], v4 offset0:128 offset1:160
	ds_read_b128 v[58:61], v49 offset:96
	v_mul_f32_e32 v9, v72, v9
	v_fmac_f32_e32 v9, v73, v8
	v_add_f32_e32 v54, v6, v54
	v_add_f32_e32 v56, v7, v9
	s_waitcnt lgkmcnt(0)
	v_mul_f32_e32 v62, v59, v1
	v_fma_f32 v66, v58, v0, -v62
	ds_read2_b64 v[62:65], v5 offset0:128 offset1:160
	v_mul_f32_e32 v67, v58, v1
	v_fmac_f32_e32 v67, v59, v0
	v_add_f32_e32 v10, v10, v66
	ds_read_b128 v[6:9], v49 offset:112
	s_waitcnt lgkmcnt(1)
	v_mul_f32_e32 v66, v59, v63
	v_add_f32_e32 v11, v11, v67
	v_fma_f32 v70, v58, v62, -v66
	ds_read_b128 v[66:69], v49 offset:4192
	v_mul_f32_e32 v58, v58, v63
	v_fmac_f32_e32 v58, v59, v62
	v_add_f32_e32 v48, v48, v58
	v_add_f32_e32 v46, v46, v70
	s_waitcnt lgkmcnt(0)
	v_mul_f32_e32 v58, v67, v1
	v_fma_f32 v58, v66, v0, -v58
	v_mul_f32_e32 v1, v66, v1
	v_fmac_f32_e32 v1, v67, v0
	v_add_f32_e32 v0, v50, v58
	v_mul_f32_e32 v50, v67, v63
	v_fma_f32 v50, v66, v62, -v50
	v_add_f32_e32 v50, v54, v50
	v_mul_f32_e32 v54, v61, v3
	v_add_f32_e32 v1, v52, v1
	v_mul_f32_e32 v52, v66, v63
	v_fma_f32 v54, v60, v2, -v54
	v_fmac_f32_e32 v52, v67, v62
	v_add_f32_e32 v10, v10, v54
	v_mul_f32_e32 v54, v61, v65
	v_add_f32_e32 v52, v56, v52
	v_mul_f32_e32 v56, v60, v3
	v_fma_f32 v54, v60, v64, -v54
	v_fmac_f32_e32 v56, v61, v2
	v_add_f32_e32 v46, v46, v54
	v_mul_f32_e32 v54, v69, v3
	v_add_f32_e32 v11, v11, v56
	v_mul_f32_e32 v56, v60, v65
	v_fma_f32 v54, v68, v2, -v54
	v_mul_f32_e32 v3, v68, v3
	v_fmac_f32_e32 v56, v61, v64
	v_fmac_f32_e32 v3, v69, v2
	v_add_f32_e32 v54, v0, v54
	v_mul_f32_e32 v0, v69, v65
	v_add_f32_e32 v48, v48, v56
	v_add_f32_e32 v56, v1, v3
	v_fma_f32 v58, v68, v64, -v0
	ds_read2_b64 v[0:3], v4 offset0:192 offset1:224
	v_add_f32_e32 v50, v50, v58
	ds_read2_b64 v[58:61], v5 offset0:192 offset1:224
	ds_read_b128 v[70:73], v49 offset:4208
	v_mul_f32_e32 v4, v68, v65
	s_waitcnt lgkmcnt(2)
	v_mul_f32_e32 v5, v6, v1
	v_fmac_f32_e32 v4, v69, v64
	v_fmac_f32_e32 v5, v7, v0
	v_add_f32_e32 v4, v52, v4
	v_mul_f32_e32 v52, v7, v1
	v_add_f32_e32 v5, v11, v5
	s_waitcnt lgkmcnt(1)
	v_mul_f32_e32 v11, v7, v59
	v_fma_f32 v52, v6, v0, -v52
	v_fma_f32 v11, v6, v58, -v11
	v_mul_f32_e32 v6, v6, v59
	v_fmac_f32_e32 v6, v7, v58
	v_add_f32_e32 v7, v46, v11
	s_waitcnt lgkmcnt(0)
	v_mul_f32_e32 v46, v70, v59
	v_fmac_f32_e32 v46, v71, v58
	v_mul_f32_e32 v11, v71, v1
	v_add_f32_e32 v46, v4, v46
	v_mul_f32_e32 v4, v9, v3
	v_add_f32_e32 v10, v10, v52
	v_fma_f32 v11, v70, v0, -v11
	v_mul_f32_e32 v1, v70, v1
	v_fma_f32 v4, v8, v2, -v4
	v_fmac_f32_e32 v1, v71, v0
	v_add_f32_e32 v0, v54, v11
	v_mul_f32_e32 v11, v71, v59
	v_add_f32_e32 v10, v10, v4
	v_mul_f32_e32 v4, v9, v61
	v_add_f32_e32 v6, v48, v6
	v_fma_f32 v11, v70, v58, -v11
	v_mul_f32_e32 v48, v8, v3
	v_fma_f32 v4, v8, v60, -v4
	v_add_f32_e32 v11, v50, v11
	v_fmac_f32_e32 v48, v9, v2
	v_add_f32_e32 v50, v7, v4
	v_mul_f32_e32 v4, v73, v3
	v_add_f32_e32 v48, v5, v48
	v_mul_f32_e32 v5, v8, v61
	v_fma_f32 v4, v72, v2, -v4
	v_mul_f32_e32 v3, v72, v3
	v_add_f32_e32 v1, v56, v1
	v_fmac_f32_e32 v5, v9, v60
	v_fmac_f32_e32 v3, v73, v2
	v_add_f32_e32 v54, v0, v4
	v_mul_f32_e32 v0, v73, v61
	v_add_u32_e32 v4, 0x1000, v53
	v_add_f32_e32 v52, v6, v5
	v_add_f32_e32 v56, v1, v3
	v_fma_f32 v5, v72, v60, -v0
	ds_read2_b64 v[0:3], v4 offset1:32
	ds_read_b128 v[6:9], v49 offset:128
	v_add_f32_e32 v11, v11, v5
	v_mul_f32_e32 v58, v72, v61
	v_fmac_f32_e32 v58, v73, v60
	v_add_f32_e32 v46, v46, v58
	s_waitcnt lgkmcnt(0)
	v_mul_f32_e32 v5, v7, v1
	v_fma_f32 v66, v6, v0, -v5
	v_add_u32_e32 v5, 0x1000, v57
	ds_read2_b64 v[62:65], v5 offset1:32
	v_mul_f32_e32 v67, v6, v1
	v_fmac_f32_e32 v67, v7, v0
	v_add_f32_e32 v10, v10, v66
	ds_read_b128 v[58:61], v49 offset:144
	s_waitcnt lgkmcnt(1)
	v_mul_f32_e32 v66, v7, v63
	v_add_f32_e32 v48, v48, v67
	v_fma_f32 v70, v6, v62, -v66
	ds_read_b128 v[66:69], v49 offset:4224
	v_mul_f32_e32 v6, v6, v63
	v_fmac_f32_e32 v6, v7, v62
	v_add_f32_e32 v7, v50, v70
	v_add_f32_e32 v6, v52, v6
	s_waitcnt lgkmcnt(0)
	v_mul_f32_e32 v50, v67, v1
	v_fma_f32 v50, v66, v0, -v50
	v_mul_f32_e32 v1, v66, v1
	v_fmac_f32_e32 v1, v67, v0
	v_add_f32_e32 v0, v54, v50
	v_mul_f32_e32 v50, v67, v63
	v_fma_f32 v50, v66, v62, -v50
	v_add_f32_e32 v11, v11, v50
	v_mul_f32_e32 v50, v9, v3
	v_mul_f32_e32 v52, v66, v63
	v_fma_f32 v50, v8, v2, -v50
	v_fmac_f32_e32 v52, v67, v62
	v_add_f32_e32 v10, v10, v50
	v_mul_f32_e32 v50, v9, v65
	v_add_f32_e32 v46, v46, v52
	v_mul_f32_e32 v52, v8, v3
	v_fma_f32 v50, v8, v64, -v50
	v_mul_f32_e32 v8, v8, v65
	v_fmac_f32_e32 v52, v9, v2
	v_fmac_f32_e32 v8, v9, v64
	v_add_f32_e32 v48, v48, v52
	v_add_f32_e32 v52, v6, v8
	v_mul_f32_e32 v6, v69, v3
	v_fma_f32 v6, v68, v2, -v6
	v_mul_f32_e32 v3, v68, v3
	v_add_f32_e32 v1, v56, v1
	v_fmac_f32_e32 v3, v69, v2
	v_add_f32_e32 v54, v0, v6
	v_mul_f32_e32 v0, v69, v65
	v_add_f32_e32 v56, v1, v3
	v_fma_f32 v6, v68, v64, -v0
	ds_read2_b64 v[0:3], v4 offset0:64 offset1:96
	v_add_f32_e32 v50, v7, v50
	v_mul_f32_e32 v7, v68, v65
	v_fmac_f32_e32 v7, v69, v64
	v_add_f32_e32 v11, v11, v6
	s_waitcnt lgkmcnt(0)
	v_mul_f32_e32 v6, v59, v1
	v_add_f32_e32 v46, v46, v7
	v_fma_f32 v62, v58, v0, -v6
	ds_read2_b64 v[6:9], v5 offset0:64 offset1:96
	ds_read_b128 v[70:73], v49 offset:4240
	v_add_f32_e32 v10, v10, v62
	v_mul_f32_e32 v63, v58, v1
	v_fmac_f32_e32 v63, v59, v0
	s_waitcnt lgkmcnt(1)
	v_mul_f32_e32 v62, v59, v7
	v_fma_f32 v62, v58, v6, -v62
	v_mul_f32_e32 v58, v58, v7
	v_fmac_f32_e32 v58, v59, v6
	v_add_f32_e32 v52, v52, v58
	s_waitcnt lgkmcnt(0)
	v_mul_f32_e32 v58, v71, v1
	v_fma_f32 v58, v70, v0, -v58
	v_mul_f32_e32 v1, v70, v1
	v_fmac_f32_e32 v1, v71, v0
	v_add_f32_e32 v0, v54, v58
	v_mul_f32_e32 v54, v71, v7
	v_mul_f32_e32 v7, v70, v7
	v_fma_f32 v54, v70, v6, -v54
	v_fmac_f32_e32 v7, v71, v6
	v_add_f32_e32 v6, v11, v54
	v_add_f32_e32 v7, v46, v7
	v_mul_f32_e32 v11, v61, v3
	v_mul_f32_e32 v46, v60, v3
	v_add_f32_e32 v48, v48, v63
	v_fma_f32 v11, v60, v2, -v11
	v_fmac_f32_e32 v46, v61, v2
	v_add_f32_e32 v10, v10, v11
	v_add_f32_e32 v11, v48, v46
	v_mul_f32_e32 v46, v61, v9
	v_add_f32_e32 v50, v50, v62
	v_fma_f32 v46, v60, v8, -v46
	v_add_f32_e32 v46, v50, v46
	v_mul_f32_e32 v50, v73, v3
	v_mul_f32_e32 v48, v60, v9
	v_fma_f32 v50, v72, v2, -v50
	v_mul_f32_e32 v3, v72, v3
	v_add_f32_e32 v1, v56, v1
	v_fmac_f32_e32 v48, v61, v8
	v_fmac_f32_e32 v3, v73, v2
	v_add_f32_e32 v50, v0, v50
	v_mul_f32_e32 v0, v73, v9
	v_add_f32_e32 v48, v52, v48
	v_add_f32_e32 v52, v1, v3
	v_fma_f32 v54, v72, v8, -v0
	ds_read2_b64 v[0:3], v4 offset0:128 offset1:160
	ds_read_b128 v[58:61], v49 offset:160
	v_mul_f32_e32 v9, v72, v9
	v_fmac_f32_e32 v9, v73, v8
	v_add_f32_e32 v54, v6, v54
	v_add_f32_e32 v56, v7, v9
	s_waitcnt lgkmcnt(0)
	v_mul_f32_e32 v62, v59, v1
	v_fma_f32 v66, v58, v0, -v62
	ds_read2_b64 v[62:65], v5 offset0:128 offset1:160
	v_mul_f32_e32 v67, v58, v1
	v_fmac_f32_e32 v67, v59, v0
	v_add_f32_e32 v10, v10, v66
	ds_read_b128 v[6:9], v49 offset:176
	s_waitcnt lgkmcnt(1)
	v_mul_f32_e32 v66, v59, v63
	v_add_f32_e32 v11, v11, v67
	v_fma_f32 v70, v58, v62, -v66
	ds_read_b128 v[66:69], v49 offset:4256
	v_mul_f32_e32 v58, v58, v63
	v_fmac_f32_e32 v58, v59, v62
	v_add_f32_e32 v48, v48, v58
	v_add_f32_e32 v46, v46, v70
	s_waitcnt lgkmcnt(0)
	v_mul_f32_e32 v58, v67, v1
	v_fma_f32 v58, v66, v0, -v58
	v_mul_f32_e32 v1, v66, v1
	v_fmac_f32_e32 v1, v67, v0
	v_add_f32_e32 v0, v50, v58
	v_mul_f32_e32 v50, v67, v63
	v_fma_f32 v50, v66, v62, -v50
	v_add_f32_e32 v50, v54, v50
	v_mul_f32_e32 v54, v61, v3
	v_add_f32_e32 v1, v52, v1
	v_mul_f32_e32 v52, v66, v63
	v_fma_f32 v54, v60, v2, -v54
	v_fmac_f32_e32 v52, v67, v62
	v_add_f32_e32 v10, v10, v54
	v_mul_f32_e32 v54, v61, v65
	v_add_f32_e32 v52, v56, v52
	v_mul_f32_e32 v56, v60, v3
	v_fma_f32 v54, v60, v64, -v54
	v_fmac_f32_e32 v56, v61, v2
	v_add_f32_e32 v46, v46, v54
	v_mul_f32_e32 v54, v69, v3
	v_add_f32_e32 v11, v11, v56
	v_mul_f32_e32 v56, v60, v65
	v_fma_f32 v54, v68, v2, -v54
	v_mul_f32_e32 v3, v68, v3
	v_fmac_f32_e32 v56, v61, v64
	v_fmac_f32_e32 v3, v69, v2
	v_add_f32_e32 v54, v0, v54
	v_mul_f32_e32 v0, v69, v65
	v_add_f32_e32 v48, v48, v56
	v_add_f32_e32 v56, v1, v3
	v_fma_f32 v58, v68, v64, -v0
	ds_read2_b64 v[0:3], v4 offset0:192 offset1:224
	v_add_f32_e32 v50, v50, v58
	ds_read2_b64 v[58:61], v5 offset0:192 offset1:224
	ds_read_b128 v[70:73], v49 offset:4272
	v_mul_f32_e32 v4, v68, v65
	s_waitcnt lgkmcnt(2)
	v_mul_f32_e32 v5, v6, v1
	v_fmac_f32_e32 v4, v69, v64
	v_fmac_f32_e32 v5, v7, v0
	v_add_f32_e32 v4, v52, v4
	v_mul_f32_e32 v52, v7, v1
	v_add_f32_e32 v5, v11, v5
	s_waitcnt lgkmcnt(1)
	v_mul_f32_e32 v11, v7, v59
	v_fma_f32 v52, v6, v0, -v52
	v_fma_f32 v11, v6, v58, -v11
	v_mul_f32_e32 v6, v6, v59
	v_fmac_f32_e32 v6, v7, v58
	v_add_f32_e32 v7, v46, v11
	s_waitcnt lgkmcnt(0)
	v_mul_f32_e32 v46, v70, v59
	v_fmac_f32_e32 v46, v71, v58
	v_mul_f32_e32 v11, v71, v1
	v_add_f32_e32 v46, v4, v46
	v_mul_f32_e32 v4, v9, v3
	v_add_f32_e32 v10, v10, v52
	v_fma_f32 v11, v70, v0, -v11
	v_mul_f32_e32 v1, v70, v1
	v_fma_f32 v4, v8, v2, -v4
	v_fmac_f32_e32 v1, v71, v0
	v_add_f32_e32 v0, v54, v11
	v_mul_f32_e32 v11, v71, v59
	v_add_f32_e32 v10, v10, v4
	v_mul_f32_e32 v4, v9, v61
	v_add_f32_e32 v6, v48, v6
	v_fma_f32 v11, v70, v58, -v11
	v_mul_f32_e32 v48, v8, v3
	v_fma_f32 v4, v8, v60, -v4
	v_add_f32_e32 v11, v50, v11
	v_fmac_f32_e32 v48, v9, v2
	v_add_f32_e32 v50, v7, v4
	v_mul_f32_e32 v4, v73, v3
	v_add_f32_e32 v48, v5, v48
	v_mul_f32_e32 v5, v8, v61
	v_fma_f32 v4, v72, v2, -v4
	v_mul_f32_e32 v3, v72, v3
	v_add_f32_e32 v1, v56, v1
	v_fmac_f32_e32 v5, v9, v60
	v_fmac_f32_e32 v3, v73, v2
	v_add_f32_e32 v54, v0, v4
	v_mul_f32_e32 v0, v73, v61
	v_add_u32_e32 v4, 0x1800, v53
	v_add_f32_e32 v52, v6, v5
	v_add_f32_e32 v56, v1, v3
	v_fma_f32 v5, v72, v60, -v0
	ds_read2_b64 v[0:3], v4 offset1:32
	ds_read_b128 v[6:9], v49 offset:192
	v_add_f32_e32 v11, v11, v5
	v_mul_f32_e32 v58, v72, v61
	v_fmac_f32_e32 v58, v73, v60
	v_add_f32_e32 v46, v46, v58
	s_waitcnt lgkmcnt(0)
	v_mul_f32_e32 v5, v7, v1
	v_fma_f32 v66, v6, v0, -v5
	v_add_u32_e32 v5, 0x1800, v57
	ds_read2_b64 v[62:65], v5 offset1:32
	v_mul_f32_e32 v67, v6, v1
	v_fmac_f32_e32 v67, v7, v0
	v_add_f32_e32 v10, v10, v66
	ds_read_b128 v[58:61], v49 offset:208
	s_waitcnt lgkmcnt(1)
	v_mul_f32_e32 v66, v7, v63
	v_add_f32_e32 v48, v48, v67
	v_fma_f32 v70, v6, v62, -v66
	ds_read_b128 v[66:69], v49 offset:4288
	v_mul_f32_e32 v6, v6, v63
	v_fmac_f32_e32 v6, v7, v62
	v_add_f32_e32 v7, v50, v70
	v_add_f32_e32 v6, v52, v6
	s_waitcnt lgkmcnt(0)
	v_mul_f32_e32 v50, v67, v1
	v_fma_f32 v50, v66, v0, -v50
	v_mul_f32_e32 v1, v66, v1
	v_fmac_f32_e32 v1, v67, v0
	v_add_f32_e32 v0, v54, v50
	v_mul_f32_e32 v50, v67, v63
	v_fma_f32 v50, v66, v62, -v50
	v_add_f32_e32 v11, v11, v50
	v_mul_f32_e32 v50, v9, v3
	v_mul_f32_e32 v52, v66, v63
	v_fma_f32 v50, v8, v2, -v50
	v_fmac_f32_e32 v52, v67, v62
	v_add_f32_e32 v10, v10, v50
	v_mul_f32_e32 v50, v9, v65
	v_add_f32_e32 v46, v46, v52
	v_mul_f32_e32 v52, v8, v3
	v_fma_f32 v50, v8, v64, -v50
	v_mul_f32_e32 v8, v8, v65
	v_fmac_f32_e32 v52, v9, v2
	v_fmac_f32_e32 v8, v9, v64
	v_add_f32_e32 v48, v48, v52
	v_add_f32_e32 v52, v6, v8
	v_mul_f32_e32 v6, v69, v3
	v_fma_f32 v6, v68, v2, -v6
	v_mul_f32_e32 v3, v68, v3
	v_add_f32_e32 v1, v56, v1
	v_fmac_f32_e32 v3, v69, v2
	v_add_f32_e32 v54, v0, v6
	v_mul_f32_e32 v0, v69, v65
	v_add_f32_e32 v56, v1, v3
	v_fma_f32 v6, v68, v64, -v0
	ds_read2_b64 v[0:3], v4 offset0:64 offset1:96
	v_add_f32_e32 v50, v7, v50
	v_mul_f32_e32 v7, v68, v65
	v_fmac_f32_e32 v7, v69, v64
	v_add_f32_e32 v11, v11, v6
	s_waitcnt lgkmcnt(0)
	v_mul_f32_e32 v6, v59, v1
	v_add_f32_e32 v46, v46, v7
	v_fma_f32 v62, v58, v0, -v6
	ds_read2_b64 v[6:9], v5 offset0:64 offset1:96
	ds_read_b128 v[70:73], v49 offset:4304
	v_add_f32_e32 v10, v10, v62
	v_mul_f32_e32 v63, v58, v1
	v_fmac_f32_e32 v63, v59, v0
	s_waitcnt lgkmcnt(1)
	v_mul_f32_e32 v62, v59, v7
	v_fma_f32 v62, v58, v6, -v62
	v_mul_f32_e32 v58, v58, v7
	v_fmac_f32_e32 v58, v59, v6
	v_add_f32_e32 v52, v52, v58
	s_waitcnt lgkmcnt(0)
	v_mul_f32_e32 v58, v71, v1
	v_fma_f32 v58, v70, v0, -v58
	v_mul_f32_e32 v1, v70, v1
	v_fmac_f32_e32 v1, v71, v0
	v_add_f32_e32 v0, v54, v58
	v_mul_f32_e32 v54, v71, v7
	v_mul_f32_e32 v7, v70, v7
	v_fma_f32 v54, v70, v6, -v54
	v_fmac_f32_e32 v7, v71, v6
	v_add_f32_e32 v6, v11, v54
	v_add_f32_e32 v7, v46, v7
	v_mul_f32_e32 v11, v61, v3
	v_mul_f32_e32 v46, v60, v3
	v_add_f32_e32 v48, v48, v63
	v_fma_f32 v11, v60, v2, -v11
	v_fmac_f32_e32 v46, v61, v2
	v_add_f32_e32 v10, v10, v11
	v_add_f32_e32 v11, v48, v46
	v_mul_f32_e32 v46, v61, v9
	v_add_f32_e32 v50, v50, v62
	v_fma_f32 v46, v60, v8, -v46
	v_add_f32_e32 v46, v50, v46
	v_mul_f32_e32 v50, v73, v3
	v_mul_f32_e32 v48, v60, v9
	v_fma_f32 v50, v72, v2, -v50
	v_mul_f32_e32 v3, v72, v3
	v_add_f32_e32 v1, v56, v1
	v_fmac_f32_e32 v48, v61, v8
	v_fmac_f32_e32 v3, v73, v2
	v_add_f32_e32 v50, v0, v50
	v_mul_f32_e32 v0, v73, v9
	v_add_f32_e32 v48, v52, v48
	v_add_f32_e32 v52, v1, v3
	v_fma_f32 v54, v72, v8, -v0
	ds_read2_b64 v[0:3], v4 offset0:128 offset1:160
	ds_read_b128 v[58:61], v49 offset:224
	v_mul_f32_e32 v9, v72, v9
	v_fmac_f32_e32 v9, v73, v8
	v_add_f32_e32 v54, v6, v54
	v_add_f32_e32 v56, v7, v9
	s_waitcnt lgkmcnt(0)
	v_mul_f32_e32 v62, v59, v1
	v_fma_f32 v66, v58, v0, -v62
	ds_read2_b64 v[62:65], v5 offset0:128 offset1:160
	v_mul_f32_e32 v67, v58, v1
	v_fmac_f32_e32 v67, v59, v0
	v_add_f32_e32 v10, v10, v66
	ds_read_b128 v[6:9], v49 offset:240
	s_waitcnt lgkmcnt(1)
	v_mul_f32_e32 v66, v59, v63
	v_add_f32_e32 v11, v11, v67
	v_fma_f32 v70, v58, v62, -v66
	ds_read_b128 v[66:69], v49 offset:4320
	v_mul_f32_e32 v58, v58, v63
	v_fmac_f32_e32 v58, v59, v62
	v_add_f32_e32 v48, v48, v58
	v_add_f32_e32 v46, v46, v70
	s_waitcnt lgkmcnt(0)
	v_mul_f32_e32 v58, v67, v1
	v_fma_f32 v58, v66, v0, -v58
	v_mul_f32_e32 v1, v66, v1
	v_fmac_f32_e32 v1, v67, v0
	v_add_f32_e32 v0, v50, v58
	v_mul_f32_e32 v50, v67, v63
	v_fma_f32 v50, v66, v62, -v50
	v_add_f32_e32 v50, v54, v50
	v_mul_f32_e32 v54, v61, v3
	v_add_f32_e32 v1, v52, v1
	v_mul_f32_e32 v52, v66, v63
	v_fma_f32 v54, v60, v2, -v54
	v_fmac_f32_e32 v52, v67, v62
	v_add_f32_e32 v10, v10, v54
	v_mul_f32_e32 v54, v61, v65
	v_add_f32_e32 v52, v56, v52
	v_mul_f32_e32 v56, v60, v3
	v_fma_f32 v54, v60, v64, -v54
	v_fmac_f32_e32 v56, v61, v2
	v_add_f32_e32 v46, v46, v54
	v_mul_f32_e32 v54, v69, v3
	v_add_f32_e32 v11, v11, v56
	v_mul_f32_e32 v56, v60, v65
	v_fma_f32 v54, v68, v2, -v54
	v_mul_f32_e32 v3, v68, v3
	v_fmac_f32_e32 v56, v61, v64
	v_fmac_f32_e32 v3, v69, v2
	v_add_f32_e32 v54, v0, v54
	v_mul_f32_e32 v0, v69, v65
	v_add_f32_e32 v48, v48, v56
	v_add_f32_e32 v56, v1, v3
	v_fma_f32 v58, v68, v64, -v0
	ds_read2_b64 v[0:3], v4 offset0:192 offset1:224
	ds_read2_b64 v[60:63], v5 offset0:192 offset1:224
	ds_read_b128 v[70:73], v49 offset:4336
	v_mul_f32_e32 v4, v68, v65
	v_fmac_f32_e32 v4, v69, v64
	s_waitcnt lgkmcnt(2)
	v_mul_f32_e32 v5, v6, v1
	v_fmac_f32_e32 v5, v7, v0
	v_add_f32_e32 v4, v52, v4
	v_mul_f32_e32 v52, v7, v1
	v_add_f32_e32 v5, v11, v5
	s_waitcnt lgkmcnt(1)
	v_mul_f32_e32 v11, v7, v61
	v_fma_f32 v52, v6, v0, -v52
	v_fma_f32 v11, v6, v60, -v11
	v_mul_f32_e32 v6, v6, v61
	v_fmac_f32_e32 v6, v7, v60
	v_add_f32_e32 v7, v46, v11
	s_waitcnt lgkmcnt(0)
	v_mul_f32_e32 v11, v71, v1
	v_add_f32_e32 v6, v48, v6
	v_fma_f32 v11, v70, v0, -v11
	v_mul_f32_e32 v1, v70, v1
	v_mul_f32_e32 v48, v8, v3
	v_fmac_f32_e32 v1, v71, v0
	v_add_f32_e32 v0, v54, v11
	v_mul_f32_e32 v11, v71, v61
	v_mul_f32_e32 v46, v70, v61
	v_fmac_f32_e32 v48, v9, v2
	v_fma_f32 v11, v70, v60, -v11
	v_fmac_f32_e32 v46, v71, v60
	v_add_f32_e32 v60, v5, v48
	v_mul_f32_e32 v5, v9, v63
	v_fma_f32 v5, v8, v62, -v5
	v_add_f32_e32 v54, v7, v5
	v_mul_f32_e32 v5, v73, v3
	v_add_f32_e32 v50, v50, v58
	v_fma_f32 v5, v72, v2, -v5
	v_add_f32_e32 v11, v50, v11
	v_add_f32_e32 v50, v0, v5
	v_mul_f32_e32 v0, v73, v63
	v_fma_f32 v0, v72, v62, -v0
	v_add_f32_e32 v48, v11, v0
	v_mov_b32_e32 v0, s39
	v_add_co_u32_e64 v44, s[10:11], s38, v44
	v_add_f32_e32 v4, v4, v46
	v_mul_f32_e32 v46, v9, v3
	v_mul_f32_e32 v3, v72, v3
	v_addc_co_u32_e64 v45, s[10:11], v45, v0, s[10:11]
	v_add_f32_e32 v1, v56, v1
	v_fmac_f32_e32 v3, v73, v2
	v_mov_b32_e32 v0, s31
	v_add_co_u32_e64 v32, s[10:11], s30, v32
	v_add_f32_e32 v10, v10, v52
	v_fma_f32 v46, v8, v2, -v46
	v_mul_f32_e32 v8, v8, v63
	v_add_f32_e32 v52, v1, v3
	v_mul_f32_e32 v1, v72, v63
	s_add_u32 s26, s26, 32
	v_addc_co_u32_e64 v33, s[10:11], v33, v0, s[10:11]
	v_fmac_f32_e32 v8, v9, v62
	v_fmac_f32_e32 v1, v73, v62
	s_addc_u32 s27, s27, 0
	v_add_co_u32_e64 v34, s[10:11], s30, v34
	v_add_f32_e32 v58, v10, v46
	v_add_f32_e32 v56, v6, v8
	;; [unrolled: 1-line block ×3, first 2 shown]
	s_cmp_ge_i32 s26, s60
	v_addc_co_u32_e64 v35, s[10:11], v35, v0, s[10:11]
	s_barrier
	s_cbranch_scc1 .LBB90_55
.LBB90_7:                               ;   Parent Loop BB90_4 Depth=1
                                        ; =>  This Inner Loop Header: Depth=2
	v_mov_b32_e32 v0, s27
	v_add_co_u32_e64 v2, s[10:11], s26, v18
	v_addc_co_u32_e64 v3, s[10:11], v19, v0, s[10:11]
	v_add_co_u32_e64 v0, s[10:11], v34, v30
	v_addc_co_u32_e64 v1, s[10:11], v35, v31, s[10:11]
	v_cmp_eq_u64_e64 s[10:11], s[26:27], v[26:27]
	s_and_b64 s[50:51], s[28:29], s[10:11]
	v_cmp_lt_i64_e64 s[10:11], v[2:3], v[24:25]
	v_cmp_le_i64_e64 s[12:13], s[46:47], v[2:3]
	s_or_b64 s[14:15], vcc, s[10:11]
	s_or_b64 s[14:15], s[12:13], s[14:15]
	s_or_b64 s[14:15], s[14:15], s[50:51]
	s_xor_b64 s[14:15], s[14:15], -1
	s_and_saveexec_b64 s[18:19], s[14:15]
	s_xor_b64 s[14:15], exec, s[18:19]
	s_cbranch_execz .LBB90_9
; %bb.8:                                ;   in Loop: Header=BB90_7 Depth=2
	global_load_dwordx2 v[4:5], v[0:1], off
	s_waitcnt vmcnt(0)
	ds_write_b64 v51, v[4:5]
.LBB90_9:                               ;   in Loop: Header=BB90_7 Depth=2
	s_or_saveexec_b64 s[14:15], s[14:15]
	s_xor_b64 s[44:45], s[50:51], -1
	s_xor_b64 exec, exec, s[14:15]
	s_cbranch_execz .LBB90_15
; %bb.10:                               ;   in Loop: Header=BB90_7 Depth=2
	s_and_saveexec_b64 s[18:19], s[44:45]
	s_xor_b64 s[18:19], exec, s[18:19]
	s_cbranch_execz .LBB90_12
; %bb.11:                               ;   in Loop: Header=BB90_7 Depth=2
	v_mov_b32_e32 v4, v23
	v_mov_b32_e32 v5, v23
	ds_write_b64 v51, v[4:5]
.LBB90_12:                              ;   in Loop: Header=BB90_7 Depth=2
	s_andn2_saveexec_b64 s[18:19], s[18:19]
	s_cbranch_execz .LBB90_14
; %bb.13:                               ;   in Loop: Header=BB90_7 Depth=2
	ds_write_b64 v51, v[22:23]
.LBB90_14:                              ;   in Loop: Header=BB90_7 Depth=2
	s_or_b64 exec, exec, s[18:19]
.LBB90_15:                              ;   in Loop: Header=BB90_7 Depth=2
	s_or_b64 exec, exec, s[14:15]
	v_add_co_u32_e64 v4, s[14:15], 16, v2
	v_addc_co_u32_e64 v5, s[14:15], 0, v3, s[14:15]
	v_cmp_eq_u64_e64 s[14:15], s[26:27], v[42:43]
	v_cmp_lt_i64_e64 s[18:19], v[4:5], v[24:25]
	s_and_b64 s[52:53], s[28:29], s[14:15]
	v_cmp_le_i64_e64 s[14:15], s[46:47], v[4:5]
	s_or_b64 s[18:19], vcc, s[18:19]
	s_or_b64 s[18:19], s[14:15], s[18:19]
	s_or_b64 s[18:19], s[18:19], s[52:53]
	s_xor_b64 s[18:19], s[18:19], -1
	s_and_saveexec_b64 s[54:55], s[18:19]
	s_xor_b64 s[54:55], exec, s[54:55]
	s_cbranch_execz .LBB90_17
; %bb.16:                               ;   in Loop: Header=BB90_7 Depth=2
	v_add_co_u32_e64 v4, s[18:19], v32, v30
	v_addc_co_u32_e64 v5, s[18:19], v33, v31, s[18:19]
	global_load_dwordx2 v[4:5], v[4:5], off
	s_waitcnt vmcnt(0)
	ds_write_b64 v51, v[4:5] offset:128
.LBB90_17:                              ;   in Loop: Header=BB90_7 Depth=2
	s_andn2_saveexec_b64 s[18:19], s[54:55]
	s_cbranch_execz .LBB90_23
; %bb.18:                               ;   in Loop: Header=BB90_7 Depth=2
	s_xor_b64 s[52:53], s[52:53], -1
	s_and_saveexec_b64 s[54:55], s[52:53]
	s_xor_b64 s[52:53], exec, s[54:55]
	s_cbranch_execz .LBB90_20
; %bb.19:                               ;   in Loop: Header=BB90_7 Depth=2
	v_mov_b32_e32 v4, v23
	v_mov_b32_e32 v5, v23
	ds_write_b64 v51, v[4:5] offset:128
.LBB90_20:                              ;   in Loop: Header=BB90_7 Depth=2
	s_andn2_saveexec_b64 s[52:53], s[52:53]
	s_cbranch_execz .LBB90_22
; %bb.21:                               ;   in Loop: Header=BB90_7 Depth=2
	ds_write_b64 v51, v[22:23] offset:128
.LBB90_22:                              ;   in Loop: Header=BB90_7 Depth=2
	s_or_b64 exec, exec, s[52:53]
.LBB90_23:                              ;   in Loop: Header=BB90_7 Depth=2
	s_or_b64 exec, exec, s[18:19]
	v_cmp_eq_u64_e64 s[18:19], s[26:27], v[40:41]
	s_and_b64 s[52:53], s[28:29], s[18:19]
	v_cmp_lt_i64_e64 s[18:19], v[2:3], v[38:39]
	s_or_b64 s[18:19], s[8:9], s[18:19]
	s_or_b64 s[18:19], s[18:19], s[52:53]
	;; [unrolled: 1-line block ×3, first 2 shown]
	s_xor_b64 s[12:13], s[12:13], -1
	s_and_saveexec_b64 s[18:19], s[12:13]
	s_xor_b64 s[12:13], exec, s[18:19]
	s_cbranch_execz .LBB90_25
; %bb.24:                               ;   in Loop: Header=BB90_7 Depth=2
	global_load_dwordx2 v[0:1], v[0:1], off offset:128
	s_waitcnt vmcnt(0)
	ds_write_b64 v51, v[0:1] offset:4096
.LBB90_25:                              ;   in Loop: Header=BB90_7 Depth=2
	s_andn2_saveexec_b64 s[12:13], s[12:13]
	s_cbranch_execz .LBB90_31
; %bb.26:                               ;   in Loop: Header=BB90_7 Depth=2
	s_xor_b64 s[18:19], s[52:53], -1
	s_and_saveexec_b64 s[52:53], s[18:19]
	s_xor_b64 s[18:19], exec, s[52:53]
	s_cbranch_execz .LBB90_28
; %bb.27:                               ;   in Loop: Header=BB90_7 Depth=2
	v_mov_b32_e32 v0, v23
	v_mov_b32_e32 v1, v23
	ds_write_b64 v51, v[0:1] offset:4096
.LBB90_28:                              ;   in Loop: Header=BB90_7 Depth=2
	s_andn2_saveexec_b64 s[18:19], s[18:19]
	s_cbranch_execz .LBB90_30
; %bb.29:                               ;   in Loop: Header=BB90_7 Depth=2
	ds_write_b64 v51, v[22:23] offset:4096
.LBB90_30:                              ;   in Loop: Header=BB90_7 Depth=2
	s_or_b64 exec, exec, s[18:19]
.LBB90_31:                              ;   in Loop: Header=BB90_7 Depth=2
	s_or_b64 exec, exec, s[12:13]
	s_or_b64 s[10:11], s[8:9], s[10:11]
	s_or_b64 s[10:11], s[14:15], s[10:11]
	;; [unrolled: 1-line block ×3, first 2 shown]
	s_xor_b64 s[10:11], s[10:11], -1
	s_and_saveexec_b64 s[12:13], s[10:11]
	s_xor_b64 s[12:13], exec, s[12:13]
	s_cbranch_execz .LBB90_33
; %bb.32:                               ;   in Loop: Header=BB90_7 Depth=2
	v_add_co_u32_e64 v0, s[10:11], v32, v30
	v_addc_co_u32_e64 v1, s[10:11], v33, v31, s[10:11]
	global_load_dwordx2 v[0:1], v[0:1], off offset:128
	s_waitcnt vmcnt(0)
	ds_write_b64 v51, v[0:1] offset:4224
.LBB90_33:                              ;   in Loop: Header=BB90_7 Depth=2
	s_andn2_saveexec_b64 s[10:11], s[12:13]
	s_cbranch_execz .LBB90_39
; %bb.34:                               ;   in Loop: Header=BB90_7 Depth=2
	s_and_saveexec_b64 s[12:13], s[44:45]
	s_xor_b64 s[12:13], exec, s[12:13]
	s_cbranch_execz .LBB90_36
; %bb.35:                               ;   in Loop: Header=BB90_7 Depth=2
	v_mov_b32_e32 v0, v23
	v_mov_b32_e32 v1, v23
	ds_write_b64 v51, v[0:1] offset:4224
.LBB90_36:                              ;   in Loop: Header=BB90_7 Depth=2
	s_andn2_saveexec_b64 s[12:13], s[12:13]
	s_cbranch_execz .LBB90_38
; %bb.37:                               ;   in Loop: Header=BB90_7 Depth=2
	ds_write_b64 v51, v[22:23] offset:4224
.LBB90_38:                              ;   in Loop: Header=BB90_7 Depth=2
	s_or_b64 exec, exec, s[12:13]
.LBB90_39:                              ;   in Loop: Header=BB90_7 Depth=2
	s_or_b64 exec, exec, s[10:11]
	v_mov_b32_e32 v1, s27
	v_add_co_u32_e64 v0, s[10:11], s26, v20
	v_addc_co_u32_e64 v1, s[10:11], v21, v1, s[10:11]
	v_add_co_u32_e64 v2, s[10:11], v44, v28
	v_addc_co_u32_e64 v3, s[10:11], v45, v29, s[10:11]
	v_cmp_le_i64_e64 s[10:11], s[46:47], v[0:1]
	s_or_b64 s[12:13], s[10:11], s[0:1]
	s_xor_b64 s[12:13], s[12:13], -1
	s_and_saveexec_b64 s[14:15], s[12:13]
	s_xor_b64 s[12:13], exec, s[14:15]
	s_cbranch_execz .LBB90_41
; %bb.40:                               ;   in Loop: Header=BB90_7 Depth=2
	global_load_dwordx2 v[4:5], v[2:3], off offset:-128
	s_waitcnt vmcnt(0)
	ds_write_b64 v55, v[4:5]
.LBB90_41:                              ;   in Loop: Header=BB90_7 Depth=2
	s_andn2_saveexec_b64 s[12:13], s[12:13]
	s_cbranch_execz .LBB90_43
; %bb.42:                               ;   in Loop: Header=BB90_7 Depth=2
	v_mov_b32_e32 v4, v23
	v_mov_b32_e32 v5, v23
	ds_write_b64 v55, v[4:5]
.LBB90_43:                              ;   in Loop: Header=BB90_7 Depth=2
	s_or_b64 exec, exec, s[12:13]
	s_or_b64 s[10:11], s[10:11], s[2:3]
	s_xor_b64 s[10:11], s[10:11], -1
	s_and_saveexec_b64 s[12:13], s[10:11]
	s_xor_b64 s[10:11], exec, s[12:13]
	s_cbranch_execz .LBB90_45
; %bb.44:                               ;   in Loop: Header=BB90_7 Depth=2
	global_load_dwordx2 v[2:3], v[2:3], off
	s_waitcnt vmcnt(0)
	ds_write_b64 v55, v[2:3] offset:128
.LBB90_45:                              ;   in Loop: Header=BB90_7 Depth=2
	s_andn2_saveexec_b64 s[10:11], s[10:11]
	s_cbranch_execz .LBB90_47
; %bb.46:                               ;   in Loop: Header=BB90_7 Depth=2
	v_mov_b32_e32 v2, v23
	v_mov_b32_e32 v3, v23
	ds_write_b64 v55, v[2:3] offset:128
.LBB90_47:                              ;   in Loop: Header=BB90_7 Depth=2
	s_or_b64 exec, exec, s[10:11]
	v_cmp_le_i64_e64 s[10:11], s[40:41], v[0:1]
	s_or_b64 s[12:13], s[10:11], s[0:1]
	s_xor_b64 s[12:13], s[12:13], -1
	s_and_saveexec_b64 s[14:15], s[12:13]
	s_xor_b64 s[14:15], exec, s[14:15]
	s_cbranch_execz .LBB90_49
; %bb.48:                               ;   in Loop: Header=BB90_7 Depth=2
	v_add_co_u32_e64 v0, s[12:13], v44, v36
	v_addc_co_u32_e64 v1, s[12:13], v45, v37, s[12:13]
	global_load_dwordx2 v[0:1], v[0:1], off offset:-128
	s_waitcnt vmcnt(0)
	ds_write_b64 v55, v[0:1] offset:4096
.LBB90_49:                              ;   in Loop: Header=BB90_7 Depth=2
	s_andn2_saveexec_b64 s[12:13], s[14:15]
	s_cbranch_execz .LBB90_51
; %bb.50:                               ;   in Loop: Header=BB90_7 Depth=2
	v_mov_b32_e32 v0, v23
	v_mov_b32_e32 v1, v23
	ds_write_b64 v55, v[0:1] offset:4096
.LBB90_51:                              ;   in Loop: Header=BB90_7 Depth=2
	s_or_b64 exec, exec, s[12:13]
	s_or_b64 s[10:11], s[10:11], s[2:3]
	s_xor_b64 s[10:11], s[10:11], -1
	s_and_saveexec_b64 s[12:13], s[10:11]
	s_xor_b64 s[12:13], exec, s[12:13]
	s_cbranch_execz .LBB90_53
; %bb.52:                               ;   in Loop: Header=BB90_7 Depth=2
	v_add_co_u32_e64 v0, s[10:11], v44, v36
	v_addc_co_u32_e64 v1, s[10:11], v45, v37, s[10:11]
	global_load_dwordx2 v[0:1], v[0:1], off
	s_waitcnt vmcnt(0)
	ds_write_b64 v55, v[0:1] offset:4224
.LBB90_53:                              ;   in Loop: Header=BB90_7 Depth=2
	s_andn2_saveexec_b64 s[10:11], s[12:13]
	s_cbranch_execz .LBB90_6
; %bb.54:                               ;   in Loop: Header=BB90_7 Depth=2
	v_mov_b32_e32 v0, v23
	v_mov_b32_e32 v1, v23
	ds_write_b64 v55, v[0:1] offset:4224
	s_branch .LBB90_6
.LBB90_55:                              ;   in Loop: Header=BB90_4 Depth=1
	v_mul_lo_u32 v2, v25, s48
	v_mul_lo_u32 v3, v24, s49
	v_mad_u64_u32 v[0:1], s[8:9], v24, s48, 0
	v_add3_u32 v1, v1, v3, v2
	v_lshlrev_b64 v[0:1], 3, v[0:1]
	v_mov_b32_e32 v2, s58
	v_add_co_u32_e64 v0, s[8:9], s57, v0
	v_cmp_gt_i32_e32 vcc, s46, v24
	v_addc_co_u32_e64 v1, s[8:9], v2, v1, s[8:9]
	s_and_b64 s[8:9], s[4:5], vcc
	s_and_saveexec_b64 s[10:11], s[8:9]
	s_cbranch_execz .LBB90_57
; %bb.56:                               ;   in Loop: Header=BB90_4 Depth=1
	v_add_co_u32_e64 v2, s[8:9], v0, v12
	v_addc_co_u32_e64 v3, s[8:9], v1, v13, s[8:9]
	global_load_dwordx2 v[4:5], v[2:3], off
	v_pk_mul_f32 v[6:7], v[60:61], s[34:35] op_sel_hi:[0,1]
	v_pk_fma_f32 v[8:9], v[58:59], s[34:35], v[6:7] op_sel:[0,0,1] op_sel_hi:[1,1,0] neg_lo:[0,0,1] neg_hi:[0,0,1]
	v_pk_fma_f32 v[6:7], v[58:59], s[34:35], v[6:7] op_sel:[0,0,1] op_sel_hi:[0,1,0]
	v_mov_b32_e32 v9, v7
	s_waitcnt vmcnt(0)
	v_pk_add_f32 v[4:5], v[4:5], v[8:9]
	global_store_dwordx2 v[2:3], v[4:5], off
.LBB90_57:                              ;   in Loop: Header=BB90_4 Depth=1
	s_or_b64 exec, exec, s[10:11]
	s_and_b64 s[10:11], s[16:17], vcc
	s_and_saveexec_b64 s[8:9], s[10:11]
	s_cbranch_execz .LBB90_59
; %bb.58:                               ;   in Loop: Header=BB90_4 Depth=1
	v_lshlrev_b64 v[2:3], 3, v[16:17]
	v_add_co_u32_e32 v0, vcc, v0, v2
	v_addc_co_u32_e32 v1, vcc, v1, v3, vcc
	global_load_dwordx2 v[2:3], v[0:1], off
	v_pk_mul_f32 v[4:5], v[56:57], s[34:35] op_sel_hi:[0,1]
	v_pk_fma_f32 v[6:7], v[54:55], s[34:35], v[4:5] op_sel:[0,0,1] op_sel_hi:[1,1,0] neg_lo:[0,0,1] neg_hi:[0,0,1]
	v_pk_fma_f32 v[4:5], v[54:55], s[34:35], v[4:5] op_sel:[0,0,1] op_sel_hi:[0,1,0]
	v_mov_b32_e32 v7, v5
	s_waitcnt vmcnt(0)
	v_pk_add_f32 v[2:3], v[2:3], v[6:7]
	global_store_dwordx2 v[0:1], v[2:3], off
.LBB90_59:                              ;   in Loop: Header=BB90_4 Depth=1
	s_or_b64 exec, exec, s[8:9]
	v_add_u32_e32 v0, 16, v24
	v_ashrrev_i32_e32 v1, 31, v0
	v_cmp_gt_i32_e32 vcc, s46, v0
	v_mul_lo_u32 v2, v1, s48
	v_mul_lo_u32 v3, v0, s49
	v_mad_u64_u32 v[0:1], s[8:9], v0, s48, 0
	v_add3_u32 v1, v1, v3, v2
	v_lshlrev_b64 v[0:1], 3, v[0:1]
	v_mov_b32_e32 v2, s58
	v_add_co_u32_e64 v0, s[8:9], s57, v0
	v_addc_co_u32_e64 v1, s[8:9], v2, v1, s[8:9]
	s_and_b64 s[8:9], s[4:5], vcc
	s_and_saveexec_b64 s[10:11], s[8:9]
	s_cbranch_execz .LBB90_61
; %bb.60:                               ;   in Loop: Header=BB90_4 Depth=1
	v_add_co_u32_e64 v2, s[8:9], v0, v12
	v_addc_co_u32_e64 v3, s[8:9], v1, v13, s[8:9]
	global_load_dwordx2 v[4:5], v[2:3], off
	v_pk_mul_f32 v[6:7], v[52:53], s[34:35] op_sel_hi:[0,1]
	v_pk_fma_f32 v[8:9], v[50:51], s[34:35], v[6:7] op_sel:[0,0,1] op_sel_hi:[1,1,0] neg_lo:[0,0,1] neg_hi:[0,0,1]
	v_pk_fma_f32 v[6:7], v[50:51], s[34:35], v[6:7] op_sel:[0,0,1] op_sel_hi:[0,1,0]
	v_mov_b32_e32 v9, v7
	s_waitcnt vmcnt(0)
	v_pk_add_f32 v[4:5], v[4:5], v[8:9]
	global_store_dwordx2 v[2:3], v[4:5], off
.LBB90_61:                              ;   in Loop: Header=BB90_4 Depth=1
	s_or_b64 exec, exec, s[10:11]
	s_and_b64 s[10:11], s[16:17], vcc
	s_and_saveexec_b64 s[8:9], s[10:11]
	s_cbranch_execz .LBB90_3
; %bb.62:                               ;   in Loop: Header=BB90_4 Depth=1
	v_lshlrev_b64 v[2:3], 3, v[16:17]
	v_add_co_u32_e32 v0, vcc, v0, v2
	v_addc_co_u32_e32 v1, vcc, v1, v3, vcc
	global_load_dwordx2 v[2:3], v[0:1], off
	v_pk_mul_f32 v[4:5], v[46:47], s[34:35] op_sel_hi:[0,1]
	v_pk_fma_f32 v[6:7], v[48:49], s[34:35], v[4:5] op_sel:[0,0,1] op_sel_hi:[1,1,0] neg_lo:[0,0,1] neg_hi:[0,0,1]
	v_pk_fma_f32 v[4:5], v[48:49], s[34:35], v[4:5] op_sel:[0,0,1] op_sel_hi:[0,1,0]
	v_mov_b32_e32 v7, v5
	s_waitcnt vmcnt(0)
	v_pk_add_f32 v[2:3], v[2:3], v[6:7]
	global_store_dwordx2 v[0:1], v[2:3], off
	s_branch .LBB90_3
.LBB90_63:
	s_endpgm
	.section	.rodata,"a",@progbits
	.p2align	6, 0x0
	.amdhsa_kernel _ZL30rocblas_trmm_outofplace_kernelI19rocblas_complex_numIfELi32ELi2ELb0ELb1ELb1ELb0EPKS1_S2_S1_Ev17rocblas_diagonal_iiT6_lPT7_lllS7_lllPT8_llli
		.amdhsa_group_segment_fixed_size 16384
		.amdhsa_private_segment_fixed_size 0
		.amdhsa_kernarg_size 392
		.amdhsa_user_sgpr_count 6
		.amdhsa_user_sgpr_private_segment_buffer 1
		.amdhsa_user_sgpr_dispatch_ptr 0
		.amdhsa_user_sgpr_queue_ptr 0
		.amdhsa_user_sgpr_kernarg_segment_ptr 1
		.amdhsa_user_sgpr_dispatch_id 0
		.amdhsa_user_sgpr_flat_scratch_init 0
		.amdhsa_user_sgpr_kernarg_preload_length 0
		.amdhsa_user_sgpr_kernarg_preload_offset 0
		.amdhsa_user_sgpr_private_segment_size 0
		.amdhsa_uses_dynamic_stack 0
		.amdhsa_system_sgpr_private_segment_wavefront_offset 0
		.amdhsa_system_sgpr_workgroup_id_x 1
		.amdhsa_system_sgpr_workgroup_id_y 1
		.amdhsa_system_sgpr_workgroup_id_z 1
		.amdhsa_system_sgpr_workgroup_info 0
		.amdhsa_system_vgpr_workitem_id 1
		.amdhsa_next_free_vgpr 80
		.amdhsa_next_free_sgpr 61
		.amdhsa_accum_offset 80
		.amdhsa_reserve_vcc 1
		.amdhsa_reserve_flat_scratch 0
		.amdhsa_float_round_mode_32 0
		.amdhsa_float_round_mode_16_64 0
		.amdhsa_float_denorm_mode_32 3
		.amdhsa_float_denorm_mode_16_64 3
		.amdhsa_dx10_clamp 1
		.amdhsa_ieee_mode 1
		.amdhsa_fp16_overflow 0
		.amdhsa_tg_split 0
		.amdhsa_exception_fp_ieee_invalid_op 0
		.amdhsa_exception_fp_denorm_src 0
		.amdhsa_exception_fp_ieee_div_zero 0
		.amdhsa_exception_fp_ieee_overflow 0
		.amdhsa_exception_fp_ieee_underflow 0
		.amdhsa_exception_fp_ieee_inexact 0
		.amdhsa_exception_int_div_zero 0
	.end_amdhsa_kernel
	.section	.text._ZL30rocblas_trmm_outofplace_kernelI19rocblas_complex_numIfELi32ELi2ELb0ELb1ELb1ELb0EPKS1_S2_S1_Ev17rocblas_diagonal_iiT6_lPT7_lllS7_lllPT8_llli,"axG",@progbits,_ZL30rocblas_trmm_outofplace_kernelI19rocblas_complex_numIfELi32ELi2ELb0ELb1ELb1ELb0EPKS1_S2_S1_Ev17rocblas_diagonal_iiT6_lPT7_lllS7_lllPT8_llli,comdat
.Lfunc_end90:
	.size	_ZL30rocblas_trmm_outofplace_kernelI19rocblas_complex_numIfELi32ELi2ELb0ELb1ELb1ELb0EPKS1_S2_S1_Ev17rocblas_diagonal_iiT6_lPT7_lllS7_lllPT8_llli, .Lfunc_end90-_ZL30rocblas_trmm_outofplace_kernelI19rocblas_complex_numIfELi32ELi2ELb0ELb1ELb1ELb0EPKS1_S2_S1_Ev17rocblas_diagonal_iiT6_lPT7_lllS7_lllPT8_llli
                                        ; -- End function
	.section	.AMDGPU.csdata,"",@progbits
; Kernel info:
; codeLenInByte = 6720
; NumSgprs: 65
; NumVgprs: 80
; NumAgprs: 0
; TotalNumVgprs: 80
; ScratchSize: 0
; MemoryBound: 1
; FloatMode: 240
; IeeeMode: 1
; LDSByteSize: 16384 bytes/workgroup (compile time only)
; SGPRBlocks: 8
; VGPRBlocks: 9
; NumSGPRsForWavesPerEU: 65
; NumVGPRsForWavesPerEU: 80
; AccumOffset: 80
; Occupancy: 6
; WaveLimiterHint : 0
; COMPUTE_PGM_RSRC2:SCRATCH_EN: 0
; COMPUTE_PGM_RSRC2:USER_SGPR: 6
; COMPUTE_PGM_RSRC2:TRAP_HANDLER: 0
; COMPUTE_PGM_RSRC2:TGID_X_EN: 1
; COMPUTE_PGM_RSRC2:TGID_Y_EN: 1
; COMPUTE_PGM_RSRC2:TGID_Z_EN: 1
; COMPUTE_PGM_RSRC2:TIDIG_COMP_CNT: 1
; COMPUTE_PGM_RSRC3_GFX90A:ACCUM_OFFSET: 19
; COMPUTE_PGM_RSRC3_GFX90A:TG_SPLIT: 0
	.section	.text._ZL30rocblas_trmm_outofplace_kernelI19rocblas_complex_numIfELi32ELi2ELb0ELb1ELb1ELb0ES1_KS1_S1_Ev17rocblas_diagonal_iiT6_lPT7_lllS6_lllPT8_llli,"axG",@progbits,_ZL30rocblas_trmm_outofplace_kernelI19rocblas_complex_numIfELi32ELi2ELb0ELb1ELb1ELb0ES1_KS1_S1_Ev17rocblas_diagonal_iiT6_lPT7_lllS6_lllPT8_llli,comdat
	.globl	_ZL30rocblas_trmm_outofplace_kernelI19rocblas_complex_numIfELi32ELi2ELb0ELb1ELb1ELb0ES1_KS1_S1_Ev17rocblas_diagonal_iiT6_lPT7_lllS6_lllPT8_llli ; -- Begin function _ZL30rocblas_trmm_outofplace_kernelI19rocblas_complex_numIfELi32ELi2ELb0ELb1ELb1ELb0ES1_KS1_S1_Ev17rocblas_diagonal_iiT6_lPT7_lllS6_lllPT8_llli
	.p2align	8
	.type	_ZL30rocblas_trmm_outofplace_kernelI19rocblas_complex_numIfELi32ELi2ELb0ELb1ELb1ELb0ES1_KS1_S1_Ev17rocblas_diagonal_iiT6_lPT7_lllS6_lllPT8_llli,@function
_ZL30rocblas_trmm_outofplace_kernelI19rocblas_complex_numIfELi32ELi2ELb0ELb1ELb1ELb0ES1_KS1_S1_Ev17rocblas_diagonal_iiT6_lPT7_lllS6_lllPT8_llli: ; @_ZL30rocblas_trmm_outofplace_kernelI19rocblas_complex_numIfELi32ELi2ELb0ELb1ELb1ELb0ES1_KS1_S1_Ev17rocblas_diagonal_iiT6_lPT7_lllS6_lllPT8_llli
; %bb.0:
	s_load_dwordx4 s[24:27], s[4:5], 0x0
	s_load_dword s29, s[4:5], 0x10
	s_waitcnt lgkmcnt(0)
	s_or_b32 s0, s27, s29
	s_bitset0_b32 s0, 31
	s_cmp_eq_u32 s0, 0
	s_cbranch_scc1 .LBB91_63
; %bb.1:
	s_add_i32 s0, s26, -1
	s_ashr_i32 s1, s0, 31
	s_lshr_b32 s1, s1, 27
	s_add_i32 s0, s0, s1
	s_ashr_i32 s33, s0, 5
	s_cmp_gt_i32 s7, s33
	s_cbranch_scc1 .LBB91_63
; %bb.2:
	s_load_dwordx16 s[36:51], s[4:5], 0x20
	s_load_dwordx8 s[16:23], s[4:5], 0x60
	v_and_b32_e32 v4, 0x3ff, v0
	s_mov_b32 s28, s27
	v_bfe_u32 v47, v0, 10, 10
	s_waitcnt lgkmcnt(0)
	s_mul_i32 s0, s8, s51
	s_mul_hi_u32 s1, s8, s50
	s_add_i32 s1, s1, s0
	s_mul_i32 s0, s8, s50
	s_lshl_b64 s[0:1], s[0:1], 3
	s_add_u32 s2, s44, s0
	s_addc_u32 s3, s45, s1
	s_lshl_b64 s[0:1], s[46:47], 3
	s_add_u32 s2, s2, s0
	s_addc_u32 s3, s3, s1
	s_mul_i32 s0, s8, s23
	s_mul_hi_u32 s1, s8, s22
	s_add_i32 s1, s1, s0
	s_mul_i32 s0, s8, s22
	s_lshl_b64 s[0:1], s[0:1], 3
	s_add_u32 s9, s16, s0
	s_addc_u32 s10, s17, s1
	s_lshl_b64 s[0:1], s[18:19], 3
	s_add_u32 s56, s9, s0
	s_addc_u32 s57, s10, s1
	s_cmpk_eq_i32 s24, 0x84
	v_lshl_add_u32 v0, s6, 5, v4
	s_cselect_b64 s[22:23], -1, 0
	s_ashr_i32 s27, s26, 31
	s_ashr_i32 s0, s25, 31
	s_lshl_b64 s[30:31], s[40:41], 8
	s_lshl_b64 s[34:35], s[48:49], 8
	s_load_dword s6, s[4:5], 0x8c
	v_ashrrev_i32_e32 v1, 31, v0
	s_add_u32 s44, s26, -16
	v_lshlrev_b64 v[12:13], 3, v[0:1]
	s_addc_u32 s45, s27, -1
	s_lshl_b32 s9, s7, 5
	v_mov_b32_e32 v2, s3
	v_add_co_u32_e32 v14, vcc, s2, v12
	v_add_u32_e32 v18, s9, v4
	v_add_u32_e32 v20, s9, v47
	s_mul_i32 s9, s43, s8
	s_mul_hi_u32 s10, s42, s8
	v_addc_co_u32_e32 v15, vcc, v2, v13, vcc
	v_add_u32_e32 v16, 16, v0
	s_add_i32 s9, s10, s9
	s_mul_i32 s8, s42, s8
	v_sub_co_u32_e32 v2, vcc, s25, v0
	v_cmp_gt_i32_e64 s[4:5], s25, v0
	v_cmp_gt_i32_e64 s[16:17], s25, v16
	s_waitcnt lgkmcnt(0)
	s_lshl_b32 s58, s6, 5
	s_lshl_b64 s[24:25], s[48:49], 3
	s_lshl_b64 s[8:9], s[8:9], 3
	;; [unrolled: 1-line block ×3, first 2 shown]
	v_mov_b32_e32 v3, s0
	s_add_u32 s8, s8, s10
	v_subb_co_u32_e32 v3, vcc, v3, v1, vcc
	v_lshlrev_b32_e32 v1, 3, v4
	s_addc_u32 s9, s9, s11
	v_lshlrev_b32_e32 v49, 8, v47
	v_or_b32_e32 v53, 0x2000, v1
	s_add_u32 s36, s36, s8
	v_add_u32_e32 v51, v49, v1
	v_cmp_gt_i64_e64 s[0:1], 1, v[2:3]
	v_add_u32_e32 v55, v53, v49
	v_cmp_gt_i64_e64 s[2:3], 17, v[2:3]
	v_ashrrev_i32_e32 v17, 31, v16
	v_add_u32_e32 v57, 0x2080, v1
	s_addc_u32 s37, s37, s9
	s_lshl_b64 s[38:39], s[40:41], 3
	s_movk_i32 s59, 0x80
	v_mov_b32_e32 v23, 0
	v_mov_b32_e32 v22, 1.0
	s_branch .LBB91_4
.LBB91_3:                               ;   in Loop: Header=BB91_4 Depth=1
	s_or_b64 exec, exec, s[8:9]
	s_add_i32 s7, s6, s7
	v_add_u32_e32 v18, s58, v18
	s_cmp_le_i32 s7, s33
	v_add_u32_e32 v20, s58, v20
	s_cbranch_scc0 .LBB91_63
.LBB91_4:                               ; =>This Loop Header: Depth=1
                                        ;     Child Loop BB91_7 Depth 2
	s_lshl_b32 s8, s7, 5
	v_add_u32_e32 v24, s8, v47
	s_sub_i32 s60, s26, s8
	v_ashrrev_i32_e32 v19, 31, v18
	v_ashrrev_i32_e32 v21, 31, v20
	;; [unrolled: 1-line block ×3, first 2 shown]
	s_cmp_lt_i32 s60, 1
	v_mov_b32_e32 v58, v23
	v_mov_b32_e32 v60, v23
	;; [unrolled: 1-line block ×8, first 2 shown]
	s_cbranch_scc1 .LBB91_55
; %bb.5:                                ;   in Loop: Header=BB91_4 Depth=1
	v_mov_b32_e32 v0, 0x80
	v_mov_b32_e32 v1, 0
	v_sub_co_u32_e32 v26, vcc, v20, v18
	v_mad_u64_u32 v[28:29], s[8:9], s24, v20, v[0:1]
	v_mul_lo_u32 v2, s24, v21
	v_mul_lo_u32 v3, s25, v20
	v_subb_co_u32_e32 v27, vcc, v21, v19, vcc
	v_add3_u32 v29, v3, v29, v2
	v_lshlrev_b64 v[2:3], 3, v[18:19]
	v_add_co_u32_e32 v4, vcc, 0x80, v2
	v_addc_co_u32_e32 v2, vcc, 0, v3, vcc
	v_mul_lo_u32 v5, s40, v2
	v_pk_mov_b32 v[2:3], s[36:37], s[36:37] op_sel:[0,1]
	v_lshlrev_b64 v[30:31], 3, v[20:21]
	v_mad_u64_u32 v[32:33], s[8:9], s40, v4, v[2:3]
	v_mad_u64_u32 v[34:35], s[8:9], s38, v18, v[2:3]
	v_mul_lo_u32 v2, s38, v19
	v_mul_lo_u32 v3, s39, v18
	v_add3_u32 v35, v3, v35, v2
	v_add_co_u32_e32 v2, vcc, s59, v30
	v_mad_u64_u32 v[36:37], s[8:9], s48, v2, v[0:1]
	v_add_co_u32_e64 v40, s[10:11], 16, v26
	v_addc_co_u32_e32 v3, vcc, 0, v31, vcc
	v_add_co_u32_e64 v38, s[8:9], 16, v24
	v_addc_co_u32_e64 v41, s[10:11], 0, v27, s[10:11]
	v_mul_lo_u32 v6, s41, v4
	v_mul_lo_u32 v3, s48, v3
	;; [unrolled: 1-line block ×3, first 2 shown]
	v_addc_co_u32_e64 v39, s[8:9], 0, v25, s[8:9]
	v_add_co_u32_e64 v42, s[10:11], -16, v26
	v_add3_u32 v33, v6, v33, v5
	v_add3_u32 v37, v4, v37, v3
	v_cmp_le_i32_e32 vcc, s26, v24
	v_cmp_le_i64_e64 s[8:9], s[26:27], v[38:39]
	v_addc_co_u32_e64 v43, s[10:11], -1, v27, s[10:11]
	s_mov_b64 s[42:43], 0
	v_mov_b32_e32 v46, 0
	v_pk_mov_b32 v[44:45], v[14:15], v[14:15] op_sel:[0,1]
	v_mov_b32_e32 v48, 0
	v_mov_b32_e32 v52, 0
	;; [unrolled: 1-line block ×7, first 2 shown]
	s_branch .LBB91_7
.LBB91_6:                               ;   in Loop: Header=BB91_7 Depth=2
	s_or_b64 exec, exec, s[10:11]
	s_waitcnt lgkmcnt(0)
	s_barrier
	ds_read2_b64 v[62:65], v53 offset1:32
	ds_read_b128 v[66:69], v49
	ds_read_b128 v[8:11], v49 offset:16
	ds_read_b128 v[4:7], v49 offset:32
	;; [unrolled: 1-line block ×3, first 2 shown]
	ds_read2_b64 v[70:73], v57 offset1:32
	s_waitcnt lgkmcnt(4)
	v_mul_f32_e32 v59, v67, v63
	v_fma_f32 v59, v66, v62, -v59
	v_mul_f32_e32 v61, v66, v63
	v_fmac_f32_e32 v61, v67, v62
	v_add_f32_e32 v78, v58, v59
	s_waitcnt lgkmcnt(0)
	v_mul_f32_e32 v58, v67, v71
	v_add_f32_e32 v79, v60, v61
	v_fma_f32 v74, v66, v70, -v58
	ds_read_b128 v[58:61], v49 offset:4096
	v_mul_f32_e32 v66, v66, v71
	v_fmac_f32_e32 v66, v67, v70
	v_add_f32_e32 v54, v54, v74
	ds_read_b128 v[74:77], v49 offset:4112
	v_add_f32_e32 v56, v56, v66
	s_waitcnt lgkmcnt(1)
	v_mul_f32_e32 v66, v59, v63
	v_mul_f32_e32 v63, v58, v63
	v_fma_f32 v66, v58, v62, -v66
	v_fmac_f32_e32 v63, v59, v62
	v_mul_f32_e32 v62, v59, v71
	v_fma_f32 v62, v58, v70, -v62
	v_mul_f32_e32 v58, v58, v71
	v_fmac_f32_e32 v58, v59, v70
	v_add_f32_e32 v46, v46, v58
	v_mul_f32_e32 v58, v69, v65
	v_mul_f32_e32 v59, v68, v65
	v_fma_f32 v58, v68, v64, -v58
	v_fmac_f32_e32 v59, v69, v64
	v_add_f32_e32 v50, v50, v66
	v_add_f32_e32 v66, v78, v58
	;; [unrolled: 1-line block ×3, first 2 shown]
	v_mul_f32_e32 v58, v69, v73
	v_mul_f32_e32 v59, v68, v73
	v_fma_f32 v58, v68, v72, -v58
	v_fmac_f32_e32 v59, v69, v72
	v_add_f32_e32 v54, v54, v58
	v_add_f32_e32 v56, v56, v59
	v_mul_f32_e32 v58, v61, v65
	v_mul_f32_e32 v59, v60, v65
	v_add_f32_e32 v52, v52, v63
	v_add_f32_e32 v48, v48, v62
	v_fma_f32 v58, v60, v64, -v58
	v_fmac_f32_e32 v59, v61, v64
	ds_read2_b64 v[62:65], v53 offset0:64 offset1:96
	v_add_f32_e32 v50, v50, v58
	v_mul_f32_e32 v58, v61, v73
	v_add_f32_e32 v52, v52, v59
	v_fma_f32 v58, v60, v72, -v58
	v_mul_f32_e32 v59, v60, v73
	v_fmac_f32_e32 v59, v61, v72
	v_add_f32_e32 v48, v48, v58
	s_waitcnt lgkmcnt(0)
	v_mul_f32_e32 v58, v9, v63
	v_add_f32_e32 v46, v46, v59
	v_fma_f32 v68, v8, v62, -v58
	ds_read2_b64 v[58:61], v57 offset0:64 offset1:96
	v_add_f32_e32 v66, v66, v68
	v_mul_f32_e32 v69, v8, v63
	v_fmac_f32_e32 v69, v9, v62
	v_add_f32_e32 v67, v67, v69
	s_waitcnt lgkmcnt(0)
	v_mul_f32_e32 v68, v9, v59
	v_fma_f32 v68, v8, v58, -v68
	v_mul_f32_e32 v8, v8, v59
	v_fmac_f32_e32 v8, v9, v58
	v_add_f32_e32 v9, v54, v68
	v_mul_f32_e32 v54, v75, v63
	v_add_f32_e32 v8, v56, v8
	v_fma_f32 v54, v74, v62, -v54
	v_mul_f32_e32 v56, v74, v63
	v_fmac_f32_e32 v56, v75, v62
	v_add_f32_e32 v50, v50, v54
	v_mul_f32_e32 v54, v75, v59
	v_add_f32_e32 v52, v52, v56
	v_fma_f32 v54, v74, v58, -v54
	v_mul_f32_e32 v56, v74, v59
	v_fmac_f32_e32 v56, v75, v58
	v_add_f32_e32 v48, v48, v54
	v_mul_f32_e32 v54, v11, v65
	v_mul_f32_e32 v58, v11, v61
	v_add_f32_e32 v46, v46, v56
	v_fma_f32 v54, v10, v64, -v54
	v_mul_f32_e32 v56, v10, v65
	v_fma_f32 v58, v10, v60, -v58
	v_mul_f32_e32 v10, v10, v61
	v_fmac_f32_e32 v56, v11, v64
	v_fmac_f32_e32 v10, v11, v60
	v_add_f32_e32 v56, v67, v56
	v_add_f32_e32 v67, v8, v10
	v_mul_f32_e32 v8, v77, v65
	v_add_f32_e32 v54, v66, v54
	v_add_f32_e32 v66, v9, v58
	v_fma_f32 v8, v76, v64, -v8
	v_mul_f32_e32 v9, v76, v65
	v_fmac_f32_e32 v9, v77, v64
	v_add_f32_e32 v50, v50, v8
	v_mul_f32_e32 v8, v77, v61
	v_add_f32_e32 v52, v52, v9
	v_fma_f32 v58, v76, v60, -v8
	ds_read2_b64 v[8:11], v53 offset0:128 offset1:160
	v_mul_f32_e32 v59, v76, v61
	v_fmac_f32_e32 v59, v77, v60
	v_add_f32_e32 v48, v48, v58
	v_add_f32_e32 v46, v46, v59
	s_waitcnt lgkmcnt(0)
	v_mul_f32_e32 v58, v5, v9
	v_fma_f32 v62, v4, v8, -v58
	ds_read2_b64 v[58:61], v57 offset0:128 offset1:160
	v_mul_f32_e32 v63, v4, v9
	v_fmac_f32_e32 v63, v5, v8
	v_add_f32_e32 v54, v54, v62
	v_add_f32_e32 v56, v56, v63
	s_waitcnt lgkmcnt(0)
	v_mul_f32_e32 v62, v5, v59
	v_fma_f32 v68, v4, v58, -v62
	ds_read_b128 v[62:65], v49 offset:4128
	v_mul_f32_e32 v4, v4, v59
	v_fmac_f32_e32 v4, v5, v58
	v_add_f32_e32 v5, v66, v68
	v_add_f32_e32 v4, v67, v4
	ds_read_b128 v[66:69], v49 offset:4144
	s_waitcnt lgkmcnt(1)
	v_mul_f32_e32 v70, v63, v9
	v_fma_f32 v70, v62, v8, -v70
	v_mul_f32_e32 v9, v62, v9
	v_fmac_f32_e32 v9, v63, v8
	v_add_f32_e32 v8, v50, v70
	v_mul_f32_e32 v50, v63, v59
	v_fma_f32 v50, v62, v58, -v50
	v_add_f32_e32 v48, v48, v50
	v_mul_f32_e32 v50, v7, v11
	v_add_f32_e32 v9, v52, v9
	v_mul_f32_e32 v52, v62, v59
	v_fma_f32 v50, v6, v10, -v50
	v_fmac_f32_e32 v52, v63, v58
	v_add_f32_e32 v50, v54, v50
	v_mul_f32_e32 v54, v7, v61
	v_add_f32_e32 v46, v46, v52
	v_mul_f32_e32 v52, v6, v11
	v_fma_f32 v54, v6, v60, -v54
	v_mul_f32_e32 v6, v6, v61
	v_fmac_f32_e32 v52, v7, v10
	v_fmac_f32_e32 v6, v7, v60
	v_add_f32_e32 v52, v56, v52
	v_add_f32_e32 v56, v4, v6
	v_mul_f32_e32 v4, v65, v11
	v_add_f32_e32 v54, v5, v54
	v_fma_f32 v4, v64, v10, -v4
	v_mul_f32_e32 v5, v64, v11
	v_fmac_f32_e32 v5, v65, v10
	v_add_f32_e32 v58, v8, v4
	v_mul_f32_e32 v4, v65, v61
	v_add_f32_e32 v59, v9, v5
	v_fma_f32 v8, v64, v60, -v4
	ds_read2_b64 v[4:7], v53 offset0:192 offset1:224
	v_mul_f32_e32 v9, v64, v61
	v_fmac_f32_e32 v9, v65, v60
	v_add_f32_e32 v48, v48, v8
	v_add_f32_e32 v46, v46, v9
	s_waitcnt lgkmcnt(0)
	v_mul_f32_e32 v8, v1, v5
	v_fma_f32 v60, v0, v4, -v8
	ds_read2_b64 v[8:11], v57 offset0:192 offset1:224
	v_add_f32_e32 v50, v50, v60
	v_mul_f32_e32 v61, v0, v5
	v_fmac_f32_e32 v61, v1, v4
	v_add_f32_e32 v52, v52, v61
	s_waitcnt lgkmcnt(0)
	v_mul_f32_e32 v60, v1, v9
	v_fma_f32 v60, v0, v8, -v60
	v_mul_f32_e32 v0, v0, v9
	v_fmac_f32_e32 v0, v1, v8
	v_add_f32_e32 v1, v54, v60
	v_mul_f32_e32 v54, v67, v5
	v_fma_f32 v54, v66, v4, -v54
	v_mul_f32_e32 v5, v66, v5
	v_fmac_f32_e32 v5, v67, v4
	v_add_f32_e32 v4, v58, v54
	v_mul_f32_e32 v54, v67, v9
	v_mul_f32_e32 v9, v66, v9
	v_fma_f32 v54, v66, v8, -v54
	v_fmac_f32_e32 v9, v67, v8
	v_mul_f32_e32 v8, v3, v7
	v_fma_f32 v8, v2, v6, -v8
	v_add_f32_e32 v50, v50, v8
	v_mul_f32_e32 v8, v3, v11
	v_add_f32_e32 v46, v46, v9
	v_mul_f32_e32 v9, v2, v7
	v_fma_f32 v8, v2, v10, -v8
	v_mul_f32_e32 v2, v2, v11
	v_add_f32_e32 v0, v56, v0
	v_fmac_f32_e32 v2, v3, v10
	v_add_f32_e32 v56, v0, v2
	v_mul_f32_e32 v0, v69, v7
	v_add_f32_e32 v48, v48, v54
	v_add_f32_e32 v54, v1, v8
	v_fma_f32 v0, v68, v6, -v0
	v_mul_f32_e32 v1, v68, v7
	v_add_f32_e32 v5, v59, v5
	v_fmac_f32_e32 v9, v3, v6
	v_fmac_f32_e32 v1, v69, v6
	v_add_f32_e32 v74, v4, v0
	v_mul_f32_e32 v0, v69, v11
	v_add_u32_e32 v4, 0x800, v53
	v_add_f32_e32 v52, v52, v9
	v_add_f32_e32 v75, v5, v1
	v_fma_f32 v5, v68, v10, -v0
	ds_read2_b64 v[0:3], v4 offset1:32
	ds_read_b128 v[6:9], v49 offset:64
	v_mul_f32_e32 v11, v68, v11
	v_fmac_f32_e32 v11, v69, v10
	v_add_f32_e32 v10, v48, v5
	v_add_f32_e32 v11, v46, v11
	s_waitcnt lgkmcnt(0)
	v_mul_f32_e32 v5, v7, v1
	v_fma_f32 v46, v6, v0, -v5
	v_add_u32_e32 v5, 0x800, v57
	ds_read2_b64 v[62:65], v5 offset1:32
	ds_read_b128 v[58:61], v49 offset:80
	ds_read_b128 v[66:69], v49 offset:4160
	v_add_f32_e32 v46, v50, v46
	v_mul_f32_e32 v48, v6, v1
	s_waitcnt lgkmcnt(2)
	v_mul_f32_e32 v50, v7, v63
	v_fma_f32 v50, v6, v62, -v50
	v_mul_f32_e32 v6, v6, v63
	v_fmac_f32_e32 v48, v7, v0
	v_fmac_f32_e32 v6, v7, v62
	v_add_f32_e32 v7, v54, v50
	s_waitcnt lgkmcnt(0)
	v_mul_f32_e32 v50, v67, v1
	v_fma_f32 v50, v66, v0, -v50
	v_mul_f32_e32 v1, v66, v1
	v_fmac_f32_e32 v1, v67, v0
	v_add_f32_e32 v0, v74, v50
	v_mul_f32_e32 v50, v67, v63
	v_fma_f32 v50, v66, v62, -v50
	v_add_f32_e32 v10, v10, v50
	v_mul_f32_e32 v50, v9, v3
	v_add_f32_e32 v48, v52, v48
	v_mul_f32_e32 v52, v66, v63
	v_fma_f32 v50, v8, v2, -v50
	v_fmac_f32_e32 v52, v67, v62
	v_add_f32_e32 v46, v46, v50
	v_mul_f32_e32 v50, v9, v65
	v_add_f32_e32 v11, v11, v52
	v_mul_f32_e32 v52, v8, v3
	v_fma_f32 v50, v8, v64, -v50
	v_mul_f32_e32 v8, v8, v65
	v_add_f32_e32 v6, v56, v6
	v_fmac_f32_e32 v52, v9, v2
	v_fmac_f32_e32 v8, v9, v64
	v_add_f32_e32 v48, v48, v52
	v_add_f32_e32 v52, v6, v8
	v_mul_f32_e32 v6, v69, v3
	v_fma_f32 v6, v68, v2, -v6
	v_mul_f32_e32 v3, v68, v3
	v_add_f32_e32 v1, v75, v1
	v_fmac_f32_e32 v3, v69, v2
	v_add_f32_e32 v54, v0, v6
	v_mul_f32_e32 v0, v69, v65
	v_add_f32_e32 v56, v1, v3
	v_fma_f32 v6, v68, v64, -v0
	ds_read2_b64 v[0:3], v4 offset0:64 offset1:96
	v_add_f32_e32 v50, v7, v50
	v_mul_f32_e32 v7, v68, v65
	v_fmac_f32_e32 v7, v69, v64
	v_add_f32_e32 v10, v10, v6
	s_waitcnt lgkmcnt(0)
	v_mul_f32_e32 v6, v59, v1
	v_add_f32_e32 v11, v11, v7
	v_fma_f32 v62, v58, v0, -v6
	ds_read2_b64 v[6:9], v5 offset0:64 offset1:96
	ds_read_b128 v[70:73], v49 offset:4176
	v_add_f32_e32 v46, v46, v62
	v_mul_f32_e32 v63, v58, v1
	v_fmac_f32_e32 v63, v59, v0
	s_waitcnt lgkmcnt(1)
	v_mul_f32_e32 v62, v59, v7
	v_fma_f32 v62, v58, v6, -v62
	v_mul_f32_e32 v58, v58, v7
	v_fmac_f32_e32 v58, v59, v6
	v_add_f32_e32 v52, v52, v58
	s_waitcnt lgkmcnt(0)
	v_mul_f32_e32 v58, v71, v1
	v_fma_f32 v58, v70, v0, -v58
	v_mul_f32_e32 v1, v70, v1
	v_fmac_f32_e32 v1, v71, v0
	v_add_f32_e32 v0, v54, v58
	v_mul_f32_e32 v54, v71, v7
	v_fma_f32 v54, v70, v6, -v54
	v_mul_f32_e32 v7, v70, v7
	v_fmac_f32_e32 v7, v71, v6
	v_add_f32_e32 v6, v10, v54
	v_mul_f32_e32 v10, v61, v3
	v_fma_f32 v10, v60, v2, -v10
	v_add_f32_e32 v10, v46, v10
	v_mul_f32_e32 v46, v61, v9
	v_add_f32_e32 v50, v50, v62
	v_add_f32_e32 v7, v11, v7
	v_mul_f32_e32 v11, v60, v3
	v_fma_f32 v46, v60, v8, -v46
	v_add_f32_e32 v48, v48, v63
	v_fmac_f32_e32 v11, v61, v2
	v_add_f32_e32 v46, v50, v46
	v_mul_f32_e32 v50, v73, v3
	v_add_f32_e32 v11, v48, v11
	v_mul_f32_e32 v48, v60, v9
	v_fma_f32 v50, v72, v2, -v50
	v_mul_f32_e32 v3, v72, v3
	v_add_f32_e32 v1, v56, v1
	v_fmac_f32_e32 v48, v61, v8
	v_fmac_f32_e32 v3, v73, v2
	v_add_f32_e32 v50, v0, v50
	v_mul_f32_e32 v0, v73, v9
	v_add_f32_e32 v48, v52, v48
	v_add_f32_e32 v52, v1, v3
	v_fma_f32 v54, v72, v8, -v0
	ds_read2_b64 v[0:3], v4 offset0:128 offset1:160
	ds_read_b128 v[58:61], v49 offset:96
	v_mul_f32_e32 v9, v72, v9
	v_fmac_f32_e32 v9, v73, v8
	v_add_f32_e32 v54, v6, v54
	v_add_f32_e32 v56, v7, v9
	s_waitcnt lgkmcnt(0)
	v_mul_f32_e32 v62, v59, v1
	v_fma_f32 v66, v58, v0, -v62
	ds_read2_b64 v[62:65], v5 offset0:128 offset1:160
	v_mul_f32_e32 v67, v58, v1
	v_fmac_f32_e32 v67, v59, v0
	v_add_f32_e32 v10, v10, v66
	ds_read_b128 v[6:9], v49 offset:112
	s_waitcnt lgkmcnt(1)
	v_mul_f32_e32 v66, v59, v63
	v_add_f32_e32 v11, v11, v67
	v_fma_f32 v70, v58, v62, -v66
	ds_read_b128 v[66:69], v49 offset:4192
	v_mul_f32_e32 v58, v58, v63
	v_fmac_f32_e32 v58, v59, v62
	v_add_f32_e32 v48, v48, v58
	v_add_f32_e32 v46, v46, v70
	s_waitcnt lgkmcnt(0)
	v_mul_f32_e32 v58, v67, v1
	v_fma_f32 v58, v66, v0, -v58
	v_mul_f32_e32 v1, v66, v1
	v_fmac_f32_e32 v1, v67, v0
	v_add_f32_e32 v0, v50, v58
	v_mul_f32_e32 v50, v67, v63
	v_fma_f32 v50, v66, v62, -v50
	v_add_f32_e32 v50, v54, v50
	v_mul_f32_e32 v54, v61, v3
	v_add_f32_e32 v1, v52, v1
	v_mul_f32_e32 v52, v66, v63
	v_fma_f32 v54, v60, v2, -v54
	v_fmac_f32_e32 v52, v67, v62
	v_add_f32_e32 v10, v10, v54
	v_mul_f32_e32 v54, v61, v65
	v_add_f32_e32 v52, v56, v52
	v_mul_f32_e32 v56, v60, v3
	v_fma_f32 v54, v60, v64, -v54
	v_fmac_f32_e32 v56, v61, v2
	v_add_f32_e32 v46, v46, v54
	v_mul_f32_e32 v54, v69, v3
	v_add_f32_e32 v11, v11, v56
	v_mul_f32_e32 v56, v60, v65
	v_fma_f32 v54, v68, v2, -v54
	v_mul_f32_e32 v3, v68, v3
	v_fmac_f32_e32 v56, v61, v64
	v_fmac_f32_e32 v3, v69, v2
	v_add_f32_e32 v54, v0, v54
	v_mul_f32_e32 v0, v69, v65
	v_add_f32_e32 v48, v48, v56
	v_add_f32_e32 v56, v1, v3
	v_fma_f32 v58, v68, v64, -v0
	ds_read2_b64 v[0:3], v4 offset0:192 offset1:224
	v_add_f32_e32 v50, v50, v58
	ds_read2_b64 v[58:61], v5 offset0:192 offset1:224
	ds_read_b128 v[70:73], v49 offset:4208
	v_mul_f32_e32 v4, v68, v65
	s_waitcnt lgkmcnt(2)
	v_mul_f32_e32 v5, v6, v1
	v_fmac_f32_e32 v4, v69, v64
	v_fmac_f32_e32 v5, v7, v0
	v_add_f32_e32 v4, v52, v4
	v_mul_f32_e32 v52, v7, v1
	v_add_f32_e32 v5, v11, v5
	s_waitcnt lgkmcnt(1)
	v_mul_f32_e32 v11, v7, v59
	v_fma_f32 v52, v6, v0, -v52
	v_fma_f32 v11, v6, v58, -v11
	v_mul_f32_e32 v6, v6, v59
	v_fmac_f32_e32 v6, v7, v58
	v_add_f32_e32 v7, v46, v11
	s_waitcnt lgkmcnt(0)
	v_mul_f32_e32 v46, v70, v59
	v_fmac_f32_e32 v46, v71, v58
	v_mul_f32_e32 v11, v71, v1
	v_add_f32_e32 v46, v4, v46
	v_mul_f32_e32 v4, v9, v3
	v_add_f32_e32 v10, v10, v52
	v_fma_f32 v11, v70, v0, -v11
	v_mul_f32_e32 v1, v70, v1
	v_fma_f32 v4, v8, v2, -v4
	v_fmac_f32_e32 v1, v71, v0
	v_add_f32_e32 v0, v54, v11
	v_mul_f32_e32 v11, v71, v59
	v_add_f32_e32 v10, v10, v4
	v_mul_f32_e32 v4, v9, v61
	v_add_f32_e32 v6, v48, v6
	v_fma_f32 v11, v70, v58, -v11
	v_mul_f32_e32 v48, v8, v3
	v_fma_f32 v4, v8, v60, -v4
	v_add_f32_e32 v11, v50, v11
	v_fmac_f32_e32 v48, v9, v2
	v_add_f32_e32 v50, v7, v4
	v_mul_f32_e32 v4, v73, v3
	v_add_f32_e32 v48, v5, v48
	v_mul_f32_e32 v5, v8, v61
	v_fma_f32 v4, v72, v2, -v4
	v_mul_f32_e32 v3, v72, v3
	v_add_f32_e32 v1, v56, v1
	v_fmac_f32_e32 v5, v9, v60
	v_fmac_f32_e32 v3, v73, v2
	v_add_f32_e32 v54, v0, v4
	v_mul_f32_e32 v0, v73, v61
	v_add_u32_e32 v4, 0x1000, v53
	v_add_f32_e32 v52, v6, v5
	v_add_f32_e32 v56, v1, v3
	v_fma_f32 v5, v72, v60, -v0
	ds_read2_b64 v[0:3], v4 offset1:32
	ds_read_b128 v[6:9], v49 offset:128
	v_add_f32_e32 v11, v11, v5
	v_mul_f32_e32 v58, v72, v61
	v_fmac_f32_e32 v58, v73, v60
	v_add_f32_e32 v46, v46, v58
	s_waitcnt lgkmcnt(0)
	v_mul_f32_e32 v5, v7, v1
	v_fma_f32 v66, v6, v0, -v5
	v_add_u32_e32 v5, 0x1000, v57
	ds_read2_b64 v[62:65], v5 offset1:32
	v_mul_f32_e32 v67, v6, v1
	v_fmac_f32_e32 v67, v7, v0
	v_add_f32_e32 v10, v10, v66
	ds_read_b128 v[58:61], v49 offset:144
	s_waitcnt lgkmcnt(1)
	v_mul_f32_e32 v66, v7, v63
	v_add_f32_e32 v48, v48, v67
	v_fma_f32 v70, v6, v62, -v66
	ds_read_b128 v[66:69], v49 offset:4224
	v_mul_f32_e32 v6, v6, v63
	v_fmac_f32_e32 v6, v7, v62
	v_add_f32_e32 v7, v50, v70
	v_add_f32_e32 v6, v52, v6
	s_waitcnt lgkmcnt(0)
	v_mul_f32_e32 v50, v67, v1
	v_fma_f32 v50, v66, v0, -v50
	v_mul_f32_e32 v1, v66, v1
	v_fmac_f32_e32 v1, v67, v0
	v_add_f32_e32 v0, v54, v50
	v_mul_f32_e32 v50, v67, v63
	v_fma_f32 v50, v66, v62, -v50
	v_add_f32_e32 v11, v11, v50
	v_mul_f32_e32 v50, v9, v3
	v_mul_f32_e32 v52, v66, v63
	v_fma_f32 v50, v8, v2, -v50
	v_fmac_f32_e32 v52, v67, v62
	v_add_f32_e32 v10, v10, v50
	v_mul_f32_e32 v50, v9, v65
	v_add_f32_e32 v46, v46, v52
	v_mul_f32_e32 v52, v8, v3
	v_fma_f32 v50, v8, v64, -v50
	v_mul_f32_e32 v8, v8, v65
	v_fmac_f32_e32 v52, v9, v2
	v_fmac_f32_e32 v8, v9, v64
	v_add_f32_e32 v48, v48, v52
	v_add_f32_e32 v52, v6, v8
	v_mul_f32_e32 v6, v69, v3
	v_fma_f32 v6, v68, v2, -v6
	v_mul_f32_e32 v3, v68, v3
	v_add_f32_e32 v1, v56, v1
	v_fmac_f32_e32 v3, v69, v2
	v_add_f32_e32 v54, v0, v6
	v_mul_f32_e32 v0, v69, v65
	v_add_f32_e32 v56, v1, v3
	v_fma_f32 v6, v68, v64, -v0
	ds_read2_b64 v[0:3], v4 offset0:64 offset1:96
	v_add_f32_e32 v50, v7, v50
	v_mul_f32_e32 v7, v68, v65
	v_fmac_f32_e32 v7, v69, v64
	v_add_f32_e32 v11, v11, v6
	s_waitcnt lgkmcnt(0)
	v_mul_f32_e32 v6, v59, v1
	v_add_f32_e32 v46, v46, v7
	v_fma_f32 v62, v58, v0, -v6
	ds_read2_b64 v[6:9], v5 offset0:64 offset1:96
	ds_read_b128 v[70:73], v49 offset:4240
	v_add_f32_e32 v10, v10, v62
	v_mul_f32_e32 v63, v58, v1
	v_fmac_f32_e32 v63, v59, v0
	s_waitcnt lgkmcnt(1)
	v_mul_f32_e32 v62, v59, v7
	v_fma_f32 v62, v58, v6, -v62
	v_mul_f32_e32 v58, v58, v7
	v_fmac_f32_e32 v58, v59, v6
	v_add_f32_e32 v52, v52, v58
	s_waitcnt lgkmcnt(0)
	v_mul_f32_e32 v58, v71, v1
	v_fma_f32 v58, v70, v0, -v58
	v_mul_f32_e32 v1, v70, v1
	v_fmac_f32_e32 v1, v71, v0
	v_add_f32_e32 v0, v54, v58
	v_mul_f32_e32 v54, v71, v7
	v_mul_f32_e32 v7, v70, v7
	v_fma_f32 v54, v70, v6, -v54
	v_fmac_f32_e32 v7, v71, v6
	v_add_f32_e32 v6, v11, v54
	v_add_f32_e32 v7, v46, v7
	v_mul_f32_e32 v11, v61, v3
	v_mul_f32_e32 v46, v60, v3
	v_add_f32_e32 v48, v48, v63
	v_fma_f32 v11, v60, v2, -v11
	v_fmac_f32_e32 v46, v61, v2
	v_add_f32_e32 v10, v10, v11
	v_add_f32_e32 v11, v48, v46
	v_mul_f32_e32 v46, v61, v9
	v_add_f32_e32 v50, v50, v62
	v_fma_f32 v46, v60, v8, -v46
	v_add_f32_e32 v46, v50, v46
	v_mul_f32_e32 v50, v73, v3
	v_mul_f32_e32 v48, v60, v9
	v_fma_f32 v50, v72, v2, -v50
	v_mul_f32_e32 v3, v72, v3
	v_add_f32_e32 v1, v56, v1
	v_fmac_f32_e32 v48, v61, v8
	v_fmac_f32_e32 v3, v73, v2
	v_add_f32_e32 v50, v0, v50
	v_mul_f32_e32 v0, v73, v9
	v_add_f32_e32 v48, v52, v48
	v_add_f32_e32 v52, v1, v3
	v_fma_f32 v54, v72, v8, -v0
	ds_read2_b64 v[0:3], v4 offset0:128 offset1:160
	ds_read_b128 v[58:61], v49 offset:160
	v_mul_f32_e32 v9, v72, v9
	v_fmac_f32_e32 v9, v73, v8
	v_add_f32_e32 v54, v6, v54
	v_add_f32_e32 v56, v7, v9
	s_waitcnt lgkmcnt(0)
	v_mul_f32_e32 v62, v59, v1
	v_fma_f32 v66, v58, v0, -v62
	ds_read2_b64 v[62:65], v5 offset0:128 offset1:160
	v_mul_f32_e32 v67, v58, v1
	v_fmac_f32_e32 v67, v59, v0
	v_add_f32_e32 v10, v10, v66
	ds_read_b128 v[6:9], v49 offset:176
	s_waitcnt lgkmcnt(1)
	v_mul_f32_e32 v66, v59, v63
	v_add_f32_e32 v11, v11, v67
	v_fma_f32 v70, v58, v62, -v66
	ds_read_b128 v[66:69], v49 offset:4256
	v_mul_f32_e32 v58, v58, v63
	v_fmac_f32_e32 v58, v59, v62
	v_add_f32_e32 v48, v48, v58
	v_add_f32_e32 v46, v46, v70
	s_waitcnt lgkmcnt(0)
	v_mul_f32_e32 v58, v67, v1
	v_fma_f32 v58, v66, v0, -v58
	v_mul_f32_e32 v1, v66, v1
	v_fmac_f32_e32 v1, v67, v0
	v_add_f32_e32 v0, v50, v58
	v_mul_f32_e32 v50, v67, v63
	v_fma_f32 v50, v66, v62, -v50
	v_add_f32_e32 v50, v54, v50
	v_mul_f32_e32 v54, v61, v3
	v_add_f32_e32 v1, v52, v1
	v_mul_f32_e32 v52, v66, v63
	v_fma_f32 v54, v60, v2, -v54
	v_fmac_f32_e32 v52, v67, v62
	v_add_f32_e32 v10, v10, v54
	v_mul_f32_e32 v54, v61, v65
	v_add_f32_e32 v52, v56, v52
	v_mul_f32_e32 v56, v60, v3
	v_fma_f32 v54, v60, v64, -v54
	v_fmac_f32_e32 v56, v61, v2
	v_add_f32_e32 v46, v46, v54
	v_mul_f32_e32 v54, v69, v3
	v_add_f32_e32 v11, v11, v56
	v_mul_f32_e32 v56, v60, v65
	v_fma_f32 v54, v68, v2, -v54
	v_mul_f32_e32 v3, v68, v3
	v_fmac_f32_e32 v56, v61, v64
	v_fmac_f32_e32 v3, v69, v2
	v_add_f32_e32 v54, v0, v54
	v_mul_f32_e32 v0, v69, v65
	v_add_f32_e32 v48, v48, v56
	v_add_f32_e32 v56, v1, v3
	v_fma_f32 v58, v68, v64, -v0
	ds_read2_b64 v[0:3], v4 offset0:192 offset1:224
	v_add_f32_e32 v50, v50, v58
	ds_read2_b64 v[58:61], v5 offset0:192 offset1:224
	ds_read_b128 v[70:73], v49 offset:4272
	v_mul_f32_e32 v4, v68, v65
	s_waitcnt lgkmcnt(2)
	v_mul_f32_e32 v5, v6, v1
	v_fmac_f32_e32 v4, v69, v64
	v_fmac_f32_e32 v5, v7, v0
	v_add_f32_e32 v4, v52, v4
	v_mul_f32_e32 v52, v7, v1
	v_add_f32_e32 v5, v11, v5
	s_waitcnt lgkmcnt(1)
	v_mul_f32_e32 v11, v7, v59
	v_fma_f32 v52, v6, v0, -v52
	v_fma_f32 v11, v6, v58, -v11
	v_mul_f32_e32 v6, v6, v59
	v_fmac_f32_e32 v6, v7, v58
	v_add_f32_e32 v7, v46, v11
	s_waitcnt lgkmcnt(0)
	v_mul_f32_e32 v46, v70, v59
	v_fmac_f32_e32 v46, v71, v58
	v_mul_f32_e32 v11, v71, v1
	v_add_f32_e32 v46, v4, v46
	v_mul_f32_e32 v4, v9, v3
	v_add_f32_e32 v10, v10, v52
	v_fma_f32 v11, v70, v0, -v11
	v_mul_f32_e32 v1, v70, v1
	v_fma_f32 v4, v8, v2, -v4
	v_fmac_f32_e32 v1, v71, v0
	v_add_f32_e32 v0, v54, v11
	v_mul_f32_e32 v11, v71, v59
	v_add_f32_e32 v10, v10, v4
	v_mul_f32_e32 v4, v9, v61
	v_add_f32_e32 v6, v48, v6
	v_fma_f32 v11, v70, v58, -v11
	v_mul_f32_e32 v48, v8, v3
	v_fma_f32 v4, v8, v60, -v4
	v_add_f32_e32 v11, v50, v11
	v_fmac_f32_e32 v48, v9, v2
	v_add_f32_e32 v50, v7, v4
	v_mul_f32_e32 v4, v73, v3
	v_add_f32_e32 v48, v5, v48
	v_mul_f32_e32 v5, v8, v61
	v_fma_f32 v4, v72, v2, -v4
	v_mul_f32_e32 v3, v72, v3
	v_add_f32_e32 v1, v56, v1
	v_fmac_f32_e32 v5, v9, v60
	v_fmac_f32_e32 v3, v73, v2
	v_add_f32_e32 v54, v0, v4
	v_mul_f32_e32 v0, v73, v61
	v_add_u32_e32 v4, 0x1800, v53
	v_add_f32_e32 v52, v6, v5
	v_add_f32_e32 v56, v1, v3
	v_fma_f32 v5, v72, v60, -v0
	ds_read2_b64 v[0:3], v4 offset1:32
	ds_read_b128 v[6:9], v49 offset:192
	v_add_f32_e32 v11, v11, v5
	v_mul_f32_e32 v58, v72, v61
	v_fmac_f32_e32 v58, v73, v60
	v_add_f32_e32 v46, v46, v58
	s_waitcnt lgkmcnt(0)
	v_mul_f32_e32 v5, v7, v1
	v_fma_f32 v66, v6, v0, -v5
	v_add_u32_e32 v5, 0x1800, v57
	ds_read2_b64 v[62:65], v5 offset1:32
	v_mul_f32_e32 v67, v6, v1
	v_fmac_f32_e32 v67, v7, v0
	v_add_f32_e32 v10, v10, v66
	ds_read_b128 v[58:61], v49 offset:208
	s_waitcnt lgkmcnt(1)
	v_mul_f32_e32 v66, v7, v63
	v_add_f32_e32 v48, v48, v67
	v_fma_f32 v70, v6, v62, -v66
	ds_read_b128 v[66:69], v49 offset:4288
	v_mul_f32_e32 v6, v6, v63
	v_fmac_f32_e32 v6, v7, v62
	v_add_f32_e32 v7, v50, v70
	v_add_f32_e32 v6, v52, v6
	s_waitcnt lgkmcnt(0)
	v_mul_f32_e32 v50, v67, v1
	v_fma_f32 v50, v66, v0, -v50
	v_mul_f32_e32 v1, v66, v1
	v_fmac_f32_e32 v1, v67, v0
	v_add_f32_e32 v0, v54, v50
	v_mul_f32_e32 v50, v67, v63
	v_fma_f32 v50, v66, v62, -v50
	v_add_f32_e32 v11, v11, v50
	v_mul_f32_e32 v50, v9, v3
	v_mul_f32_e32 v52, v66, v63
	v_fma_f32 v50, v8, v2, -v50
	v_fmac_f32_e32 v52, v67, v62
	v_add_f32_e32 v10, v10, v50
	v_mul_f32_e32 v50, v9, v65
	v_add_f32_e32 v46, v46, v52
	v_mul_f32_e32 v52, v8, v3
	v_fma_f32 v50, v8, v64, -v50
	v_mul_f32_e32 v8, v8, v65
	v_fmac_f32_e32 v52, v9, v2
	v_fmac_f32_e32 v8, v9, v64
	v_add_f32_e32 v48, v48, v52
	v_add_f32_e32 v52, v6, v8
	v_mul_f32_e32 v6, v69, v3
	v_fma_f32 v6, v68, v2, -v6
	v_mul_f32_e32 v3, v68, v3
	v_add_f32_e32 v1, v56, v1
	v_fmac_f32_e32 v3, v69, v2
	v_add_f32_e32 v54, v0, v6
	v_mul_f32_e32 v0, v69, v65
	v_add_f32_e32 v56, v1, v3
	v_fma_f32 v6, v68, v64, -v0
	ds_read2_b64 v[0:3], v4 offset0:64 offset1:96
	v_add_f32_e32 v50, v7, v50
	v_mul_f32_e32 v7, v68, v65
	v_fmac_f32_e32 v7, v69, v64
	v_add_f32_e32 v11, v11, v6
	s_waitcnt lgkmcnt(0)
	v_mul_f32_e32 v6, v59, v1
	v_add_f32_e32 v46, v46, v7
	v_fma_f32 v62, v58, v0, -v6
	ds_read2_b64 v[6:9], v5 offset0:64 offset1:96
	ds_read_b128 v[70:73], v49 offset:4304
	v_add_f32_e32 v10, v10, v62
	v_mul_f32_e32 v63, v58, v1
	v_fmac_f32_e32 v63, v59, v0
	s_waitcnt lgkmcnt(1)
	v_mul_f32_e32 v62, v59, v7
	v_fma_f32 v62, v58, v6, -v62
	v_mul_f32_e32 v58, v58, v7
	v_fmac_f32_e32 v58, v59, v6
	v_add_f32_e32 v52, v52, v58
	s_waitcnt lgkmcnt(0)
	v_mul_f32_e32 v58, v71, v1
	v_fma_f32 v58, v70, v0, -v58
	v_mul_f32_e32 v1, v70, v1
	v_fmac_f32_e32 v1, v71, v0
	v_add_f32_e32 v0, v54, v58
	v_mul_f32_e32 v54, v71, v7
	v_mul_f32_e32 v7, v70, v7
	v_fma_f32 v54, v70, v6, -v54
	v_fmac_f32_e32 v7, v71, v6
	v_add_f32_e32 v6, v11, v54
	v_add_f32_e32 v7, v46, v7
	v_mul_f32_e32 v11, v61, v3
	v_mul_f32_e32 v46, v60, v3
	v_add_f32_e32 v48, v48, v63
	v_fma_f32 v11, v60, v2, -v11
	v_fmac_f32_e32 v46, v61, v2
	v_add_f32_e32 v10, v10, v11
	v_add_f32_e32 v11, v48, v46
	v_mul_f32_e32 v46, v61, v9
	v_add_f32_e32 v50, v50, v62
	v_fma_f32 v46, v60, v8, -v46
	v_add_f32_e32 v46, v50, v46
	v_mul_f32_e32 v50, v73, v3
	v_mul_f32_e32 v48, v60, v9
	v_fma_f32 v50, v72, v2, -v50
	v_mul_f32_e32 v3, v72, v3
	v_add_f32_e32 v1, v56, v1
	v_fmac_f32_e32 v48, v61, v8
	v_fmac_f32_e32 v3, v73, v2
	v_add_f32_e32 v50, v0, v50
	v_mul_f32_e32 v0, v73, v9
	v_add_f32_e32 v48, v52, v48
	v_add_f32_e32 v52, v1, v3
	v_fma_f32 v54, v72, v8, -v0
	ds_read2_b64 v[0:3], v4 offset0:128 offset1:160
	ds_read_b128 v[58:61], v49 offset:224
	v_mul_f32_e32 v9, v72, v9
	v_fmac_f32_e32 v9, v73, v8
	v_add_f32_e32 v54, v6, v54
	v_add_f32_e32 v56, v7, v9
	s_waitcnt lgkmcnt(0)
	v_mul_f32_e32 v62, v59, v1
	v_fma_f32 v66, v58, v0, -v62
	ds_read2_b64 v[62:65], v5 offset0:128 offset1:160
	v_mul_f32_e32 v67, v58, v1
	v_fmac_f32_e32 v67, v59, v0
	v_add_f32_e32 v10, v10, v66
	ds_read_b128 v[6:9], v49 offset:240
	s_waitcnt lgkmcnt(1)
	v_mul_f32_e32 v66, v59, v63
	v_add_f32_e32 v11, v11, v67
	v_fma_f32 v70, v58, v62, -v66
	ds_read_b128 v[66:69], v49 offset:4320
	v_mul_f32_e32 v58, v58, v63
	v_fmac_f32_e32 v58, v59, v62
	v_add_f32_e32 v48, v48, v58
	v_add_f32_e32 v46, v46, v70
	s_waitcnt lgkmcnt(0)
	v_mul_f32_e32 v58, v67, v1
	v_fma_f32 v58, v66, v0, -v58
	v_mul_f32_e32 v1, v66, v1
	v_fmac_f32_e32 v1, v67, v0
	v_add_f32_e32 v0, v50, v58
	v_mul_f32_e32 v50, v67, v63
	v_fma_f32 v50, v66, v62, -v50
	v_add_f32_e32 v50, v54, v50
	v_mul_f32_e32 v54, v61, v3
	v_add_f32_e32 v1, v52, v1
	v_mul_f32_e32 v52, v66, v63
	v_fma_f32 v54, v60, v2, -v54
	v_fmac_f32_e32 v52, v67, v62
	v_add_f32_e32 v10, v10, v54
	v_mul_f32_e32 v54, v61, v65
	v_add_f32_e32 v52, v56, v52
	v_mul_f32_e32 v56, v60, v3
	v_fma_f32 v54, v60, v64, -v54
	v_fmac_f32_e32 v56, v61, v2
	v_add_f32_e32 v46, v46, v54
	v_mul_f32_e32 v54, v69, v3
	v_add_f32_e32 v11, v11, v56
	v_mul_f32_e32 v56, v60, v65
	v_fma_f32 v54, v68, v2, -v54
	v_mul_f32_e32 v3, v68, v3
	v_fmac_f32_e32 v56, v61, v64
	v_fmac_f32_e32 v3, v69, v2
	v_add_f32_e32 v54, v0, v54
	v_mul_f32_e32 v0, v69, v65
	v_add_f32_e32 v48, v48, v56
	v_add_f32_e32 v56, v1, v3
	v_fma_f32 v58, v68, v64, -v0
	ds_read2_b64 v[0:3], v4 offset0:192 offset1:224
	ds_read2_b64 v[60:63], v5 offset0:192 offset1:224
	ds_read_b128 v[70:73], v49 offset:4336
	v_mul_f32_e32 v4, v68, v65
	v_fmac_f32_e32 v4, v69, v64
	s_waitcnt lgkmcnt(2)
	v_mul_f32_e32 v5, v6, v1
	v_fmac_f32_e32 v5, v7, v0
	v_add_f32_e32 v4, v52, v4
	v_mul_f32_e32 v52, v7, v1
	v_add_f32_e32 v5, v11, v5
	s_waitcnt lgkmcnt(1)
	v_mul_f32_e32 v11, v7, v61
	v_fma_f32 v52, v6, v0, -v52
	v_fma_f32 v11, v6, v60, -v11
	v_mul_f32_e32 v6, v6, v61
	v_fmac_f32_e32 v6, v7, v60
	v_add_f32_e32 v7, v46, v11
	s_waitcnt lgkmcnt(0)
	v_mul_f32_e32 v11, v71, v1
	v_add_f32_e32 v6, v48, v6
	v_fma_f32 v11, v70, v0, -v11
	v_mul_f32_e32 v1, v70, v1
	v_mul_f32_e32 v48, v8, v3
	v_fmac_f32_e32 v1, v71, v0
	v_add_f32_e32 v0, v54, v11
	v_mul_f32_e32 v11, v71, v61
	v_mul_f32_e32 v46, v70, v61
	v_fmac_f32_e32 v48, v9, v2
	v_fma_f32 v11, v70, v60, -v11
	v_fmac_f32_e32 v46, v71, v60
	v_add_f32_e32 v60, v5, v48
	v_mul_f32_e32 v5, v9, v63
	v_fma_f32 v5, v8, v62, -v5
	v_add_f32_e32 v54, v7, v5
	v_mul_f32_e32 v5, v73, v3
	v_add_f32_e32 v50, v50, v58
	v_fma_f32 v5, v72, v2, -v5
	v_add_f32_e32 v11, v50, v11
	v_add_f32_e32 v50, v0, v5
	v_mul_f32_e32 v0, v73, v63
	v_fma_f32 v0, v72, v62, -v0
	v_add_f32_e32 v48, v11, v0
	v_mov_b32_e32 v0, s35
	v_add_co_u32_e64 v44, s[10:11], s34, v44
	v_add_f32_e32 v4, v4, v46
	v_mul_f32_e32 v46, v9, v3
	v_mul_f32_e32 v3, v72, v3
	v_addc_co_u32_e64 v45, s[10:11], v45, v0, s[10:11]
	v_add_f32_e32 v1, v56, v1
	v_fmac_f32_e32 v3, v73, v2
	v_mov_b32_e32 v0, s31
	v_add_co_u32_e64 v32, s[10:11], s30, v32
	v_add_f32_e32 v10, v10, v52
	v_fma_f32 v46, v8, v2, -v46
	v_mul_f32_e32 v8, v8, v63
	v_add_f32_e32 v52, v1, v3
	v_mul_f32_e32 v1, v72, v63
	s_add_u32 s42, s42, 32
	v_addc_co_u32_e64 v33, s[10:11], v33, v0, s[10:11]
	v_fmac_f32_e32 v8, v9, v62
	v_fmac_f32_e32 v1, v73, v62
	s_addc_u32 s43, s43, 0
	v_add_co_u32_e64 v34, s[10:11], s30, v34
	v_add_f32_e32 v58, v10, v46
	v_add_f32_e32 v56, v6, v8
	;; [unrolled: 1-line block ×3, first 2 shown]
	s_cmp_ge_i32 s42, s60
	v_addc_co_u32_e64 v35, s[10:11], v35, v0, s[10:11]
	s_barrier
	s_cbranch_scc1 .LBB91_55
.LBB91_7:                               ;   Parent Loop BB91_4 Depth=1
                                        ; =>  This Inner Loop Header: Depth=2
	v_mov_b32_e32 v0, s43
	v_add_co_u32_e64 v2, s[10:11], s42, v18
	v_addc_co_u32_e64 v3, s[10:11], v19, v0, s[10:11]
	v_add_co_u32_e64 v0, s[10:11], v34, v30
	v_addc_co_u32_e64 v1, s[10:11], v35, v31, s[10:11]
	v_cmp_eq_u64_e64 s[10:11], s[42:43], v[26:27]
	s_and_b64 s[50:51], s[22:23], s[10:11]
	v_cmp_lt_i64_e64 s[10:11], v[2:3], v[24:25]
	v_cmp_le_i64_e64 s[12:13], s[26:27], v[2:3]
	s_or_b64 s[14:15], vcc, s[10:11]
	s_or_b64 s[14:15], s[12:13], s[14:15]
	s_or_b64 s[14:15], s[14:15], s[50:51]
	s_xor_b64 s[14:15], s[14:15], -1
	s_and_saveexec_b64 s[18:19], s[14:15]
	s_xor_b64 s[14:15], exec, s[18:19]
	s_cbranch_execz .LBB91_9
; %bb.8:                                ;   in Loop: Header=BB91_7 Depth=2
	global_load_dwordx2 v[4:5], v[0:1], off
	s_waitcnt vmcnt(0)
	ds_write_b64 v51, v[4:5]
.LBB91_9:                               ;   in Loop: Header=BB91_7 Depth=2
	s_or_saveexec_b64 s[14:15], s[14:15]
	s_xor_b64 s[46:47], s[50:51], -1
	s_xor_b64 exec, exec, s[14:15]
	s_cbranch_execz .LBB91_15
; %bb.10:                               ;   in Loop: Header=BB91_7 Depth=2
	s_and_saveexec_b64 s[18:19], s[46:47]
	s_xor_b64 s[18:19], exec, s[18:19]
	s_cbranch_execz .LBB91_12
; %bb.11:                               ;   in Loop: Header=BB91_7 Depth=2
	v_mov_b32_e32 v4, v23
	v_mov_b32_e32 v5, v23
	ds_write_b64 v51, v[4:5]
.LBB91_12:                              ;   in Loop: Header=BB91_7 Depth=2
	s_andn2_saveexec_b64 s[18:19], s[18:19]
	s_cbranch_execz .LBB91_14
; %bb.13:                               ;   in Loop: Header=BB91_7 Depth=2
	ds_write_b64 v51, v[22:23]
.LBB91_14:                              ;   in Loop: Header=BB91_7 Depth=2
	s_or_b64 exec, exec, s[18:19]
.LBB91_15:                              ;   in Loop: Header=BB91_7 Depth=2
	s_or_b64 exec, exec, s[14:15]
	v_add_co_u32_e64 v4, s[14:15], 16, v2
	v_addc_co_u32_e64 v5, s[14:15], 0, v3, s[14:15]
	v_cmp_eq_u64_e64 s[14:15], s[42:43], v[42:43]
	v_cmp_lt_i64_e64 s[18:19], v[4:5], v[24:25]
	s_and_b64 s[52:53], s[22:23], s[14:15]
	v_cmp_le_i64_e64 s[14:15], s[26:27], v[4:5]
	s_or_b64 s[18:19], vcc, s[18:19]
	s_or_b64 s[18:19], s[14:15], s[18:19]
	s_or_b64 s[18:19], s[18:19], s[52:53]
	s_xor_b64 s[18:19], s[18:19], -1
	s_and_saveexec_b64 s[54:55], s[18:19]
	s_xor_b64 s[54:55], exec, s[54:55]
	s_cbranch_execz .LBB91_17
; %bb.16:                               ;   in Loop: Header=BB91_7 Depth=2
	v_add_co_u32_e64 v4, s[18:19], v32, v30
	v_addc_co_u32_e64 v5, s[18:19], v33, v31, s[18:19]
	global_load_dwordx2 v[4:5], v[4:5], off
	s_waitcnt vmcnt(0)
	ds_write_b64 v51, v[4:5] offset:128
.LBB91_17:                              ;   in Loop: Header=BB91_7 Depth=2
	s_andn2_saveexec_b64 s[18:19], s[54:55]
	s_cbranch_execz .LBB91_23
; %bb.18:                               ;   in Loop: Header=BB91_7 Depth=2
	s_xor_b64 s[52:53], s[52:53], -1
	s_and_saveexec_b64 s[54:55], s[52:53]
	s_xor_b64 s[52:53], exec, s[54:55]
	s_cbranch_execz .LBB91_20
; %bb.19:                               ;   in Loop: Header=BB91_7 Depth=2
	v_mov_b32_e32 v4, v23
	v_mov_b32_e32 v5, v23
	ds_write_b64 v51, v[4:5] offset:128
.LBB91_20:                              ;   in Loop: Header=BB91_7 Depth=2
	s_andn2_saveexec_b64 s[52:53], s[52:53]
	s_cbranch_execz .LBB91_22
; %bb.21:                               ;   in Loop: Header=BB91_7 Depth=2
	ds_write_b64 v51, v[22:23] offset:128
.LBB91_22:                              ;   in Loop: Header=BB91_7 Depth=2
	s_or_b64 exec, exec, s[52:53]
.LBB91_23:                              ;   in Loop: Header=BB91_7 Depth=2
	s_or_b64 exec, exec, s[18:19]
	v_cmp_eq_u64_e64 s[18:19], s[42:43], v[40:41]
	s_and_b64 s[52:53], s[22:23], s[18:19]
	v_cmp_lt_i64_e64 s[18:19], v[2:3], v[38:39]
	s_or_b64 s[18:19], s[8:9], s[18:19]
	s_or_b64 s[18:19], s[18:19], s[52:53]
	;; [unrolled: 1-line block ×3, first 2 shown]
	s_xor_b64 s[12:13], s[12:13], -1
	s_and_saveexec_b64 s[18:19], s[12:13]
	s_xor_b64 s[12:13], exec, s[18:19]
	s_cbranch_execz .LBB91_25
; %bb.24:                               ;   in Loop: Header=BB91_7 Depth=2
	global_load_dwordx2 v[0:1], v[0:1], off offset:128
	s_waitcnt vmcnt(0)
	ds_write_b64 v51, v[0:1] offset:4096
.LBB91_25:                              ;   in Loop: Header=BB91_7 Depth=2
	s_andn2_saveexec_b64 s[12:13], s[12:13]
	s_cbranch_execz .LBB91_31
; %bb.26:                               ;   in Loop: Header=BB91_7 Depth=2
	s_xor_b64 s[18:19], s[52:53], -1
	s_and_saveexec_b64 s[52:53], s[18:19]
	s_xor_b64 s[18:19], exec, s[52:53]
	s_cbranch_execz .LBB91_28
; %bb.27:                               ;   in Loop: Header=BB91_7 Depth=2
	v_mov_b32_e32 v0, v23
	v_mov_b32_e32 v1, v23
	ds_write_b64 v51, v[0:1] offset:4096
.LBB91_28:                              ;   in Loop: Header=BB91_7 Depth=2
	s_andn2_saveexec_b64 s[18:19], s[18:19]
	s_cbranch_execz .LBB91_30
; %bb.29:                               ;   in Loop: Header=BB91_7 Depth=2
	ds_write_b64 v51, v[22:23] offset:4096
.LBB91_30:                              ;   in Loop: Header=BB91_7 Depth=2
	s_or_b64 exec, exec, s[18:19]
.LBB91_31:                              ;   in Loop: Header=BB91_7 Depth=2
	s_or_b64 exec, exec, s[12:13]
	s_or_b64 s[10:11], s[8:9], s[10:11]
	s_or_b64 s[10:11], s[14:15], s[10:11]
	;; [unrolled: 1-line block ×3, first 2 shown]
	s_xor_b64 s[10:11], s[10:11], -1
	s_and_saveexec_b64 s[12:13], s[10:11]
	s_xor_b64 s[12:13], exec, s[12:13]
	s_cbranch_execz .LBB91_33
; %bb.32:                               ;   in Loop: Header=BB91_7 Depth=2
	v_add_co_u32_e64 v0, s[10:11], v32, v30
	v_addc_co_u32_e64 v1, s[10:11], v33, v31, s[10:11]
	global_load_dwordx2 v[0:1], v[0:1], off offset:128
	s_waitcnt vmcnt(0)
	ds_write_b64 v51, v[0:1] offset:4224
.LBB91_33:                              ;   in Loop: Header=BB91_7 Depth=2
	s_andn2_saveexec_b64 s[10:11], s[12:13]
	s_cbranch_execz .LBB91_39
; %bb.34:                               ;   in Loop: Header=BB91_7 Depth=2
	s_and_saveexec_b64 s[12:13], s[46:47]
	s_xor_b64 s[12:13], exec, s[12:13]
	s_cbranch_execz .LBB91_36
; %bb.35:                               ;   in Loop: Header=BB91_7 Depth=2
	v_mov_b32_e32 v0, v23
	v_mov_b32_e32 v1, v23
	ds_write_b64 v51, v[0:1] offset:4224
.LBB91_36:                              ;   in Loop: Header=BB91_7 Depth=2
	s_andn2_saveexec_b64 s[12:13], s[12:13]
	s_cbranch_execz .LBB91_38
; %bb.37:                               ;   in Loop: Header=BB91_7 Depth=2
	ds_write_b64 v51, v[22:23] offset:4224
.LBB91_38:                              ;   in Loop: Header=BB91_7 Depth=2
	s_or_b64 exec, exec, s[12:13]
.LBB91_39:                              ;   in Loop: Header=BB91_7 Depth=2
	s_or_b64 exec, exec, s[10:11]
	v_mov_b32_e32 v1, s43
	v_add_co_u32_e64 v0, s[10:11], s42, v20
	v_addc_co_u32_e64 v1, s[10:11], v21, v1, s[10:11]
	v_add_co_u32_e64 v2, s[10:11], v44, v28
	v_addc_co_u32_e64 v3, s[10:11], v45, v29, s[10:11]
	v_cmp_le_i64_e64 s[10:11], s[26:27], v[0:1]
	s_or_b64 s[12:13], s[10:11], s[0:1]
	s_xor_b64 s[12:13], s[12:13], -1
	s_and_saveexec_b64 s[14:15], s[12:13]
	s_xor_b64 s[12:13], exec, s[14:15]
	s_cbranch_execz .LBB91_41
; %bb.40:                               ;   in Loop: Header=BB91_7 Depth=2
	global_load_dwordx2 v[4:5], v[2:3], off offset:-128
	s_waitcnt vmcnt(0)
	ds_write_b64 v55, v[4:5]
.LBB91_41:                              ;   in Loop: Header=BB91_7 Depth=2
	s_andn2_saveexec_b64 s[12:13], s[12:13]
	s_cbranch_execz .LBB91_43
; %bb.42:                               ;   in Loop: Header=BB91_7 Depth=2
	v_mov_b32_e32 v4, v23
	v_mov_b32_e32 v5, v23
	ds_write_b64 v55, v[4:5]
.LBB91_43:                              ;   in Loop: Header=BB91_7 Depth=2
	s_or_b64 exec, exec, s[12:13]
	s_or_b64 s[10:11], s[10:11], s[2:3]
	s_xor_b64 s[10:11], s[10:11], -1
	s_and_saveexec_b64 s[12:13], s[10:11]
	s_xor_b64 s[10:11], exec, s[12:13]
	s_cbranch_execz .LBB91_45
; %bb.44:                               ;   in Loop: Header=BB91_7 Depth=2
	global_load_dwordx2 v[2:3], v[2:3], off
	s_waitcnt vmcnt(0)
	ds_write_b64 v55, v[2:3] offset:128
.LBB91_45:                              ;   in Loop: Header=BB91_7 Depth=2
	s_andn2_saveexec_b64 s[10:11], s[10:11]
	s_cbranch_execz .LBB91_47
; %bb.46:                               ;   in Loop: Header=BB91_7 Depth=2
	v_mov_b32_e32 v2, v23
	v_mov_b32_e32 v3, v23
	ds_write_b64 v55, v[2:3] offset:128
.LBB91_47:                              ;   in Loop: Header=BB91_7 Depth=2
	s_or_b64 exec, exec, s[10:11]
	v_cmp_le_i64_e64 s[10:11], s[44:45], v[0:1]
	s_or_b64 s[12:13], s[10:11], s[0:1]
	s_xor_b64 s[12:13], s[12:13], -1
	s_and_saveexec_b64 s[14:15], s[12:13]
	s_xor_b64 s[14:15], exec, s[14:15]
	s_cbranch_execz .LBB91_49
; %bb.48:                               ;   in Loop: Header=BB91_7 Depth=2
	v_add_co_u32_e64 v0, s[12:13], v44, v36
	v_addc_co_u32_e64 v1, s[12:13], v45, v37, s[12:13]
	global_load_dwordx2 v[0:1], v[0:1], off offset:-128
	s_waitcnt vmcnt(0)
	ds_write_b64 v55, v[0:1] offset:4096
.LBB91_49:                              ;   in Loop: Header=BB91_7 Depth=2
	s_andn2_saveexec_b64 s[12:13], s[14:15]
	s_cbranch_execz .LBB91_51
; %bb.50:                               ;   in Loop: Header=BB91_7 Depth=2
	v_mov_b32_e32 v0, v23
	v_mov_b32_e32 v1, v23
	ds_write_b64 v55, v[0:1] offset:4096
.LBB91_51:                              ;   in Loop: Header=BB91_7 Depth=2
	s_or_b64 exec, exec, s[12:13]
	s_or_b64 s[10:11], s[10:11], s[2:3]
	s_xor_b64 s[10:11], s[10:11], -1
	s_and_saveexec_b64 s[12:13], s[10:11]
	s_xor_b64 s[12:13], exec, s[12:13]
	s_cbranch_execz .LBB91_53
; %bb.52:                               ;   in Loop: Header=BB91_7 Depth=2
	v_add_co_u32_e64 v0, s[10:11], v44, v36
	v_addc_co_u32_e64 v1, s[10:11], v45, v37, s[10:11]
	global_load_dwordx2 v[0:1], v[0:1], off
	s_waitcnt vmcnt(0)
	ds_write_b64 v55, v[0:1] offset:4224
.LBB91_53:                              ;   in Loop: Header=BB91_7 Depth=2
	s_andn2_saveexec_b64 s[10:11], s[12:13]
	s_cbranch_execz .LBB91_6
; %bb.54:                               ;   in Loop: Header=BB91_7 Depth=2
	v_mov_b32_e32 v0, v23
	v_mov_b32_e32 v1, v23
	ds_write_b64 v55, v[0:1] offset:4224
	s_branch .LBB91_6
.LBB91_55:                              ;   in Loop: Header=BB91_4 Depth=1
	v_mul_lo_u32 v2, v25, s20
	v_mul_lo_u32 v3, v24, s21
	v_mad_u64_u32 v[0:1], s[8:9], v24, s20, 0
	v_add3_u32 v1, v1, v3, v2
	v_lshlrev_b64 v[0:1], 3, v[0:1]
	v_mov_b32_e32 v2, s57
	v_add_co_u32_e64 v0, s[8:9], s56, v0
	v_cmp_gt_i32_e32 vcc, s26, v24
	v_addc_co_u32_e64 v1, s[8:9], v2, v1, s[8:9]
	s_and_b64 s[8:9], s[4:5], vcc
	s_and_saveexec_b64 s[10:11], s[8:9]
	s_cbranch_execz .LBB91_57
; %bb.56:                               ;   in Loop: Header=BB91_4 Depth=1
	v_add_co_u32_e64 v2, s[8:9], v0, v12
	v_addc_co_u32_e64 v3, s[8:9], v1, v13, s[8:9]
	global_load_dwordx2 v[4:5], v[2:3], off
	v_pk_mul_f32 v[6:7], v[60:61], s[28:29] op_sel_hi:[0,1]
	v_pk_fma_f32 v[8:9], v[58:59], s[28:29], v[6:7] op_sel:[0,0,1] op_sel_hi:[1,1,0] neg_lo:[0,0,1] neg_hi:[0,0,1]
	v_pk_fma_f32 v[6:7], v[58:59], s[28:29], v[6:7] op_sel:[0,0,1] op_sel_hi:[0,1,0]
	v_mov_b32_e32 v9, v7
	s_waitcnt vmcnt(0)
	v_pk_add_f32 v[4:5], v[4:5], v[8:9]
	global_store_dwordx2 v[2:3], v[4:5], off
.LBB91_57:                              ;   in Loop: Header=BB91_4 Depth=1
	s_or_b64 exec, exec, s[10:11]
	s_and_b64 s[10:11], s[16:17], vcc
	s_and_saveexec_b64 s[8:9], s[10:11]
	s_cbranch_execz .LBB91_59
; %bb.58:                               ;   in Loop: Header=BB91_4 Depth=1
	v_lshlrev_b64 v[2:3], 3, v[16:17]
	v_add_co_u32_e32 v0, vcc, v0, v2
	v_addc_co_u32_e32 v1, vcc, v1, v3, vcc
	global_load_dwordx2 v[2:3], v[0:1], off
	v_pk_mul_f32 v[4:5], v[56:57], s[28:29] op_sel_hi:[0,1]
	v_pk_fma_f32 v[6:7], v[54:55], s[28:29], v[4:5] op_sel:[0,0,1] op_sel_hi:[1,1,0] neg_lo:[0,0,1] neg_hi:[0,0,1]
	v_pk_fma_f32 v[4:5], v[54:55], s[28:29], v[4:5] op_sel:[0,0,1] op_sel_hi:[0,1,0]
	v_mov_b32_e32 v7, v5
	s_waitcnt vmcnt(0)
	v_pk_add_f32 v[2:3], v[2:3], v[6:7]
	global_store_dwordx2 v[0:1], v[2:3], off
.LBB91_59:                              ;   in Loop: Header=BB91_4 Depth=1
	s_or_b64 exec, exec, s[8:9]
	v_add_u32_e32 v0, 16, v24
	v_ashrrev_i32_e32 v1, 31, v0
	v_cmp_gt_i32_e32 vcc, s26, v0
	v_mul_lo_u32 v2, v1, s20
	v_mul_lo_u32 v3, v0, s21
	v_mad_u64_u32 v[0:1], s[8:9], v0, s20, 0
	v_add3_u32 v1, v1, v3, v2
	v_lshlrev_b64 v[0:1], 3, v[0:1]
	v_mov_b32_e32 v2, s57
	v_add_co_u32_e64 v0, s[8:9], s56, v0
	v_addc_co_u32_e64 v1, s[8:9], v2, v1, s[8:9]
	s_and_b64 s[8:9], s[4:5], vcc
	s_and_saveexec_b64 s[10:11], s[8:9]
	s_cbranch_execz .LBB91_61
; %bb.60:                               ;   in Loop: Header=BB91_4 Depth=1
	v_add_co_u32_e64 v2, s[8:9], v0, v12
	v_addc_co_u32_e64 v3, s[8:9], v1, v13, s[8:9]
	global_load_dwordx2 v[4:5], v[2:3], off
	v_pk_mul_f32 v[6:7], v[52:53], s[28:29] op_sel_hi:[0,1]
	v_pk_fma_f32 v[8:9], v[50:51], s[28:29], v[6:7] op_sel:[0,0,1] op_sel_hi:[1,1,0] neg_lo:[0,0,1] neg_hi:[0,0,1]
	v_pk_fma_f32 v[6:7], v[50:51], s[28:29], v[6:7] op_sel:[0,0,1] op_sel_hi:[0,1,0]
	v_mov_b32_e32 v9, v7
	s_waitcnt vmcnt(0)
	v_pk_add_f32 v[4:5], v[4:5], v[8:9]
	global_store_dwordx2 v[2:3], v[4:5], off
.LBB91_61:                              ;   in Loop: Header=BB91_4 Depth=1
	s_or_b64 exec, exec, s[10:11]
	s_and_b64 s[10:11], s[16:17], vcc
	s_and_saveexec_b64 s[8:9], s[10:11]
	s_cbranch_execz .LBB91_3
; %bb.62:                               ;   in Loop: Header=BB91_4 Depth=1
	v_lshlrev_b64 v[2:3], 3, v[16:17]
	v_add_co_u32_e32 v0, vcc, v0, v2
	v_addc_co_u32_e32 v1, vcc, v1, v3, vcc
	global_load_dwordx2 v[2:3], v[0:1], off
	v_pk_mul_f32 v[4:5], v[46:47], s[28:29] op_sel_hi:[0,1]
	v_pk_fma_f32 v[6:7], v[48:49], s[28:29], v[4:5] op_sel:[0,0,1] op_sel_hi:[1,1,0] neg_lo:[0,0,1] neg_hi:[0,0,1]
	v_pk_fma_f32 v[4:5], v[48:49], s[28:29], v[4:5] op_sel:[0,0,1] op_sel_hi:[0,1,0]
	v_mov_b32_e32 v7, v5
	s_waitcnt vmcnt(0)
	v_pk_add_f32 v[2:3], v[2:3], v[6:7]
	global_store_dwordx2 v[0:1], v[2:3], off
	s_branch .LBB91_3
.LBB91_63:
	s_endpgm
	.section	.rodata,"a",@progbits
	.p2align	6, 0x0
	.amdhsa_kernel _ZL30rocblas_trmm_outofplace_kernelI19rocblas_complex_numIfELi32ELi2ELb0ELb1ELb1ELb0ES1_KS1_S1_Ev17rocblas_diagonal_iiT6_lPT7_lllS6_lllPT8_llli
		.amdhsa_group_segment_fixed_size 16384
		.amdhsa_private_segment_fixed_size 0
		.amdhsa_kernarg_size 392
		.amdhsa_user_sgpr_count 6
		.amdhsa_user_sgpr_private_segment_buffer 1
		.amdhsa_user_sgpr_dispatch_ptr 0
		.amdhsa_user_sgpr_queue_ptr 0
		.amdhsa_user_sgpr_kernarg_segment_ptr 1
		.amdhsa_user_sgpr_dispatch_id 0
		.amdhsa_user_sgpr_flat_scratch_init 0
		.amdhsa_user_sgpr_kernarg_preload_length 0
		.amdhsa_user_sgpr_kernarg_preload_offset 0
		.amdhsa_user_sgpr_private_segment_size 0
		.amdhsa_uses_dynamic_stack 0
		.amdhsa_system_sgpr_private_segment_wavefront_offset 0
		.amdhsa_system_sgpr_workgroup_id_x 1
		.amdhsa_system_sgpr_workgroup_id_y 1
		.amdhsa_system_sgpr_workgroup_id_z 1
		.amdhsa_system_sgpr_workgroup_info 0
		.amdhsa_system_vgpr_workitem_id 1
		.amdhsa_next_free_vgpr 80
		.amdhsa_next_free_sgpr 61
		.amdhsa_accum_offset 80
		.amdhsa_reserve_vcc 1
		.amdhsa_reserve_flat_scratch 0
		.amdhsa_float_round_mode_32 0
		.amdhsa_float_round_mode_16_64 0
		.amdhsa_float_denorm_mode_32 3
		.amdhsa_float_denorm_mode_16_64 3
		.amdhsa_dx10_clamp 1
		.amdhsa_ieee_mode 1
		.amdhsa_fp16_overflow 0
		.amdhsa_tg_split 0
		.amdhsa_exception_fp_ieee_invalid_op 0
		.amdhsa_exception_fp_denorm_src 0
		.amdhsa_exception_fp_ieee_div_zero 0
		.amdhsa_exception_fp_ieee_overflow 0
		.amdhsa_exception_fp_ieee_underflow 0
		.amdhsa_exception_fp_ieee_inexact 0
		.amdhsa_exception_int_div_zero 0
	.end_amdhsa_kernel
	.section	.text._ZL30rocblas_trmm_outofplace_kernelI19rocblas_complex_numIfELi32ELi2ELb0ELb1ELb1ELb0ES1_KS1_S1_Ev17rocblas_diagonal_iiT6_lPT7_lllS6_lllPT8_llli,"axG",@progbits,_ZL30rocblas_trmm_outofplace_kernelI19rocblas_complex_numIfELi32ELi2ELb0ELb1ELb1ELb0ES1_KS1_S1_Ev17rocblas_diagonal_iiT6_lPT7_lllS6_lllPT8_llli,comdat
.Lfunc_end91:
	.size	_ZL30rocblas_trmm_outofplace_kernelI19rocblas_complex_numIfELi32ELi2ELb0ELb1ELb1ELb0ES1_KS1_S1_Ev17rocblas_diagonal_iiT6_lPT7_lllS6_lllPT8_llli, .Lfunc_end91-_ZL30rocblas_trmm_outofplace_kernelI19rocblas_complex_numIfELi32ELi2ELb0ELb1ELb1ELb0ES1_KS1_S1_Ev17rocblas_diagonal_iiT6_lPT7_lllS6_lllPT8_llli
                                        ; -- End function
	.section	.AMDGPU.csdata,"",@progbits
; Kernel info:
; codeLenInByte = 6684
; NumSgprs: 65
; NumVgprs: 80
; NumAgprs: 0
; TotalNumVgprs: 80
; ScratchSize: 0
; MemoryBound: 1
; FloatMode: 240
; IeeeMode: 1
; LDSByteSize: 16384 bytes/workgroup (compile time only)
; SGPRBlocks: 8
; VGPRBlocks: 9
; NumSGPRsForWavesPerEU: 65
; NumVGPRsForWavesPerEU: 80
; AccumOffset: 80
; Occupancy: 6
; WaveLimiterHint : 0
; COMPUTE_PGM_RSRC2:SCRATCH_EN: 0
; COMPUTE_PGM_RSRC2:USER_SGPR: 6
; COMPUTE_PGM_RSRC2:TRAP_HANDLER: 0
; COMPUTE_PGM_RSRC2:TGID_X_EN: 1
; COMPUTE_PGM_RSRC2:TGID_Y_EN: 1
; COMPUTE_PGM_RSRC2:TGID_Z_EN: 1
; COMPUTE_PGM_RSRC2:TIDIG_COMP_CNT: 1
; COMPUTE_PGM_RSRC3_GFX90A:ACCUM_OFFSET: 19
; COMPUTE_PGM_RSRC3_GFX90A:TG_SPLIT: 0
	.section	.text._ZL30rocblas_trmm_outofplace_kernelI19rocblas_complex_numIfELi32ELi2ELb0ELb0ELb1ELb1EPKS1_S2_S1_Ev17rocblas_diagonal_iiT6_lPT7_lllS7_lllPT8_llli,"axG",@progbits,_ZL30rocblas_trmm_outofplace_kernelI19rocblas_complex_numIfELi32ELi2ELb0ELb0ELb1ELb1EPKS1_S2_S1_Ev17rocblas_diagonal_iiT6_lPT7_lllS7_lllPT8_llli,comdat
	.globl	_ZL30rocblas_trmm_outofplace_kernelI19rocblas_complex_numIfELi32ELi2ELb0ELb0ELb1ELb1EPKS1_S2_S1_Ev17rocblas_diagonal_iiT6_lPT7_lllS7_lllPT8_llli ; -- Begin function _ZL30rocblas_trmm_outofplace_kernelI19rocblas_complex_numIfELi32ELi2ELb0ELb0ELb1ELb1EPKS1_S2_S1_Ev17rocblas_diagonal_iiT6_lPT7_lllS7_lllPT8_llli
	.p2align	8
	.type	_ZL30rocblas_trmm_outofplace_kernelI19rocblas_complex_numIfELi32ELi2ELb0ELb0ELb1ELb1EPKS1_S2_S1_Ev17rocblas_diagonal_iiT6_lPT7_lllS7_lllPT8_llli,@function
_ZL30rocblas_trmm_outofplace_kernelI19rocblas_complex_numIfELi32ELi2ELb0ELb0ELb1ELb1EPKS1_S2_S1_Ev17rocblas_diagonal_iiT6_lPT7_lllS7_lllPT8_llli: ; @_ZL30rocblas_trmm_outofplace_kernelI19rocblas_complex_numIfELi32ELi2ELb0ELb0ELb1ELb1EPKS1_S2_S1_Ev17rocblas_diagonal_iiT6_lPT7_lllS7_lllPT8_llli
; %bb.0:
	s_load_dwordx16 s[12:27], s[4:5], 0x10
	s_waitcnt lgkmcnt(0)
	s_mul_i32 s0, s8, s15
	s_mul_hi_u32 s1, s8, s14
	s_add_i32 s1, s1, s0
	s_mul_i32 s0, s8, s14
	s_lshl_b64 s[0:1], s[0:1], 3
	s_add_u32 s0, s12, s0
	s_addc_u32 s1, s13, s1
	s_load_dwordx2 s[34:35], s[0:1], 0x0
	s_waitcnt lgkmcnt(0)
	s_or_b32 s0, s34, s35
	s_bitset0_b32 s0, 31
	s_cmp_eq_u32 s0, 0
	s_cbranch_scc1 .LBB92_63
; %bb.1:
	s_load_dwordx4 s[28:31], s[4:5], 0x0
	s_waitcnt lgkmcnt(0)
	s_add_i32 s0, s30, -1
	s_ashr_i32 s1, s0, 31
	s_lshr_b32 s1, s1, 27
	s_add_i32 s0, s0, s1
	s_ashr_i32 s33, s0, 5
	s_cmp_gt_i32 s7, s33
	s_cbranch_scc1 .LBB92_63
; %bb.2:
	s_mul_i32 s0, s8, s23
	s_mul_hi_u32 s1, s8, s22
	s_add_i32 s1, s1, s0
	s_mul_i32 s0, s8, s22
	s_load_dwordx4 s[44:47], s[4:5], 0x70
	s_load_dword s48, s[4:5], 0x8c
	s_lshl_b64 s[12:13], s[0:1], 3
	s_add_u32 s0, s16, s12
	s_load_dwordx8 s[36:43], s[4:5], 0x50
	s_addc_u32 s1, s17, s13
	s_lshl_b64 s[14:15], s[18:19], 3
	s_add_u32 s2, s0, s14
	s_addc_u32 s3, s1, s15
	s_waitcnt lgkmcnt(0)
	s_mul_i32 s0, s8, s47
	s_mul_hi_u32 s1, s8, s46
	s_add_i32 s1, s1, s0
	s_mul_i32 s0, s8, s46
	s_lshl_b64 s[0:1], s[0:1], 3
	s_add_u32 s4, s40, s0
	s_addc_u32 s5, s41, s1
	s_lshl_b64 s[0:1], s[42:43], 3
	s_add_u32 s49, s4, s0
	v_and_b32_e32 v22, 0x3ff, v0
	s_addc_u32 s50, s5, s1
	v_mad_u64_u32 v[2:3], s[0:1], v22, s20, 0
	v_mov_b32_e32 v4, v3
	v_mad_u64_u32 v[4:5], s[0:1], v22, s21, v[4:5]
	s_cmpk_eq_i32 s28, 0x84
	s_cselect_b64 s[22:23], -1, 0
	s_ashr_i32 s31, s30, 31
	s_ashr_i32 s0, s29, 31
	s_lshl_b64 s[40:41], s[20:21], 8
	s_lshl_b64 s[42:43], s[36:37], 8
	v_mov_b32_e32 v3, v4
	s_add_u32 s46, s30, -16
	v_bfe_u32 v20, v0, 10, 10
	v_lshl_add_u32 v0, s6, 5, v22
	v_lshlrev_b64 v[2:3], 3, v[2:3]
	s_addc_u32 s47, s31, -1
	v_sub_co_u32_e64 v68, s[10:11], 0, v22
	s_lshl_b32 s6, s48, 5
	v_mov_b32_e32 v4, s3
	v_add_co_u32_e32 v26, vcc, s2, v2
	v_subb_co_u32_e64 v69, s[10:11], 0, 0, s[10:11]
	s_add_u32 s9, s16, s14
	v_addc_co_u32_e32 v27, vcc, v4, v3, vcc
	s_addc_u32 s11, s17, s15
	v_ashrrev_i32_e32 v1, 31, v0
	v_mov_b32_e32 v3, s0
	v_sub_co_u32_e32 v2, vcc, s29, v0
	s_add_u32 s10, s9, s12
	v_subb_co_u32_e32 v3, vcc, v3, v1, vcc
	v_lshlrev_b32_e32 v4, 3, v22
	v_lshlrev_b32_e32 v23, 8, v20
	s_addc_u32 s11, s11, s13
	v_add_u32_e32 v61, v23, v4
	v_cmp_gt_i64_e32 vcc, 1, v[2:3]
	v_or_b32_e32 v63, 0x2000, v4
	v_cmp_gt_i64_e64 s[0:1], 17, v[2:3]
	v_add_u32_e32 v67, 0x2080, v4
	v_add_u32_e32 v4, 0x80, v4
	v_pk_mov_b32 v[2:3], s[10:11], s[10:11] op_sel:[0,1]
	v_mad_u64_u32 v[32:33], s[10:11], s20, v4, v[2:3]
	v_mov_b32_e32 v2, v33
	v_mad_u64_u32 v[2:3], s[10:11], s21, v4, v[2:3]
	v_mov_b32_e32 v33, v2
	;; [unrolled: 2-line block ×3, first 2 shown]
	v_mad_u64_u32 v[4:5], s[10:11], s37, v20, v[4:5]
	s_mul_i32 s9, s39, s8
	s_mul_hi_u32 s10, s38, s8
	s_add_i32 s9, s10, s9
	s_mul_i32 s8, s38, s8
	s_lshl_b64 s[8:9], s[8:9], 3
	s_lshl_b64 s[10:11], s[26:27], 3
	s_add_u32 s8, s8, s10
	s_addc_u32 s9, s9, s11
	s_add_u32 s8, s24, s8
	v_lshlrev_b64 v[36:37], 3, v[0:1]
	s_addc_u32 s9, s25, s9
	v_cmp_gt_i32_e64 s[2:3], s29, v0
	v_add_u32_e32 v28, 16, v0
	v_mov_b32_e32 v0, s9
	v_add_co_u32_e64 v1, s[8:9], s8, v36
	s_movk_i32 s18, 0x80
	v_addc_co_u32_e64 v0, s[8:9], v0, v37, s[8:9]
	v_add_co_u32_e64 v38, s[8:9], s18, v1
	v_addc_co_u32_e64 v39, s[8:9], 0, v0, s[8:9]
	v_mov_b32_e32 v0, 0x80
	v_lshl_add_u32 v1, v20, 3, v0
	v_mad_u64_u32 v[40:41], s[8:9], s36, v1, 0
	v_mov_b32_e32 v0, v41
	v_mov_b32_e32 v3, v4
	v_mad_u64_u32 v[0:1], s[8:9], s37, v1, v[0:1]
	v_mov_b32_e32 v25, 0
	v_add_u32_e32 v65, v63, v23
	v_cmp_gt_i32_e64 s[4:5], s29, v28
	v_ashrrev_i32_e32 v29, 31, v28
	v_lshl_add_u32 v30, s7, 5, v20
	v_lshlrev_b64 v[34:35], 3, v[2:3]
	v_mov_b32_e32 v21, v0
	v_mov_b32_e32 v24, 1.0
	s_branch .LBB92_4
.LBB92_3:                               ;   in Loop: Header=BB92_4 Depth=1
	s_or_b64 exec, exec, s[10:11]
	s_add_i32 s7, s48, s7
	s_cmp_le_i32 s7, s33
	v_add_u32_e32 v30, s6, v30
	s_cbranch_scc0 .LBB92_63
.LBB92_4:                               ; =>This Loop Header: Depth=1
                                        ;     Child Loop BB92_7 Depth 2
	s_lshl_b32 s38, s7, 5
	v_add_u32_e32 v42, s38, v20
	v_ashrrev_i32_e32 v43, 31, v42
	s_cmp_lt_i32 s7, 0
	v_mov_b32_e32 v64, v25
	v_mov_b32_e32 v66, v25
	;; [unrolled: 1-line block ×8, first 2 shown]
	s_cbranch_scc1 .LBB92_55
; %bb.5:                                ;   in Loop: Header=BB92_4 Depth=1
	v_ashrrev_i32_e32 v31, 31, v30
	v_add_co_u32_e64 v44, s[8:9], v68, v30
	v_addc_co_u32_e64 v45, s[8:9], v69, v31, s[8:9]
	v_add_co_u32_e64 v50, s[10:11], 16, v44
	v_add_co_u32_e64 v48, s[8:9], 16, v42
	v_addc_co_u32_e64 v51, s[10:11], 0, v45, s[10:11]
	v_addc_co_u32_e64 v49, s[8:9], 0, v43, s[8:9]
	v_add_co_u32_e64 v52, s[10:11], -16, v44
	v_lshlrev_b64 v[46:47], 3, v[30:31]
	v_cmp_le_i32_e64 s[16:17], s30, v42
	v_cmp_le_i64_e64 s[8:9], s[30:31], v[48:49]
	v_addc_co_u32_e64 v53, s[10:11], -1, v45, s[10:11]
	s_mov_b64 s[20:21], 0
	v_mov_b32_e32 v12, 0
	v_pk_mov_b32 v[54:55], v[38:39], v[38:39] op_sel:[0,1]
	v_pk_mov_b32 v[56:57], v[26:27], v[26:27] op_sel:[0,1]
	;; [unrolled: 1-line block ×3, first 2 shown]
	v_mov_b32_e32 v14, 0
	v_mov_b32_e32 v18, 0
	;; [unrolled: 1-line block ×7, first 2 shown]
	s_branch .LBB92_7
.LBB92_6:                               ;   in Loop: Header=BB92_7 Depth=2
	s_or_b64 exec, exec, s[10:11]
	s_waitcnt lgkmcnt(0)
	s_barrier
	ds_read_b128 v[70:73], v23
	ds_read_b128 v[8:11], v23 offset:16
	ds_read_b128 v[4:7], v23 offset:32
	;; [unrolled: 1-line block ×3, first 2 shown]
	ds_read2_b64 v[74:77], v63 offset1:32
	ds_read_b128 v[82:85], v23 offset:4096
	ds_read2_b64 v[78:81], v67 offset1:32
	v_add_co_u32_e64 v58, s[10:11], s40, v58
	s_waitcnt lgkmcnt(2)
	v_mul_f32_e32 v13, v71, v75
	s_waitcnt lgkmcnt(1)
	v_mul_f32_e32 v31, v83, v75
	v_mul_f32_e32 v41, v82, v75
	v_fma_f32 v31, v82, v74, -v31
	v_fmac_f32_e32 v41, v83, v74
	v_add_f32_e32 v16, v16, v31
	v_add_f32_e32 v18, v18, v41
	s_waitcnt lgkmcnt(0)
	v_mul_f32_e32 v31, v83, v79
	v_mul_f32_e32 v41, v82, v79
	;; [unrolled: 1-line block ×3, first 2 shown]
	v_fma_f32 v31, v82, v78, -v31
	v_fmac_f32_e32 v41, v83, v78
	v_fma_f32 v13, v70, v74, -v13
	v_fmac_f32_e32 v15, v71, v74
	v_add_f32_e32 v14, v14, v31
	v_add_f32_e32 v12, v12, v41
	v_mul_f32_e32 v31, v73, v77
	v_mul_f32_e32 v41, v72, v77
	v_add_f32_e32 v13, v64, v13
	v_add_f32_e32 v15, v66, v15
	v_mul_f32_e32 v17, v71, v79
	v_mul_f32_e32 v19, v70, v79
	v_fma_f32 v31, v72, v76, -v31
	v_fmac_f32_e32 v41, v73, v76
	v_fma_f32 v17, v70, v78, -v17
	v_fmac_f32_e32 v19, v71, v78
	v_add_f32_e32 v31, v13, v31
	v_add_f32_e32 v41, v15, v41
	v_mul_f32_e32 v13, v73, v81
	v_mul_f32_e32 v15, v72, v81
	v_add_f32_e32 v17, v60, v17
	v_add_f32_e32 v19, v62, v19
	v_fma_f32 v13, v72, v80, -v13
	v_fmac_f32_e32 v15, v73, v80
	v_add_f32_e32 v60, v17, v13
	v_add_f32_e32 v62, v19, v15
	v_mul_f32_e32 v13, v85, v77
	v_mul_f32_e32 v15, v84, v77
	v_fma_f32 v13, v84, v76, -v13
	v_fmac_f32_e32 v15, v85, v76
	v_add_f32_e32 v64, v16, v13
	v_add_f32_e32 v66, v18, v15
	v_mul_f32_e32 v13, v85, v81
	v_mul_f32_e32 v15, v84, v81
	v_fma_f32 v13, v84, v80, -v13
	v_fmac_f32_e32 v15, v85, v80
	v_add_f32_e32 v74, v14, v13
	v_add_f32_e32 v75, v12, v15
	ds_read2_b64 v[12:15], v63 offset0:64 offset1:96
	s_add_u32 s20, s20, 32
	s_addc_u32 s21, s21, 0
	s_sub_i32 s12, s20, 32
	s_cmp_ge_i32 s12, s38
	s_waitcnt lgkmcnt(0)
	v_mul_f32_e32 v16, v9, v13
	v_mul_f32_e32 v17, v8, v13
	v_fma_f32 v16, v8, v12, -v16
	v_fmac_f32_e32 v17, v9, v12
	v_add_f32_e32 v31, v31, v16
	v_add_f32_e32 v41, v41, v17
	ds_read2_b64 v[16:19], v67 offset0:64 offset1:96
	s_waitcnt lgkmcnt(0)
	v_mul_f32_e32 v70, v9, v17
	v_fma_f32 v70, v8, v16, -v70
	v_mul_f32_e32 v8, v8, v17
	v_fmac_f32_e32 v8, v9, v16
	v_add_f32_e32 v9, v60, v70
	ds_read_b128 v[70:73], v23 offset:4112
	v_add_f32_e32 v8, v62, v8
	v_mul_f32_e32 v62, v10, v15
	v_fmac_f32_e32 v62, v11, v14
	v_add_f32_e32 v41, v41, v62
	s_waitcnt lgkmcnt(0)
	v_mul_f32_e32 v60, v71, v13
	v_fma_f32 v60, v70, v12, -v60
	v_mul_f32_e32 v13, v70, v13
	v_fmac_f32_e32 v13, v71, v12
	v_add_f32_e32 v12, v64, v60
	v_mul_f32_e32 v60, v71, v17
	v_fma_f32 v60, v70, v16, -v60
	v_mul_f32_e32 v17, v70, v17
	v_fmac_f32_e32 v17, v71, v16
	v_add_f32_e32 v16, v74, v60
	v_mul_f32_e32 v60, v11, v15
	v_fma_f32 v60, v10, v14, -v60
	v_add_f32_e32 v31, v31, v60
	v_mul_f32_e32 v60, v11, v19
	v_fma_f32 v60, v10, v18, -v60
	v_mul_f32_e32 v10, v10, v19
	v_fmac_f32_e32 v10, v11, v18
	v_add_f32_e32 v60, v9, v60
	v_add_f32_e32 v62, v8, v10
	v_mul_f32_e32 v8, v73, v15
	v_mul_f32_e32 v9, v72, v15
	v_add_f32_e32 v13, v66, v13
	v_fma_f32 v8, v72, v14, -v8
	v_fmac_f32_e32 v9, v73, v14
	v_add_f32_e32 v64, v12, v8
	v_add_f32_e32 v66, v13, v9
	v_mul_f32_e32 v8, v73, v19
	v_mul_f32_e32 v9, v72, v19
	v_add_f32_e32 v17, v75, v17
	v_fma_f32 v8, v72, v18, -v8
	v_fmac_f32_e32 v9, v73, v18
	v_add_f32_e32 v70, v16, v8
	v_add_f32_e32 v71, v17, v9
	ds_read2_b64 v[8:11], v63 offset0:128 offset1:160
	s_waitcnt lgkmcnt(0)
	v_mul_f32_e32 v12, v5, v9
	v_mul_f32_e32 v13, v4, v9
	v_fma_f32 v12, v4, v8, -v12
	v_fmac_f32_e32 v13, v5, v8
	v_add_f32_e32 v31, v31, v12
	v_add_f32_e32 v41, v41, v13
	ds_read2_b64 v[12:15], v67 offset0:128 offset1:160
	s_waitcnt lgkmcnt(0)
	v_mul_f32_e32 v16, v5, v13
	v_fma_f32 v16, v4, v12, -v16
	v_mul_f32_e32 v4, v4, v13
	v_fmac_f32_e32 v4, v5, v12
	v_add_f32_e32 v5, v60, v16
	ds_read_b128 v[16:19], v23 offset:4128
	v_add_f32_e32 v4, v62, v4
	s_waitcnt lgkmcnt(0)
	v_mul_f32_e32 v60, v17, v9
	v_fma_f32 v60, v16, v8, -v60
	v_mul_f32_e32 v9, v16, v9
	v_fmac_f32_e32 v9, v17, v8
	v_add_f32_e32 v8, v64, v60
	v_mul_f32_e32 v60, v17, v13
	v_fma_f32 v60, v16, v12, -v60
	v_mul_f32_e32 v13, v16, v13
	v_mul_f32_e32 v16, v7, v11
	v_fma_f32 v16, v6, v10, -v16
	v_add_f32_e32 v16, v31, v16
	v_mul_f32_e32 v31, v7, v15
	v_fmac_f32_e32 v13, v17, v12
	v_mul_f32_e32 v17, v6, v11
	v_fma_f32 v31, v6, v14, -v31
	v_mul_f32_e32 v6, v6, v15
	v_fmac_f32_e32 v17, v7, v10
	v_fmac_f32_e32 v6, v7, v14
	v_add_f32_e32 v17, v41, v17
	v_add_f32_e32 v31, v5, v31
	;; [unrolled: 1-line block ×3, first 2 shown]
	v_mul_f32_e32 v4, v19, v11
	v_mul_f32_e32 v5, v18, v11
	v_add_f32_e32 v9, v66, v9
	v_fma_f32 v4, v18, v10, -v4
	v_fmac_f32_e32 v5, v19, v10
	v_add_f32_e32 v12, v70, v60
	v_add_f32_e32 v60, v8, v4
	;; [unrolled: 1-line block ×3, first 2 shown]
	v_mul_f32_e32 v4, v19, v15
	v_mul_f32_e32 v5, v18, v15
	v_add_f32_e32 v13, v71, v13
	v_fma_f32 v4, v18, v14, -v4
	v_fmac_f32_e32 v5, v19, v14
	v_add_f32_e32 v18, v12, v4
	v_add_f32_e32 v19, v13, v5
	ds_read2_b64 v[4:7], v63 offset0:192 offset1:224
	s_waitcnt lgkmcnt(0)
	v_mul_f32_e32 v8, v1, v5
	v_mul_f32_e32 v9, v0, v5
	v_fma_f32 v8, v0, v4, -v8
	v_fmac_f32_e32 v9, v1, v4
	v_add_f32_e32 v16, v16, v8
	v_add_f32_e32 v17, v17, v9
	ds_read2_b64 v[8:11], v67 offset0:192 offset1:224
	s_waitcnt lgkmcnt(0)
	v_mul_f32_e32 v12, v1, v9
	v_fma_f32 v12, v0, v8, -v12
	v_mul_f32_e32 v0, v0, v9
	v_fmac_f32_e32 v0, v1, v8
	v_add_f32_e32 v1, v31, v12
	ds_read_b128 v[12:15], v23 offset:4144
	v_add_f32_e32 v0, v41, v0
	s_waitcnt lgkmcnt(0)
	v_mul_f32_e32 v31, v13, v5
	v_fma_f32 v31, v12, v4, -v31
	v_mul_f32_e32 v5, v12, v5
	v_fmac_f32_e32 v5, v13, v4
	v_add_f32_e32 v4, v60, v31
	v_mul_f32_e32 v31, v13, v9
	v_fma_f32 v31, v12, v8, -v31
	v_mul_f32_e32 v9, v12, v9
	v_mul_f32_e32 v12, v3, v7
	v_fma_f32 v12, v2, v6, -v12
	v_add_f32_e32 v12, v16, v12
	v_mul_f32_e32 v16, v3, v11
	v_fmac_f32_e32 v9, v13, v8
	v_mul_f32_e32 v13, v2, v7
	v_fma_f32 v16, v2, v10, -v16
	v_mul_f32_e32 v2, v2, v11
	v_fmac_f32_e32 v13, v3, v6
	v_fmac_f32_e32 v2, v3, v10
	v_add_f32_e32 v13, v17, v13
	v_add_f32_e32 v17, v0, v2
	v_mul_f32_e32 v0, v15, v7
	v_add_f32_e32 v16, v1, v16
	v_fma_f32 v0, v14, v6, -v0
	v_mul_f32_e32 v1, v14, v7
	v_add_f32_e32 v5, v62, v5
	v_add_f32_e32 v8, v18, v31
	v_fmac_f32_e32 v1, v15, v6
	v_add_f32_e32 v18, v4, v0
	v_mul_f32_e32 v0, v15, v11
	v_add_f32_e32 v9, v19, v9
	v_add_f32_e32 v19, v5, v1
	v_fma_f32 v0, v14, v10, -v0
	v_mul_f32_e32 v1, v14, v11
	v_fmac_f32_e32 v1, v15, v10
	v_add_f32_e32 v31, v8, v0
	v_add_u32_e32 v8, 0x800, v63
	v_add_f32_e32 v41, v9, v1
	ds_read_b128 v[0:3], v23 offset:64
	ds_read2_b64 v[4:7], v8 offset1:32
	s_waitcnt lgkmcnt(0)
	v_mul_f32_e32 v9, v1, v5
	v_fma_f32 v9, v0, v4, -v9
	v_mul_f32_e32 v10, v0, v5
	v_fmac_f32_e32 v10, v1, v4
	v_add_f32_e32 v60, v12, v9
	v_add_u32_e32 v9, 0x800, v67
	v_add_f32_e32 v62, v13, v10
	ds_read2_b64 v[10:13], v9 offset1:32
	s_waitcnt lgkmcnt(0)
	v_mul_f32_e32 v14, v1, v11
	v_fma_f32 v14, v0, v10, -v14
	v_mul_f32_e32 v0, v0, v11
	v_fmac_f32_e32 v0, v1, v10
	v_add_f32_e32 v1, v16, v14
	v_add_f32_e32 v0, v17, v0
	ds_read_b128 v[14:17], v23 offset:4160
	s_waitcnt lgkmcnt(0)
	v_mul_f32_e32 v64, v15, v5
	v_fma_f32 v64, v14, v4, -v64
	v_mul_f32_e32 v5, v14, v5
	v_fmac_f32_e32 v5, v15, v4
	v_add_f32_e32 v4, v18, v64
	v_mul_f32_e32 v18, v15, v11
	v_fma_f32 v18, v14, v10, -v18
	v_mul_f32_e32 v11, v14, v11
	v_fmac_f32_e32 v11, v15, v10
	v_add_f32_e32 v10, v31, v18
	v_mul_f32_e32 v14, v3, v7
	v_mul_f32_e32 v18, v3, v13
	v_fma_f32 v14, v2, v6, -v14
	v_mul_f32_e32 v15, v2, v7
	v_fma_f32 v18, v2, v12, -v18
	v_mul_f32_e32 v2, v2, v13
	v_fmac_f32_e32 v2, v3, v12
	v_add_f32_e32 v5, v19, v5
	v_add_f32_e32 v18, v1, v18
	;; [unrolled: 1-line block ×3, first 2 shown]
	v_mul_f32_e32 v0, v17, v7
	v_mul_f32_e32 v1, v16, v7
	v_fma_f32 v0, v16, v6, -v0
	v_fmac_f32_e32 v1, v17, v6
	v_add_f32_e32 v11, v41, v11
	v_add_f32_e32 v31, v4, v0
	;; [unrolled: 1-line block ×3, first 2 shown]
	v_mul_f32_e32 v0, v17, v13
	v_mul_f32_e32 v1, v16, v13
	v_fmac_f32_e32 v15, v3, v6
	v_fma_f32 v0, v16, v12, -v0
	v_fmac_f32_e32 v1, v17, v12
	v_add_f32_e32 v14, v60, v14
	v_add_f32_e32 v15, v62, v15
	;; [unrolled: 1-line block ×4, first 2 shown]
	ds_read_b128 v[10:13], v23 offset:80
	ds_read2_b64 v[0:3], v8 offset0:64 offset1:96
	s_waitcnt lgkmcnt(0)
	v_mul_f32_e32 v4, v11, v1
	v_mul_f32_e32 v5, v10, v1
	v_fma_f32 v4, v10, v0, -v4
	v_fmac_f32_e32 v5, v11, v0
	v_add_f32_e32 v64, v14, v4
	v_add_f32_e32 v66, v15, v5
	ds_read2_b64 v[4:7], v9 offset0:64 offset1:96
	s_waitcnt lgkmcnt(0)
	v_mul_f32_e32 v14, v11, v5
	v_fma_f32 v14, v10, v4, -v14
	v_mul_f32_e32 v10, v10, v5
	v_fmac_f32_e32 v10, v11, v4
	v_add_f32_e32 v11, v18, v14
	ds_read_b128 v[14:17], v23 offset:4176
	v_add_f32_e32 v10, v19, v10
	s_waitcnt lgkmcnt(0)
	v_mul_f32_e32 v18, v15, v1
	v_fma_f32 v18, v14, v0, -v18
	v_mul_f32_e32 v1, v14, v1
	v_fmac_f32_e32 v1, v15, v0
	v_add_f32_e32 v0, v31, v18
	v_mul_f32_e32 v18, v15, v5
	v_fma_f32 v18, v14, v4, -v18
	v_mul_f32_e32 v5, v14, v5
	v_fmac_f32_e32 v5, v15, v4
	v_add_f32_e32 v4, v60, v18
	v_mul_f32_e32 v14, v13, v3
	v_mul_f32_e32 v18, v13, v7
	v_fma_f32 v14, v12, v2, -v14
	v_mul_f32_e32 v15, v12, v3
	v_fma_f32 v18, v12, v6, -v18
	v_mul_f32_e32 v12, v12, v7
	v_fmac_f32_e32 v12, v13, v6
	v_add_f32_e32 v19, v10, v12
	v_mul_f32_e32 v10, v17, v3
	v_mul_f32_e32 v3, v16, v3
	v_add_f32_e32 v1, v41, v1
	v_fma_f32 v10, v16, v2, -v10
	v_fmac_f32_e32 v3, v17, v2
	v_add_f32_e32 v31, v0, v10
	v_add_f32_e32 v41, v1, v3
	v_mul_f32_e32 v0, v17, v7
	v_mul_f32_e32 v1, v16, v7
	v_add_f32_e32 v5, v62, v5
	v_fma_f32 v0, v16, v6, -v0
	v_fmac_f32_e32 v1, v17, v6
	v_fmac_f32_e32 v15, v13, v2
	v_add_f32_e32 v60, v4, v0
	v_add_f32_e32 v62, v5, v1
	ds_read_b128 v[0:3], v23 offset:96
	ds_read2_b64 v[4:7], v8 offset0:128 offset1:160
	v_add_f32_e32 v18, v11, v18
	v_add_f32_e32 v14, v64, v14
	;; [unrolled: 1-line block ×3, first 2 shown]
	s_waitcnt lgkmcnt(0)
	v_mul_f32_e32 v10, v1, v5
	v_mul_f32_e32 v11, v0, v5
	v_fma_f32 v10, v0, v4, -v10
	v_fmac_f32_e32 v11, v1, v4
	v_add_f32_e32 v64, v14, v10
	v_add_f32_e32 v66, v15, v11
	ds_read2_b64 v[10:13], v9 offset0:128 offset1:160
	s_waitcnt lgkmcnt(0)
	v_mul_f32_e32 v14, v1, v11
	v_fma_f32 v14, v0, v10, -v14
	v_mul_f32_e32 v0, v0, v11
	v_fmac_f32_e32 v0, v1, v10
	v_add_f32_e32 v1, v18, v14
	ds_read_b128 v[14:17], v23 offset:4192
	v_add_f32_e32 v0, v19, v0
	s_waitcnt lgkmcnt(0)
	v_mul_f32_e32 v18, v15, v5
	v_fma_f32 v18, v14, v4, -v18
	v_mul_f32_e32 v5, v14, v5
	v_fmac_f32_e32 v5, v15, v4
	v_add_f32_e32 v4, v31, v18
	v_mul_f32_e32 v18, v15, v11
	v_fma_f32 v18, v14, v10, -v18
	v_mul_f32_e32 v11, v14, v11
	v_fmac_f32_e32 v11, v15, v10
	v_add_f32_e32 v10, v60, v18
	v_mul_f32_e32 v14, v3, v7
	v_mul_f32_e32 v18, v3, v13
	v_fma_f32 v14, v2, v6, -v14
	v_mul_f32_e32 v15, v2, v7
	v_fma_f32 v18, v2, v12, -v18
	v_mul_f32_e32 v2, v2, v13
	v_fmac_f32_e32 v2, v3, v12
	v_add_f32_e32 v18, v1, v18
	v_add_f32_e32 v19, v0, v2
	v_mul_f32_e32 v0, v17, v7
	v_mul_f32_e32 v1, v16, v7
	v_add_f32_e32 v5, v41, v5
	v_fma_f32 v0, v16, v6, -v0
	v_fmac_f32_e32 v1, v17, v6
	v_add_f32_e32 v31, v4, v0
	v_add_f32_e32 v41, v5, v1
	v_mul_f32_e32 v0, v17, v13
	v_mul_f32_e32 v1, v16, v13
	v_add_f32_e32 v11, v62, v11
	v_fma_f32 v0, v16, v12, -v0
	v_fmac_f32_e32 v1, v17, v12
	v_fmac_f32_e32 v15, v3, v6
	v_add_f32_e32 v16, v10, v0
	v_add_f32_e32 v17, v11, v1
	ds_read_b128 v[10:13], v23 offset:112
	ds_read2_b64 v[0:3], v8 offset0:192 offset1:224
	v_add_f32_e32 v14, v64, v14
	v_add_f32_e32 v15, v66, v15
	s_waitcnt lgkmcnt(0)
	v_mul_f32_e32 v4, v11, v1
	v_mul_f32_e32 v5, v10, v1
	v_fma_f32 v4, v10, v0, -v4
	v_fmac_f32_e32 v5, v11, v0
	v_add_f32_e32 v14, v14, v4
	v_add_f32_e32 v15, v15, v5
	ds_read2_b64 v[4:7], v9 offset0:192 offset1:224
	s_waitcnt lgkmcnt(0)
	v_mul_f32_e32 v8, v11, v5
	v_mul_f32_e32 v9, v10, v5
	v_fma_f32 v8, v10, v4, -v8
	v_fmac_f32_e32 v9, v11, v4
	v_add_f32_e32 v18, v18, v8
	v_add_f32_e32 v19, v19, v9
	ds_read_b128 v[8:11], v23 offset:4208
	s_waitcnt lgkmcnt(0)
	v_mul_f32_e32 v60, v9, v1
	v_fma_f32 v60, v8, v0, -v60
	v_mul_f32_e32 v1, v8, v1
	v_fmac_f32_e32 v1, v9, v0
	v_add_f32_e32 v0, v31, v60
	v_mul_f32_e32 v31, v9, v5
	v_fma_f32 v31, v8, v4, -v31
	v_mul_f32_e32 v5, v8, v5
	v_mul_f32_e32 v8, v13, v3
	v_fma_f32 v8, v12, v2, -v8
	v_fmac_f32_e32 v5, v9, v4
	v_mul_f32_e32 v9, v12, v3
	v_add_f32_e32 v14, v14, v8
	v_mul_f32_e32 v8, v13, v7
	v_fmac_f32_e32 v9, v13, v2
	v_fma_f32 v8, v12, v6, -v8
	v_add_f32_e32 v9, v15, v9
	v_mul_f32_e32 v12, v12, v7
	v_add_f32_e32 v15, v18, v8
	v_mul_f32_e32 v8, v11, v3
	v_mul_f32_e32 v3, v10, v3
	v_add_f32_e32 v1, v41, v1
	v_fmac_f32_e32 v12, v13, v6
	v_fma_f32 v8, v10, v2, -v8
	v_fmac_f32_e32 v3, v11, v2
	v_add_f32_e32 v4, v16, v31
	v_add_f32_e32 v16, v19, v12
	v_add_f32_e32 v18, v0, v8
	v_add_f32_e32 v19, v1, v3
	v_mul_f32_e32 v0, v11, v7
	v_mul_f32_e32 v1, v10, v7
	v_add_f32_e32 v5, v17, v5
	v_fma_f32 v0, v10, v6, -v0
	v_fmac_f32_e32 v1, v11, v6
	v_add_u32_e32 v8, 0x1000, v63
	v_add_f32_e32 v31, v4, v0
	v_add_f32_e32 v41, v5, v1
	ds_read_b128 v[0:3], v23 offset:128
	ds_read2_b64 v[4:7], v8 offset1:32
	s_waitcnt lgkmcnt(0)
	v_mul_f32_e32 v11, v0, v5
	v_mul_f32_e32 v10, v1, v5
	v_fmac_f32_e32 v11, v1, v4
	v_fma_f32 v10, v0, v4, -v10
	v_add_f32_e32 v62, v9, v11
	v_add_u32_e32 v9, 0x1000, v67
	v_add_f32_e32 v60, v14, v10
	ds_read2_b64 v[10:13], v9 offset1:32
	s_waitcnt lgkmcnt(0)
	v_mul_f32_e32 v14, v1, v11
	v_fma_f32 v14, v0, v10, -v14
	v_mul_f32_e32 v0, v0, v11
	v_fmac_f32_e32 v0, v1, v10
	v_add_f32_e32 v1, v15, v14
	v_add_f32_e32 v0, v16, v0
	ds_read_b128 v[14:17], v23 offset:4224
	s_waitcnt lgkmcnt(0)
	v_mul_f32_e32 v64, v15, v5
	v_fma_f32 v64, v14, v4, -v64
	v_mul_f32_e32 v5, v14, v5
	v_fmac_f32_e32 v5, v15, v4
	v_add_f32_e32 v4, v18, v64
	v_mul_f32_e32 v18, v15, v11
	v_fma_f32 v18, v14, v10, -v18
	v_mul_f32_e32 v11, v14, v11
	v_fmac_f32_e32 v11, v15, v10
	v_add_f32_e32 v10, v31, v18
	v_mul_f32_e32 v14, v3, v7
	v_mul_f32_e32 v18, v3, v13
	v_fma_f32 v14, v2, v6, -v14
	v_mul_f32_e32 v15, v2, v7
	v_fma_f32 v18, v2, v12, -v18
	v_mul_f32_e32 v2, v2, v13
	v_fmac_f32_e32 v2, v3, v12
	v_add_f32_e32 v5, v19, v5
	v_add_f32_e32 v18, v1, v18
	;; [unrolled: 1-line block ×3, first 2 shown]
	v_mul_f32_e32 v0, v17, v7
	v_mul_f32_e32 v1, v16, v7
	v_fma_f32 v0, v16, v6, -v0
	v_fmac_f32_e32 v1, v17, v6
	v_add_f32_e32 v11, v41, v11
	v_add_f32_e32 v31, v4, v0
	;; [unrolled: 1-line block ×3, first 2 shown]
	v_mul_f32_e32 v0, v17, v13
	v_mul_f32_e32 v1, v16, v13
	v_fmac_f32_e32 v15, v3, v6
	v_fma_f32 v0, v16, v12, -v0
	v_fmac_f32_e32 v1, v17, v12
	v_add_f32_e32 v14, v60, v14
	v_add_f32_e32 v15, v62, v15
	;; [unrolled: 1-line block ×4, first 2 shown]
	ds_read_b128 v[10:13], v23 offset:144
	ds_read2_b64 v[0:3], v8 offset0:64 offset1:96
	s_waitcnt lgkmcnt(0)
	v_mul_f32_e32 v4, v11, v1
	v_mul_f32_e32 v5, v10, v1
	v_fma_f32 v4, v10, v0, -v4
	v_fmac_f32_e32 v5, v11, v0
	v_add_f32_e32 v64, v14, v4
	v_add_f32_e32 v66, v15, v5
	ds_read2_b64 v[4:7], v9 offset0:64 offset1:96
	s_waitcnt lgkmcnt(0)
	v_mul_f32_e32 v14, v11, v5
	v_fma_f32 v14, v10, v4, -v14
	v_mul_f32_e32 v10, v10, v5
	v_fmac_f32_e32 v10, v11, v4
	v_add_f32_e32 v11, v18, v14
	ds_read_b128 v[14:17], v23 offset:4240
	v_add_f32_e32 v10, v19, v10
	s_waitcnt lgkmcnt(0)
	v_mul_f32_e32 v18, v15, v1
	v_fma_f32 v18, v14, v0, -v18
	v_mul_f32_e32 v1, v14, v1
	v_fmac_f32_e32 v1, v15, v0
	v_add_f32_e32 v0, v31, v18
	v_mul_f32_e32 v18, v15, v5
	v_fma_f32 v18, v14, v4, -v18
	v_mul_f32_e32 v5, v14, v5
	v_fmac_f32_e32 v5, v15, v4
	v_add_f32_e32 v4, v60, v18
	v_mul_f32_e32 v14, v13, v3
	v_mul_f32_e32 v18, v13, v7
	v_fma_f32 v14, v12, v2, -v14
	v_mul_f32_e32 v15, v12, v3
	v_fma_f32 v18, v12, v6, -v18
	v_mul_f32_e32 v12, v12, v7
	v_fmac_f32_e32 v12, v13, v6
	v_add_f32_e32 v19, v10, v12
	v_mul_f32_e32 v10, v17, v3
	v_mul_f32_e32 v3, v16, v3
	v_add_f32_e32 v1, v41, v1
	v_fma_f32 v10, v16, v2, -v10
	v_fmac_f32_e32 v3, v17, v2
	v_add_f32_e32 v31, v0, v10
	v_add_f32_e32 v41, v1, v3
	v_mul_f32_e32 v0, v17, v7
	v_mul_f32_e32 v1, v16, v7
	v_add_f32_e32 v5, v62, v5
	v_fma_f32 v0, v16, v6, -v0
	v_fmac_f32_e32 v1, v17, v6
	v_fmac_f32_e32 v15, v13, v2
	v_add_f32_e32 v60, v4, v0
	v_add_f32_e32 v62, v5, v1
	ds_read_b128 v[0:3], v23 offset:160
	ds_read2_b64 v[4:7], v8 offset0:128 offset1:160
	v_add_f32_e32 v18, v11, v18
	v_add_f32_e32 v14, v64, v14
	;; [unrolled: 1-line block ×3, first 2 shown]
	s_waitcnt lgkmcnt(0)
	v_mul_f32_e32 v10, v1, v5
	v_mul_f32_e32 v11, v0, v5
	v_fma_f32 v10, v0, v4, -v10
	v_fmac_f32_e32 v11, v1, v4
	v_add_f32_e32 v64, v14, v10
	v_add_f32_e32 v66, v15, v11
	ds_read2_b64 v[10:13], v9 offset0:128 offset1:160
	s_waitcnt lgkmcnt(0)
	v_mul_f32_e32 v14, v1, v11
	v_fma_f32 v14, v0, v10, -v14
	v_mul_f32_e32 v0, v0, v11
	v_fmac_f32_e32 v0, v1, v10
	v_add_f32_e32 v1, v18, v14
	ds_read_b128 v[14:17], v23 offset:4256
	v_add_f32_e32 v0, v19, v0
	s_waitcnt lgkmcnt(0)
	v_mul_f32_e32 v18, v15, v5
	v_fma_f32 v18, v14, v4, -v18
	v_mul_f32_e32 v5, v14, v5
	v_fmac_f32_e32 v5, v15, v4
	v_add_f32_e32 v4, v31, v18
	v_mul_f32_e32 v18, v15, v11
	v_fma_f32 v18, v14, v10, -v18
	v_mul_f32_e32 v11, v14, v11
	v_fmac_f32_e32 v11, v15, v10
	v_add_f32_e32 v10, v60, v18
	v_mul_f32_e32 v14, v3, v7
	v_mul_f32_e32 v18, v3, v13
	v_fma_f32 v14, v2, v6, -v14
	v_mul_f32_e32 v15, v2, v7
	v_fma_f32 v18, v2, v12, -v18
	v_mul_f32_e32 v2, v2, v13
	v_fmac_f32_e32 v2, v3, v12
	v_add_f32_e32 v18, v1, v18
	v_add_f32_e32 v19, v0, v2
	v_mul_f32_e32 v0, v17, v7
	v_mul_f32_e32 v1, v16, v7
	v_add_f32_e32 v5, v41, v5
	v_fma_f32 v0, v16, v6, -v0
	v_fmac_f32_e32 v1, v17, v6
	v_add_f32_e32 v31, v4, v0
	v_add_f32_e32 v41, v5, v1
	v_mul_f32_e32 v0, v17, v13
	v_mul_f32_e32 v1, v16, v13
	v_add_f32_e32 v11, v62, v11
	v_fma_f32 v0, v16, v12, -v0
	v_fmac_f32_e32 v1, v17, v12
	v_fmac_f32_e32 v15, v3, v6
	v_add_f32_e32 v16, v10, v0
	v_add_f32_e32 v17, v11, v1
	ds_read_b128 v[10:13], v23 offset:176
	ds_read2_b64 v[0:3], v8 offset0:192 offset1:224
	v_add_f32_e32 v14, v64, v14
	v_add_f32_e32 v15, v66, v15
	s_waitcnt lgkmcnt(0)
	v_mul_f32_e32 v4, v11, v1
	v_mul_f32_e32 v5, v10, v1
	v_fma_f32 v4, v10, v0, -v4
	v_fmac_f32_e32 v5, v11, v0
	v_add_f32_e32 v14, v14, v4
	v_add_f32_e32 v15, v15, v5
	ds_read2_b64 v[4:7], v9 offset0:192 offset1:224
	s_waitcnt lgkmcnt(0)
	v_mul_f32_e32 v8, v11, v5
	v_mul_f32_e32 v9, v10, v5
	v_fma_f32 v8, v10, v4, -v8
	v_fmac_f32_e32 v9, v11, v4
	v_add_f32_e32 v18, v18, v8
	v_add_f32_e32 v19, v19, v9
	ds_read_b128 v[8:11], v23 offset:4272
	s_waitcnt lgkmcnt(0)
	v_mul_f32_e32 v60, v9, v1
	v_fma_f32 v60, v8, v0, -v60
	v_mul_f32_e32 v1, v8, v1
	v_fmac_f32_e32 v1, v9, v0
	v_add_f32_e32 v0, v31, v60
	v_mul_f32_e32 v31, v9, v5
	v_fma_f32 v31, v8, v4, -v31
	v_mul_f32_e32 v5, v8, v5
	v_mul_f32_e32 v8, v13, v3
	v_fma_f32 v8, v12, v2, -v8
	v_fmac_f32_e32 v5, v9, v4
	v_mul_f32_e32 v9, v12, v3
	v_add_f32_e32 v14, v14, v8
	v_mul_f32_e32 v8, v13, v7
	v_fmac_f32_e32 v9, v13, v2
	v_fma_f32 v8, v12, v6, -v8
	v_add_f32_e32 v9, v15, v9
	v_mul_f32_e32 v12, v12, v7
	v_add_f32_e32 v15, v18, v8
	v_mul_f32_e32 v8, v11, v3
	v_mul_f32_e32 v3, v10, v3
	v_add_f32_e32 v1, v41, v1
	v_fmac_f32_e32 v12, v13, v6
	v_fma_f32 v8, v10, v2, -v8
	v_fmac_f32_e32 v3, v11, v2
	v_add_f32_e32 v4, v16, v31
	v_add_f32_e32 v16, v19, v12
	;; [unrolled: 1-line block ×4, first 2 shown]
	v_mul_f32_e32 v0, v11, v7
	v_mul_f32_e32 v1, v10, v7
	v_add_f32_e32 v5, v17, v5
	v_fma_f32 v0, v10, v6, -v0
	v_fmac_f32_e32 v1, v11, v6
	v_add_u32_e32 v8, 0x1800, v63
	v_add_f32_e32 v31, v4, v0
	v_add_f32_e32 v41, v5, v1
	ds_read_b128 v[0:3], v23 offset:192
	ds_read2_b64 v[4:7], v8 offset1:32
	s_waitcnt lgkmcnt(0)
	v_mul_f32_e32 v11, v0, v5
	v_mul_f32_e32 v10, v1, v5
	v_fmac_f32_e32 v11, v1, v4
	v_fma_f32 v10, v0, v4, -v10
	v_add_f32_e32 v62, v9, v11
	v_add_u32_e32 v9, 0x1800, v67
	v_add_f32_e32 v60, v14, v10
	ds_read2_b64 v[10:13], v9 offset1:32
	s_waitcnt lgkmcnt(0)
	v_mul_f32_e32 v14, v1, v11
	v_fma_f32 v14, v0, v10, -v14
	v_mul_f32_e32 v0, v0, v11
	v_fmac_f32_e32 v0, v1, v10
	v_add_f32_e32 v1, v15, v14
	v_add_f32_e32 v0, v16, v0
	ds_read_b128 v[14:17], v23 offset:4288
	s_waitcnt lgkmcnt(0)
	v_mul_f32_e32 v64, v15, v5
	v_fma_f32 v64, v14, v4, -v64
	v_mul_f32_e32 v5, v14, v5
	v_fmac_f32_e32 v5, v15, v4
	v_add_f32_e32 v4, v18, v64
	v_mul_f32_e32 v18, v15, v11
	v_fma_f32 v18, v14, v10, -v18
	v_mul_f32_e32 v11, v14, v11
	v_fmac_f32_e32 v11, v15, v10
	v_add_f32_e32 v10, v31, v18
	v_mul_f32_e32 v14, v3, v7
	v_mul_f32_e32 v18, v3, v13
	v_fma_f32 v14, v2, v6, -v14
	v_mul_f32_e32 v15, v2, v7
	v_fma_f32 v18, v2, v12, -v18
	v_mul_f32_e32 v2, v2, v13
	v_fmac_f32_e32 v2, v3, v12
	v_add_f32_e32 v5, v19, v5
	v_add_f32_e32 v18, v1, v18
	;; [unrolled: 1-line block ×3, first 2 shown]
	v_mul_f32_e32 v0, v17, v7
	v_mul_f32_e32 v1, v16, v7
	v_fma_f32 v0, v16, v6, -v0
	v_fmac_f32_e32 v1, v17, v6
	v_add_f32_e32 v11, v41, v11
	v_add_f32_e32 v31, v4, v0
	;; [unrolled: 1-line block ×3, first 2 shown]
	v_mul_f32_e32 v0, v17, v13
	v_mul_f32_e32 v1, v16, v13
	v_fmac_f32_e32 v15, v3, v6
	v_fma_f32 v0, v16, v12, -v0
	v_fmac_f32_e32 v1, v17, v12
	v_add_f32_e32 v14, v60, v14
	v_add_f32_e32 v15, v62, v15
	;; [unrolled: 1-line block ×4, first 2 shown]
	ds_read_b128 v[10:13], v23 offset:208
	ds_read2_b64 v[0:3], v8 offset0:64 offset1:96
	s_waitcnt lgkmcnt(0)
	v_mul_f32_e32 v4, v11, v1
	v_mul_f32_e32 v5, v10, v1
	v_fma_f32 v4, v10, v0, -v4
	v_fmac_f32_e32 v5, v11, v0
	v_add_f32_e32 v64, v14, v4
	v_add_f32_e32 v66, v15, v5
	ds_read2_b64 v[4:7], v9 offset0:64 offset1:96
	s_waitcnt lgkmcnt(0)
	v_mul_f32_e32 v14, v11, v5
	v_fma_f32 v14, v10, v4, -v14
	v_mul_f32_e32 v10, v10, v5
	v_fmac_f32_e32 v10, v11, v4
	v_add_f32_e32 v11, v18, v14
	ds_read_b128 v[14:17], v23 offset:4304
	v_add_f32_e32 v10, v19, v10
	s_waitcnt lgkmcnt(0)
	v_mul_f32_e32 v18, v15, v1
	v_fma_f32 v18, v14, v0, -v18
	v_mul_f32_e32 v1, v14, v1
	v_fmac_f32_e32 v1, v15, v0
	v_add_f32_e32 v0, v31, v18
	v_mul_f32_e32 v18, v15, v5
	v_fma_f32 v18, v14, v4, -v18
	v_mul_f32_e32 v5, v14, v5
	v_fmac_f32_e32 v5, v15, v4
	v_add_f32_e32 v4, v60, v18
	v_mul_f32_e32 v14, v13, v3
	v_mul_f32_e32 v18, v13, v7
	v_fma_f32 v14, v12, v2, -v14
	v_mul_f32_e32 v15, v12, v3
	v_fma_f32 v18, v12, v6, -v18
	v_mul_f32_e32 v12, v12, v7
	v_fmac_f32_e32 v12, v13, v6
	v_add_f32_e32 v19, v10, v12
	v_mul_f32_e32 v10, v17, v3
	v_mul_f32_e32 v3, v16, v3
	v_add_f32_e32 v1, v41, v1
	v_fma_f32 v10, v16, v2, -v10
	v_fmac_f32_e32 v3, v17, v2
	v_add_f32_e32 v31, v0, v10
	v_add_f32_e32 v41, v1, v3
	v_mul_f32_e32 v0, v17, v7
	v_mul_f32_e32 v1, v16, v7
	v_add_f32_e32 v5, v62, v5
	v_fma_f32 v0, v16, v6, -v0
	v_fmac_f32_e32 v1, v17, v6
	v_fmac_f32_e32 v15, v13, v2
	v_add_f32_e32 v60, v4, v0
	v_add_f32_e32 v62, v5, v1
	ds_read_b128 v[0:3], v23 offset:224
	ds_read2_b64 v[4:7], v8 offset0:128 offset1:160
	v_add_f32_e32 v18, v11, v18
	v_add_f32_e32 v14, v64, v14
	;; [unrolled: 1-line block ×3, first 2 shown]
	s_waitcnt lgkmcnt(0)
	v_mul_f32_e32 v10, v1, v5
	v_mul_f32_e32 v11, v0, v5
	v_fma_f32 v10, v0, v4, -v10
	v_fmac_f32_e32 v11, v1, v4
	v_add_f32_e32 v64, v14, v10
	v_add_f32_e32 v66, v15, v11
	ds_read2_b64 v[10:13], v9 offset0:128 offset1:160
	s_waitcnt lgkmcnt(0)
	v_mul_f32_e32 v14, v1, v11
	v_fma_f32 v14, v0, v10, -v14
	v_mul_f32_e32 v0, v0, v11
	v_fmac_f32_e32 v0, v1, v10
	v_add_f32_e32 v1, v18, v14
	ds_read_b128 v[14:17], v23 offset:4320
	v_add_f32_e32 v0, v19, v0
	s_waitcnt lgkmcnt(0)
	v_mul_f32_e32 v18, v15, v5
	v_fma_f32 v18, v14, v4, -v18
	v_mul_f32_e32 v5, v14, v5
	v_fmac_f32_e32 v5, v15, v4
	v_add_f32_e32 v4, v31, v18
	v_mul_f32_e32 v18, v15, v11
	v_fma_f32 v18, v14, v10, -v18
	v_mul_f32_e32 v11, v14, v11
	v_fmac_f32_e32 v11, v15, v10
	v_add_f32_e32 v10, v60, v18
	v_mul_f32_e32 v14, v3, v7
	v_mul_f32_e32 v18, v3, v13
	v_fma_f32 v14, v2, v6, -v14
	v_mul_f32_e32 v15, v2, v7
	v_fma_f32 v18, v2, v12, -v18
	v_mul_f32_e32 v2, v2, v13
	v_fmac_f32_e32 v2, v3, v12
	v_add_f32_e32 v18, v1, v18
	v_add_f32_e32 v19, v0, v2
	v_mul_f32_e32 v0, v17, v7
	v_mul_f32_e32 v1, v16, v7
	v_add_f32_e32 v5, v41, v5
	v_fma_f32 v0, v16, v6, -v0
	v_fmac_f32_e32 v1, v17, v6
	v_add_f32_e32 v31, v4, v0
	v_add_f32_e32 v41, v5, v1
	v_mul_f32_e32 v0, v17, v13
	v_mul_f32_e32 v1, v16, v13
	v_add_f32_e32 v11, v62, v11
	v_fma_f32 v0, v16, v12, -v0
	v_fmac_f32_e32 v1, v17, v12
	v_fmac_f32_e32 v15, v3, v6
	v_add_f32_e32 v16, v10, v0
	v_add_f32_e32 v17, v11, v1
	ds_read_b128 v[10:13], v23 offset:240
	ds_read2_b64 v[0:3], v8 offset0:192 offset1:224
	v_add_f32_e32 v14, v64, v14
	v_add_f32_e32 v15, v66, v15
	s_waitcnt lgkmcnt(0)
	v_mul_f32_e32 v4, v11, v1
	v_mul_f32_e32 v5, v10, v1
	v_fma_f32 v4, v10, v0, -v4
	v_fmac_f32_e32 v5, v11, v0
	v_add_f32_e32 v14, v14, v4
	v_add_f32_e32 v15, v15, v5
	ds_read2_b64 v[4:7], v9 offset0:192 offset1:224
	s_waitcnt lgkmcnt(0)
	v_mul_f32_e32 v8, v11, v5
	v_mul_f32_e32 v9, v10, v5
	v_fma_f32 v8, v10, v4, -v8
	v_fmac_f32_e32 v9, v11, v4
	v_add_f32_e32 v18, v18, v8
	v_add_f32_e32 v19, v19, v9
	ds_read_b128 v[8:11], v23 offset:4336
	s_waitcnt lgkmcnt(0)
	s_barrier
	v_mul_f32_e32 v60, v9, v1
	v_fma_f32 v60, v8, v0, -v60
	v_mul_f32_e32 v1, v8, v1
	v_fmac_f32_e32 v1, v9, v0
	v_add_f32_e32 v0, v31, v60
	v_mul_f32_e32 v31, v9, v5
	v_fma_f32 v31, v8, v4, -v31
	v_mul_f32_e32 v5, v8, v5
	v_mul_f32_e32 v8, v13, v3
	v_fma_f32 v8, v12, v2, -v8
	v_add_f32_e32 v64, v14, v8
	v_mul_f32_e32 v8, v13, v7
	v_fma_f32 v8, v12, v6, -v8
	v_add_f32_e32 v60, v18, v8
	v_mul_f32_e32 v8, v11, v3
	v_fma_f32 v8, v10, v2, -v8
	v_fmac_f32_e32 v5, v9, v4
	v_add_f32_e32 v4, v16, v31
	v_add_f32_e32 v16, v0, v8
	v_mul_f32_e32 v0, v11, v7
	v_fma_f32 v0, v10, v6, -v0
	v_add_f32_e32 v14, v4, v0
	v_mov_b32_e32 v0, s41
	v_mul_f32_e32 v9, v12, v3
	v_mul_f32_e32 v3, v10, v3
	v_addc_co_u32_e64 v59, s[10:11], v59, v0, s[10:11]
	v_add_f32_e32 v1, v41, v1
	v_fmac_f32_e32 v9, v13, v2
	v_fmac_f32_e32 v3, v11, v2
	v_add_co_u32_e64 v56, s[10:11], s40, v56
	v_add_f32_e32 v66, v15, v9
	v_mul_f32_e32 v9, v12, v7
	v_add_f32_e32 v18, v1, v3
	v_mul_f32_e32 v1, v10, v7
	v_addc_co_u32_e64 v57, s[10:11], v57, v0, s[10:11]
	v_add_f32_e32 v5, v17, v5
	v_fmac_f32_e32 v9, v13, v6
	v_fmac_f32_e32 v1, v11, v6
	v_add_co_u32_e64 v54, s[10:11], s42, v54
	v_mov_b32_e32 v0, s43
	v_add_f32_e32 v62, v19, v9
	v_add_f32_e32 v12, v5, v1
	v_addc_co_u32_e64 v55, s[10:11], v55, v0, s[10:11]
	s_cbranch_scc1 .LBB92_55
.LBB92_7:                               ;   Parent Loop BB92_4 Depth=1
                                        ; =>  This Inner Loop Header: Depth=2
	v_mov_b32_e32 v0, s21
	v_add_co_u32_e64 v2, s[10:11], s20, v22
	v_addc_co_u32_e64 v3, s[10:11], 0, v0, s[10:11]
	v_add_co_u32_e64 v0, s[10:11], v56, v46
	v_addc_co_u32_e64 v1, s[10:11], v57, v47, s[10:11]
	v_cmp_eq_u64_e64 s[10:11], s[20:21], v[44:45]
	s_and_b64 s[26:27], s[22:23], s[10:11]
	v_cmp_gt_i64_e64 s[10:11], v[2:3], v[42:43]
	s_or_b64 s[14:15], s[16:17], s[10:11]
	v_cmp_le_i64_e64 s[12:13], s[30:31], v[2:3]
	s_or_b64 s[14:15], s[14:15], s[26:27]
	s_or_b64 s[14:15], s[12:13], s[14:15]
	s_xor_b64 s[14:15], s[14:15], -1
	s_and_saveexec_b64 s[18:19], s[14:15]
	s_xor_b64 s[14:15], exec, s[18:19]
	s_cbranch_execz .LBB92_9
; %bb.8:                                ;   in Loop: Header=BB92_7 Depth=2
	global_load_dwordx2 v[4:5], v[0:1], off
	s_waitcnt vmcnt(0)
	v_xor_b32_e32 v5, 0x80000000, v5
	ds_write_b64 v61, v[4:5]
.LBB92_9:                               ;   in Loop: Header=BB92_7 Depth=2
	s_or_saveexec_b64 s[14:15], s[14:15]
	s_xor_b64 s[24:25], s[26:27], -1
	s_xor_b64 exec, exec, s[14:15]
	s_cbranch_execz .LBB92_15
; %bb.10:                               ;   in Loop: Header=BB92_7 Depth=2
	s_and_saveexec_b64 s[18:19], s[24:25]
	s_xor_b64 s[18:19], exec, s[18:19]
	s_cbranch_execz .LBB92_12
; %bb.11:                               ;   in Loop: Header=BB92_7 Depth=2
	v_mov_b32_e32 v4, v25
	v_mov_b32_e32 v5, v25
	ds_write_b64 v61, v[4:5]
.LBB92_12:                              ;   in Loop: Header=BB92_7 Depth=2
	s_andn2_saveexec_b64 s[18:19], s[18:19]
	s_cbranch_execz .LBB92_14
; %bb.13:                               ;   in Loop: Header=BB92_7 Depth=2
	ds_write_b64 v61, v[24:25]
.LBB92_14:                              ;   in Loop: Header=BB92_7 Depth=2
	s_or_b64 exec, exec, s[18:19]
.LBB92_15:                              ;   in Loop: Header=BB92_7 Depth=2
	s_or_b64 exec, exec, s[14:15]
	v_add_co_u32_e64 v4, s[14:15], 16, v2
	v_addc_co_u32_e64 v5, s[14:15], 0, v3, s[14:15]
	v_cmp_eq_u64_e64 s[14:15], s[20:21], v[52:53]
	v_cmp_gt_i64_e64 s[18:19], v[4:5], v[42:43]
	s_and_b64 s[28:29], s[22:23], s[14:15]
	s_or_b64 s[18:19], s[16:17], s[18:19]
	v_cmp_le_i64_e64 s[14:15], s[30:31], v[4:5]
	s_or_b64 s[18:19], s[18:19], s[28:29]
	s_or_b64 s[18:19], s[14:15], s[18:19]
	s_xor_b64 s[18:19], s[18:19], -1
	s_and_saveexec_b64 s[36:37], s[18:19]
	s_xor_b64 s[36:37], exec, s[36:37]
	s_cbranch_execz .LBB92_17
; %bb.16:                               ;   in Loop: Header=BB92_7 Depth=2
	v_add_co_u32_e64 v4, s[18:19], v58, v46
	v_addc_co_u32_e64 v5, s[18:19], v59, v47, s[18:19]
	global_load_dwordx2 v[4:5], v[4:5], off
	s_waitcnt vmcnt(0)
	v_xor_b32_e32 v5, 0x80000000, v5
	ds_write_b64 v61, v[4:5] offset:128
.LBB92_17:                              ;   in Loop: Header=BB92_7 Depth=2
	s_andn2_saveexec_b64 s[18:19], s[36:37]
	s_cbranch_execz .LBB92_23
; %bb.18:                               ;   in Loop: Header=BB92_7 Depth=2
	s_xor_b64 s[28:29], s[28:29], -1
	s_and_saveexec_b64 s[36:37], s[28:29]
	s_xor_b64 s[28:29], exec, s[36:37]
	s_cbranch_execz .LBB92_20
; %bb.19:                               ;   in Loop: Header=BB92_7 Depth=2
	v_mov_b32_e32 v4, v25
	v_mov_b32_e32 v5, v25
	ds_write_b64 v61, v[4:5] offset:128
.LBB92_20:                              ;   in Loop: Header=BB92_7 Depth=2
	s_andn2_saveexec_b64 s[28:29], s[28:29]
	s_cbranch_execz .LBB92_22
; %bb.21:                               ;   in Loop: Header=BB92_7 Depth=2
	ds_write_b64 v61, v[24:25] offset:128
.LBB92_22:                              ;   in Loop: Header=BB92_7 Depth=2
	s_or_b64 exec, exec, s[28:29]
.LBB92_23:                              ;   in Loop: Header=BB92_7 Depth=2
	s_or_b64 exec, exec, s[18:19]
	v_cmp_eq_u64_e64 s[18:19], s[20:21], v[50:51]
	s_and_b64 s[28:29], s[22:23], s[18:19]
	v_cmp_gt_i64_e64 s[18:19], v[2:3], v[48:49]
	s_or_b64 s[18:19], s[8:9], s[18:19]
	s_or_b64 s[18:19], s[18:19], s[28:29]
	;; [unrolled: 1-line block ×3, first 2 shown]
	s_xor_b64 s[12:13], s[12:13], -1
	s_and_saveexec_b64 s[18:19], s[12:13]
	s_xor_b64 s[12:13], exec, s[18:19]
	s_cbranch_execz .LBB92_25
; %bb.24:                               ;   in Loop: Header=BB92_7 Depth=2
	global_load_dwordx2 v[0:1], v[0:1], off offset:128
	s_waitcnt vmcnt(0)
	v_xor_b32_e32 v1, 0x80000000, v1
	ds_write_b64 v61, v[0:1] offset:4096
.LBB92_25:                              ;   in Loop: Header=BB92_7 Depth=2
	s_andn2_saveexec_b64 s[12:13], s[12:13]
	s_cbranch_execz .LBB92_31
; %bb.26:                               ;   in Loop: Header=BB92_7 Depth=2
	s_xor_b64 s[18:19], s[28:29], -1
	s_and_saveexec_b64 s[28:29], s[18:19]
	s_xor_b64 s[18:19], exec, s[28:29]
	s_cbranch_execz .LBB92_28
; %bb.27:                               ;   in Loop: Header=BB92_7 Depth=2
	v_mov_b32_e32 v0, v25
	v_mov_b32_e32 v1, v25
	ds_write_b64 v61, v[0:1] offset:4096
.LBB92_28:                              ;   in Loop: Header=BB92_7 Depth=2
	s_andn2_saveexec_b64 s[18:19], s[18:19]
	s_cbranch_execz .LBB92_30
; %bb.29:                               ;   in Loop: Header=BB92_7 Depth=2
	ds_write_b64 v61, v[24:25] offset:4096
.LBB92_30:                              ;   in Loop: Header=BB92_7 Depth=2
	s_or_b64 exec, exec, s[18:19]
.LBB92_31:                              ;   in Loop: Header=BB92_7 Depth=2
	s_or_b64 exec, exec, s[12:13]
	s_or_b64 s[10:11], s[8:9], s[10:11]
	s_or_b64 s[10:11], s[10:11], s[26:27]
	;; [unrolled: 1-line block ×3, first 2 shown]
	s_xor_b64 s[10:11], s[10:11], -1
	s_and_saveexec_b64 s[12:13], s[10:11]
	s_xor_b64 s[12:13], exec, s[12:13]
	s_cbranch_execz .LBB92_33
; %bb.32:                               ;   in Loop: Header=BB92_7 Depth=2
	v_add_co_u32_e64 v0, s[10:11], v58, v46
	v_addc_co_u32_e64 v1, s[10:11], v59, v47, s[10:11]
	global_load_dwordx2 v[0:1], v[0:1], off offset:128
	s_waitcnt vmcnt(0)
	v_xor_b32_e32 v1, 0x80000000, v1
	ds_write_b64 v61, v[0:1] offset:4224
.LBB92_33:                              ;   in Loop: Header=BB92_7 Depth=2
	s_andn2_saveexec_b64 s[10:11], s[12:13]
	s_cbranch_execz .LBB92_39
; %bb.34:                               ;   in Loop: Header=BB92_7 Depth=2
	s_and_saveexec_b64 s[12:13], s[24:25]
	s_xor_b64 s[12:13], exec, s[12:13]
	s_cbranch_execz .LBB92_36
; %bb.35:                               ;   in Loop: Header=BB92_7 Depth=2
	v_mov_b32_e32 v0, v25
	v_mov_b32_e32 v1, v25
	ds_write_b64 v61, v[0:1] offset:4224
.LBB92_36:                              ;   in Loop: Header=BB92_7 Depth=2
	s_andn2_saveexec_b64 s[12:13], s[12:13]
	s_cbranch_execz .LBB92_38
; %bb.37:                               ;   in Loop: Header=BB92_7 Depth=2
	ds_write_b64 v61, v[24:25] offset:4224
.LBB92_38:                              ;   in Loop: Header=BB92_7 Depth=2
	s_or_b64 exec, exec, s[12:13]
.LBB92_39:                              ;   in Loop: Header=BB92_7 Depth=2
	s_or_b64 exec, exec, s[10:11]
	v_mov_b32_e32 v1, s21
	v_add_co_u32_e64 v0, s[10:11], s20, v20
	v_addc_co_u32_e64 v1, s[10:11], 0, v1, s[10:11]
	v_add_co_u32_e64 v2, s[10:11], v54, v34
	v_addc_co_u32_e64 v3, s[10:11], v55, v35, s[10:11]
	v_cmp_le_i64_e64 s[10:11], s[30:31], v[0:1]
	s_or_b64 s[12:13], s[10:11], vcc
	s_xor_b64 s[12:13], s[12:13], -1
	s_and_saveexec_b64 s[14:15], s[12:13]
	s_xor_b64 s[12:13], exec, s[14:15]
	s_cbranch_execz .LBB92_41
; %bb.40:                               ;   in Loop: Header=BB92_7 Depth=2
	global_load_dwordx2 v[4:5], v[2:3], off offset:-128
	s_waitcnt vmcnt(0)
	ds_write_b64 v65, v[4:5]
.LBB92_41:                              ;   in Loop: Header=BB92_7 Depth=2
	s_andn2_saveexec_b64 s[12:13], s[12:13]
	s_cbranch_execz .LBB92_43
; %bb.42:                               ;   in Loop: Header=BB92_7 Depth=2
	v_mov_b32_e32 v4, v25
	v_mov_b32_e32 v5, v25
	ds_write_b64 v65, v[4:5]
.LBB92_43:                              ;   in Loop: Header=BB92_7 Depth=2
	s_or_b64 exec, exec, s[12:13]
	s_or_b64 s[10:11], s[10:11], s[0:1]
	s_xor_b64 s[10:11], s[10:11], -1
	s_and_saveexec_b64 s[12:13], s[10:11]
	s_xor_b64 s[10:11], exec, s[12:13]
	s_cbranch_execz .LBB92_45
; %bb.44:                               ;   in Loop: Header=BB92_7 Depth=2
	global_load_dwordx2 v[2:3], v[2:3], off
	s_waitcnt vmcnt(0)
	ds_write_b64 v65, v[2:3] offset:128
.LBB92_45:                              ;   in Loop: Header=BB92_7 Depth=2
	s_andn2_saveexec_b64 s[10:11], s[10:11]
	s_cbranch_execz .LBB92_47
; %bb.46:                               ;   in Loop: Header=BB92_7 Depth=2
	v_mov_b32_e32 v2, v25
	v_mov_b32_e32 v3, v25
	ds_write_b64 v65, v[2:3] offset:128
.LBB92_47:                              ;   in Loop: Header=BB92_7 Depth=2
	s_or_b64 exec, exec, s[10:11]
	v_cmp_le_i64_e64 s[10:11], s[46:47], v[0:1]
	s_or_b64 s[12:13], s[10:11], vcc
	s_xor_b64 s[12:13], s[12:13], -1
	s_and_saveexec_b64 s[14:15], s[12:13]
	s_xor_b64 s[14:15], exec, s[14:15]
	s_cbranch_execz .LBB92_49
; %bb.48:                               ;   in Loop: Header=BB92_7 Depth=2
	v_add_co_u32_e64 v0, s[12:13], v54, v40
	v_addc_co_u32_e64 v1, s[12:13], v55, v21, s[12:13]
	global_load_dwordx2 v[0:1], v[0:1], off offset:-128
	s_waitcnt vmcnt(0)
	ds_write_b64 v65, v[0:1] offset:4096
.LBB92_49:                              ;   in Loop: Header=BB92_7 Depth=2
	s_andn2_saveexec_b64 s[12:13], s[14:15]
	s_cbranch_execz .LBB92_51
; %bb.50:                               ;   in Loop: Header=BB92_7 Depth=2
	v_mov_b32_e32 v0, v25
	v_mov_b32_e32 v1, v25
	ds_write_b64 v65, v[0:1] offset:4096
.LBB92_51:                              ;   in Loop: Header=BB92_7 Depth=2
	s_or_b64 exec, exec, s[12:13]
	s_or_b64 s[10:11], s[10:11], s[0:1]
	s_xor_b64 s[10:11], s[10:11], -1
	s_and_saveexec_b64 s[12:13], s[10:11]
	s_xor_b64 s[12:13], exec, s[12:13]
	s_cbranch_execz .LBB92_53
; %bb.52:                               ;   in Loop: Header=BB92_7 Depth=2
	v_add_co_u32_e64 v0, s[10:11], v54, v40
	v_addc_co_u32_e64 v1, s[10:11], v55, v21, s[10:11]
	global_load_dwordx2 v[0:1], v[0:1], off
	s_waitcnt vmcnt(0)
	ds_write_b64 v65, v[0:1] offset:4224
.LBB92_53:                              ;   in Loop: Header=BB92_7 Depth=2
	s_andn2_saveexec_b64 s[10:11], s[12:13]
	s_cbranch_execz .LBB92_6
; %bb.54:                               ;   in Loop: Header=BB92_7 Depth=2
	v_mov_b32_e32 v0, v25
	v_mov_b32_e32 v1, v25
	ds_write_b64 v65, v[0:1] offset:4224
	s_branch .LBB92_6
.LBB92_55:                              ;   in Loop: Header=BB92_4 Depth=1
	v_mul_lo_u32 v2, v43, s44
	v_mul_lo_u32 v3, v42, s45
	v_mad_u64_u32 v[0:1], s[10:11], v42, s44, 0
	v_add3_u32 v1, v1, v3, v2
	v_lshlrev_b64 v[0:1], 3, v[0:1]
	v_mov_b32_e32 v2, s50
	v_add_co_u32_e64 v0, s[10:11], s49, v0
	v_cmp_gt_i32_e64 s[8:9], s30, v42
	v_addc_co_u32_e64 v1, s[10:11], v2, v1, s[10:11]
	s_and_b64 s[10:11], s[2:3], s[8:9]
	s_and_saveexec_b64 s[12:13], s[10:11]
	s_cbranch_execz .LBB92_57
; %bb.56:                               ;   in Loop: Header=BB92_4 Depth=1
	v_add_co_u32_e64 v2, s[10:11], v0, v36
	v_addc_co_u32_e64 v3, s[10:11], v1, v37, s[10:11]
	global_load_dwordx2 v[4:5], v[2:3], off
	v_pk_mul_f32 v[6:7], v[66:67], s[34:35] op_sel_hi:[0,1]
	v_pk_fma_f32 v[8:9], v[64:65], s[34:35], v[6:7] op_sel:[0,0,1] op_sel_hi:[1,1,0] neg_lo:[0,0,1] neg_hi:[0,0,1]
	v_pk_fma_f32 v[6:7], v[64:65], s[34:35], v[6:7] op_sel:[0,0,1] op_sel_hi:[0,1,0]
	v_mov_b32_e32 v9, v7
	s_waitcnt vmcnt(0)
	v_pk_add_f32 v[4:5], v[4:5], v[8:9]
	global_store_dwordx2 v[2:3], v[4:5], off
.LBB92_57:                              ;   in Loop: Header=BB92_4 Depth=1
	s_or_b64 exec, exec, s[12:13]
	s_and_b64 s[8:9], s[4:5], s[8:9]
	s_and_saveexec_b64 s[10:11], s[8:9]
	s_cbranch_execz .LBB92_59
; %bb.58:                               ;   in Loop: Header=BB92_4 Depth=1
	v_lshlrev_b64 v[2:3], 3, v[28:29]
	v_add_co_u32_e64 v0, s[8:9], v0, v2
	v_addc_co_u32_e64 v1, s[8:9], v1, v3, s[8:9]
	global_load_dwordx2 v[2:3], v[0:1], off
	v_pk_mul_f32 v[4:5], v[62:63], s[34:35] op_sel_hi:[0,1]
	v_pk_fma_f32 v[6:7], v[60:61], s[34:35], v[4:5] op_sel:[0,0,1] op_sel_hi:[1,1,0] neg_lo:[0,0,1] neg_hi:[0,0,1]
	v_pk_fma_f32 v[4:5], v[60:61], s[34:35], v[4:5] op_sel:[0,0,1] op_sel_hi:[0,1,0]
	v_mov_b32_e32 v7, v5
	s_waitcnt vmcnt(0)
	v_pk_add_f32 v[2:3], v[2:3], v[6:7]
	global_store_dwordx2 v[0:1], v[2:3], off
.LBB92_59:                              ;   in Loop: Header=BB92_4 Depth=1
	s_or_b64 exec, exec, s[10:11]
	v_add_u32_e32 v0, 16, v42
	v_ashrrev_i32_e32 v1, 31, v0
	v_cmp_gt_i32_e64 s[8:9], s30, v0
	v_mul_lo_u32 v2, v1, s44
	v_mul_lo_u32 v3, v0, s45
	v_mad_u64_u32 v[0:1], s[10:11], v0, s44, 0
	v_add3_u32 v1, v1, v3, v2
	v_lshlrev_b64 v[0:1], 3, v[0:1]
	v_mov_b32_e32 v2, s50
	v_add_co_u32_e64 v0, s[10:11], s49, v0
	v_addc_co_u32_e64 v1, s[10:11], v2, v1, s[10:11]
	s_and_b64 s[10:11], s[2:3], s[8:9]
	s_and_saveexec_b64 s[12:13], s[10:11]
	s_cbranch_execz .LBB92_61
; %bb.60:                               ;   in Loop: Header=BB92_4 Depth=1
	v_add_co_u32_e64 v2, s[10:11], v0, v36
	v_addc_co_u32_e64 v3, s[10:11], v1, v37, s[10:11]
	global_load_dwordx2 v[4:5], v[2:3], off
	v_pk_mul_f32 v[6:7], v[18:19], s[34:35] op_sel_hi:[0,1]
	v_pk_fma_f32 v[8:9], v[16:17], s[34:35], v[6:7] op_sel:[0,0,1] op_sel_hi:[1,1,0] neg_lo:[0,0,1] neg_hi:[0,0,1]
	v_pk_fma_f32 v[6:7], v[16:17], s[34:35], v[6:7] op_sel:[0,0,1] op_sel_hi:[0,1,0]
	v_mov_b32_e32 v9, v7
	s_waitcnt vmcnt(0)
	v_pk_add_f32 v[4:5], v[4:5], v[8:9]
	global_store_dwordx2 v[2:3], v[4:5], off
.LBB92_61:                              ;   in Loop: Header=BB92_4 Depth=1
	s_or_b64 exec, exec, s[12:13]
	s_and_b64 s[8:9], s[4:5], s[8:9]
	s_and_saveexec_b64 s[10:11], s[8:9]
	s_cbranch_execz .LBB92_3
; %bb.62:                               ;   in Loop: Header=BB92_4 Depth=1
	v_lshlrev_b64 v[2:3], 3, v[28:29]
	v_add_co_u32_e64 v0, s[8:9], v0, v2
	v_addc_co_u32_e64 v1, s[8:9], v1, v3, s[8:9]
	global_load_dwordx2 v[2:3], v[0:1], off
	v_pk_mul_f32 v[4:5], v[12:13], s[34:35] op_sel_hi:[0,1]
	v_pk_fma_f32 v[6:7], v[14:15], s[34:35], v[4:5] op_sel:[0,0,1] op_sel_hi:[1,1,0] neg_lo:[0,0,1] neg_hi:[0,0,1]
	v_pk_fma_f32 v[4:5], v[14:15], s[34:35], v[4:5] op_sel:[0,0,1] op_sel_hi:[0,1,0]
	v_mov_b32_e32 v7, v5
	s_waitcnt vmcnt(0)
	v_pk_add_f32 v[2:3], v[2:3], v[6:7]
	global_store_dwordx2 v[0:1], v[2:3], off
	s_branch .LBB92_3
.LBB92_63:
	s_endpgm
	.section	.rodata,"a",@progbits
	.p2align	6, 0x0
	.amdhsa_kernel _ZL30rocblas_trmm_outofplace_kernelI19rocblas_complex_numIfELi32ELi2ELb0ELb0ELb1ELb1EPKS1_S2_S1_Ev17rocblas_diagonal_iiT6_lPT7_lllS7_lllPT8_llli
		.amdhsa_group_segment_fixed_size 16384
		.amdhsa_private_segment_fixed_size 0
		.amdhsa_kernarg_size 392
		.amdhsa_user_sgpr_count 6
		.amdhsa_user_sgpr_private_segment_buffer 1
		.amdhsa_user_sgpr_dispatch_ptr 0
		.amdhsa_user_sgpr_queue_ptr 0
		.amdhsa_user_sgpr_kernarg_segment_ptr 1
		.amdhsa_user_sgpr_dispatch_id 0
		.amdhsa_user_sgpr_flat_scratch_init 0
		.amdhsa_user_sgpr_kernarg_preload_length 0
		.amdhsa_user_sgpr_kernarg_preload_offset 0
		.amdhsa_user_sgpr_private_segment_size 0
		.amdhsa_uses_dynamic_stack 0
		.amdhsa_system_sgpr_private_segment_wavefront_offset 0
		.amdhsa_system_sgpr_workgroup_id_x 1
		.amdhsa_system_sgpr_workgroup_id_y 1
		.amdhsa_system_sgpr_workgroup_id_z 1
		.amdhsa_system_sgpr_workgroup_info 0
		.amdhsa_system_vgpr_workitem_id 1
		.amdhsa_next_free_vgpr 86
		.amdhsa_next_free_sgpr 51
		.amdhsa_accum_offset 88
		.amdhsa_reserve_vcc 1
		.amdhsa_reserve_flat_scratch 0
		.amdhsa_float_round_mode_32 0
		.amdhsa_float_round_mode_16_64 0
		.amdhsa_float_denorm_mode_32 3
		.amdhsa_float_denorm_mode_16_64 3
		.amdhsa_dx10_clamp 1
		.amdhsa_ieee_mode 1
		.amdhsa_fp16_overflow 0
		.amdhsa_tg_split 0
		.amdhsa_exception_fp_ieee_invalid_op 0
		.amdhsa_exception_fp_denorm_src 0
		.amdhsa_exception_fp_ieee_div_zero 0
		.amdhsa_exception_fp_ieee_overflow 0
		.amdhsa_exception_fp_ieee_underflow 0
		.amdhsa_exception_fp_ieee_inexact 0
		.amdhsa_exception_int_div_zero 0
	.end_amdhsa_kernel
	.section	.text._ZL30rocblas_trmm_outofplace_kernelI19rocblas_complex_numIfELi32ELi2ELb0ELb0ELb1ELb1EPKS1_S2_S1_Ev17rocblas_diagonal_iiT6_lPT7_lllS7_lllPT8_llli,"axG",@progbits,_ZL30rocblas_trmm_outofplace_kernelI19rocblas_complex_numIfELi32ELi2ELb0ELb0ELb1ELb1EPKS1_S2_S1_Ev17rocblas_diagonal_iiT6_lPT7_lllS7_lllPT8_llli,comdat
.Lfunc_end92:
	.size	_ZL30rocblas_trmm_outofplace_kernelI19rocblas_complex_numIfELi32ELi2ELb0ELb0ELb1ELb1EPKS1_S2_S1_Ev17rocblas_diagonal_iiT6_lPT7_lllS7_lllPT8_llli, .Lfunc_end92-_ZL30rocblas_trmm_outofplace_kernelI19rocblas_complex_numIfELi32ELi2ELb0ELb0ELb1ELb1EPKS1_S2_S1_Ev17rocblas_diagonal_iiT6_lPT7_lllS7_lllPT8_llli
                                        ; -- End function
	.section	.AMDGPU.csdata,"",@progbits
; Kernel info:
; codeLenInByte = 6824
; NumSgprs: 55
; NumVgprs: 86
; NumAgprs: 0
; TotalNumVgprs: 86
; ScratchSize: 0
; MemoryBound: 0
; FloatMode: 240
; IeeeMode: 1
; LDSByteSize: 16384 bytes/workgroup (compile time only)
; SGPRBlocks: 6
; VGPRBlocks: 10
; NumSGPRsForWavesPerEU: 55
; NumVGPRsForWavesPerEU: 86
; AccumOffset: 88
; Occupancy: 5
; WaveLimiterHint : 0
; COMPUTE_PGM_RSRC2:SCRATCH_EN: 0
; COMPUTE_PGM_RSRC2:USER_SGPR: 6
; COMPUTE_PGM_RSRC2:TRAP_HANDLER: 0
; COMPUTE_PGM_RSRC2:TGID_X_EN: 1
; COMPUTE_PGM_RSRC2:TGID_Y_EN: 1
; COMPUTE_PGM_RSRC2:TGID_Z_EN: 1
; COMPUTE_PGM_RSRC2:TIDIG_COMP_CNT: 1
; COMPUTE_PGM_RSRC3_GFX90A:ACCUM_OFFSET: 21
; COMPUTE_PGM_RSRC3_GFX90A:TG_SPLIT: 0
	.section	.text._ZL30rocblas_trmm_outofplace_kernelI19rocblas_complex_numIfELi32ELi2ELb0ELb0ELb1ELb1ES1_KS1_S1_Ev17rocblas_diagonal_iiT6_lPT7_lllS6_lllPT8_llli,"axG",@progbits,_ZL30rocblas_trmm_outofplace_kernelI19rocblas_complex_numIfELi32ELi2ELb0ELb0ELb1ELb1ES1_KS1_S1_Ev17rocblas_diagonal_iiT6_lPT7_lllS6_lllPT8_llli,comdat
	.globl	_ZL30rocblas_trmm_outofplace_kernelI19rocblas_complex_numIfELi32ELi2ELb0ELb0ELb1ELb1ES1_KS1_S1_Ev17rocblas_diagonal_iiT6_lPT7_lllS6_lllPT8_llli ; -- Begin function _ZL30rocblas_trmm_outofplace_kernelI19rocblas_complex_numIfELi32ELi2ELb0ELb0ELb1ELb1ES1_KS1_S1_Ev17rocblas_diagonal_iiT6_lPT7_lllS6_lllPT8_llli
	.p2align	8
	.type	_ZL30rocblas_trmm_outofplace_kernelI19rocblas_complex_numIfELi32ELi2ELb0ELb0ELb1ELb1ES1_KS1_S1_Ev17rocblas_diagonal_iiT6_lPT7_lllS6_lllPT8_llli,@function
_ZL30rocblas_trmm_outofplace_kernelI19rocblas_complex_numIfELi32ELi2ELb0ELb0ELb1ELb1ES1_KS1_S1_Ev17rocblas_diagonal_iiT6_lPT7_lllS6_lllPT8_llli: ; @_ZL30rocblas_trmm_outofplace_kernelI19rocblas_complex_numIfELi32ELi2ELb0ELb0ELb1ELb1ES1_KS1_S1_Ev17rocblas_diagonal_iiT6_lPT7_lllS6_lllPT8_llli
; %bb.0:
	s_load_dwordx4 s[28:31], s[4:5], 0x0
	s_load_dword s35, s[4:5], 0x10
	s_waitcnt lgkmcnt(0)
	s_or_b32 s0, s31, s35
	s_bitset0_b32 s0, 31
	s_cmp_eq_u32 s0, 0
	s_cbranch_scc1 .LBB93_63
; %bb.1:
	s_add_i32 s0, s30, -1
	s_ashr_i32 s1, s0, 31
	s_lshr_b32 s1, s1, 27
	s_add_i32 s0, s0, s1
	s_ashr_i32 s33, s0, 5
	s_cmp_gt_i32 s7, s33
	s_cbranch_scc1 .LBB93_63
; %bb.2:
	s_load_dwordx16 s[12:27], s[4:5], 0x20
	s_load_dwordx8 s[36:43], s[4:5], 0x60
	v_and_b32_e32 v22, 0x3ff, v0
	v_bfe_u32 v20, v0, 10, 10
	v_lshl_add_u32 v0, s6, 5, v22
	s_waitcnt lgkmcnt(0)
	s_mul_i32 s0, s8, s19
	s_mul_hi_u32 s1, s8, s18
	s_add_i32 s1, s1, s0
	s_mul_i32 s0, s8, s18
	s_lshl_b64 s[18:19], s[0:1], 3
	s_add_u32 s0, s12, s18
	s_addc_u32 s1, s13, s19
	s_lshl_b64 s[14:15], s[14:15], 3
	s_add_u32 s2, s0, s14
	s_addc_u32 s3, s1, s15
	s_mul_i32 s0, s8, s43
	s_mul_hi_u32 s1, s8, s42
	s_add_i32 s1, s1, s0
	s_mul_i32 s0, s8, s42
	s_lshl_b64 s[0:1], s[0:1], 3
	s_add_u32 s9, s36, s0
	s_addc_u32 s10, s37, s1
	s_lshl_b64 s[0:1], s[38:39], 3
	s_add_u32 s46, s9, s0
	s_addc_u32 s47, s10, s1
	v_mad_u64_u32 v[2:3], s[0:1], v22, s16, 0
	s_load_dword s6, s[4:5], 0x8c
	v_mov_b32_e32 v4, v3
	v_mad_u64_u32 v[4:5], s[0:1], v22, s17, v[4:5]
	s_cmpk_eq_i32 s28, 0x84
	s_mov_b32 s34, s31
	s_cselect_b64 s[36:37], -1, 0
	s_ashr_i32 s31, s30, 31
	s_ashr_i32 s0, s29, 31
	s_lshl_b64 s[38:39], s[16:17], 8
	s_lshl_b64 s[42:43], s[24:25], 8
	v_mov_b32_e32 v3, v4
	s_add_u32 s44, s30, -16
	v_lshlrev_b64 v[2:3], 3, v[2:3]
	s_addc_u32 s45, s31, -1
	v_sub_co_u32_e64 v68, s[10:11], 0, v22
	s_waitcnt lgkmcnt(0)
	s_lshl_b32 s48, s6, 5
	v_mov_b32_e32 v4, s3
	v_add_co_u32_e32 v26, vcc, s2, v2
	v_subb_co_u32_e64 v69, s[10:11], 0, 0, s[10:11]
	s_add_u32 s9, s12, s14
	v_addc_co_u32_e32 v27, vcc, v4, v3, vcc
	s_addc_u32 s11, s13, s15
	v_ashrrev_i32_e32 v1, 31, v0
	v_mov_b32_e32 v3, s0
	v_sub_co_u32_e32 v2, vcc, s29, v0
	s_add_u32 s10, s9, s18
	v_subb_co_u32_e32 v3, vcc, v3, v1, vcc
	v_lshlrev_b32_e32 v4, 3, v22
	v_lshlrev_b32_e32 v23, 8, v20
	s_addc_u32 s11, s11, s19
	v_add_u32_e32 v61, v23, v4
	v_cmp_gt_i64_e32 vcc, 1, v[2:3]
	v_or_b32_e32 v63, 0x2000, v4
	v_cmp_gt_i64_e64 s[0:1], 17, v[2:3]
	v_add_u32_e32 v67, 0x2080, v4
	v_add_u32_e32 v4, 0x80, v4
	v_pk_mov_b32 v[2:3], s[10:11], s[10:11] op_sel:[0,1]
	v_mad_u64_u32 v[32:33], s[10:11], s16, v4, v[2:3]
	v_mov_b32_e32 v2, v33
	v_mad_u64_u32 v[2:3], s[10:11], s17, v4, v[2:3]
	v_mov_b32_e32 v33, v2
	;; [unrolled: 2-line block ×3, first 2 shown]
	v_mad_u64_u32 v[4:5], s[10:11], s25, v20, v[4:5]
	s_mul_i32 s9, s27, s8
	s_mul_hi_u32 s10, s26, s8
	s_add_i32 s9, s10, s9
	s_mul_i32 s8, s26, s8
	s_lshl_b64 s[8:9], s[8:9], 3
	s_lshl_b64 s[10:11], s[22:23], 3
	s_add_u32 s8, s8, s10
	s_addc_u32 s9, s9, s11
	s_add_u32 s8, s20, s8
	v_lshlrev_b64 v[36:37], 3, v[0:1]
	s_addc_u32 s9, s21, s9
	v_cmp_gt_i32_e64 s[2:3], s29, v0
	v_add_u32_e32 v28, 16, v0
	v_mov_b32_e32 v0, s9
	v_add_co_u32_e64 v1, s[8:9], s8, v36
	s_movk_i32 s28, 0x80
	v_addc_co_u32_e64 v0, s[8:9], v0, v37, s[8:9]
	v_add_co_u32_e64 v38, s[8:9], s28, v1
	v_addc_co_u32_e64 v39, s[8:9], 0, v0, s[8:9]
	v_mov_b32_e32 v0, 0x80
	v_lshl_add_u32 v1, v20, 3, v0
	v_mad_u64_u32 v[40:41], s[8:9], s24, v1, 0
	v_mov_b32_e32 v0, v41
	v_mov_b32_e32 v3, v4
	v_mad_u64_u32 v[0:1], s[8:9], s25, v1, v[0:1]
	v_mov_b32_e32 v25, 0
	v_add_u32_e32 v65, v63, v23
	v_cmp_gt_i32_e64 s[4:5], s29, v28
	v_ashrrev_i32_e32 v29, 31, v28
	v_lshl_add_u32 v30, s7, 5, v20
	v_lshlrev_b64 v[34:35], 3, v[2:3]
	v_mov_b32_e32 v21, v0
	v_mov_b32_e32 v24, 1.0
	s_branch .LBB93_4
.LBB93_3:                               ;   in Loop: Header=BB93_4 Depth=1
	s_or_b64 exec, exec, s[10:11]
	s_add_i32 s7, s6, s7
	s_cmp_le_i32 s7, s33
	v_add_u32_e32 v30, s48, v30
	s_cbranch_scc0 .LBB93_63
.LBB93_4:                               ; =>This Loop Header: Depth=1
                                        ;     Child Loop BB93_7 Depth 2
	s_lshl_b32 s49, s7, 5
	v_add_u32_e32 v42, s49, v20
	v_ashrrev_i32_e32 v43, 31, v42
	s_cmp_lt_i32 s7, 0
	v_mov_b32_e32 v64, v25
	v_mov_b32_e32 v66, v25
	v_mov_b32_e32 v60, v25
	v_mov_b32_e32 v62, v25
	v_mov_b32_e32 v16, v25
	v_mov_b32_e32 v18, v25
	v_mov_b32_e32 v14, v25
	v_mov_b32_e32 v12, v25
	s_cbranch_scc1 .LBB93_55
; %bb.5:                                ;   in Loop: Header=BB93_4 Depth=1
	v_ashrrev_i32_e32 v31, 31, v30
	v_add_co_u32_e64 v44, s[8:9], v68, v30
	v_addc_co_u32_e64 v45, s[8:9], v69, v31, s[8:9]
	v_add_co_u32_e64 v50, s[10:11], 16, v44
	v_add_co_u32_e64 v48, s[8:9], 16, v42
	v_addc_co_u32_e64 v51, s[10:11], 0, v45, s[10:11]
	v_addc_co_u32_e64 v49, s[8:9], 0, v43, s[8:9]
	v_add_co_u32_e64 v52, s[10:11], -16, v44
	v_lshlrev_b64 v[46:47], 3, v[30:31]
	v_cmp_le_i32_e64 s[16:17], s30, v42
	v_cmp_le_i64_e64 s[8:9], s[30:31], v[48:49]
	v_addc_co_u32_e64 v53, s[10:11], -1, v45, s[10:11]
	s_mov_b64 s[20:21], 0
	v_mov_b32_e32 v12, 0
	v_pk_mov_b32 v[54:55], v[38:39], v[38:39] op_sel:[0,1]
	v_pk_mov_b32 v[56:57], v[26:27], v[26:27] op_sel:[0,1]
	;; [unrolled: 1-line block ×3, first 2 shown]
	v_mov_b32_e32 v14, 0
	v_mov_b32_e32 v18, 0
	;; [unrolled: 1-line block ×7, first 2 shown]
	s_branch .LBB93_7
.LBB93_6:                               ;   in Loop: Header=BB93_7 Depth=2
	s_or_b64 exec, exec, s[10:11]
	s_waitcnt lgkmcnt(0)
	s_barrier
	ds_read_b128 v[70:73], v23
	ds_read_b128 v[8:11], v23 offset:16
	ds_read_b128 v[4:7], v23 offset:32
	;; [unrolled: 1-line block ×3, first 2 shown]
	ds_read2_b64 v[74:77], v63 offset1:32
	ds_read_b128 v[82:85], v23 offset:4096
	ds_read2_b64 v[78:81], v67 offset1:32
	v_add_co_u32_e64 v58, s[10:11], s38, v58
	s_waitcnt lgkmcnt(2)
	v_mul_f32_e32 v13, v71, v75
	s_waitcnt lgkmcnt(1)
	v_mul_f32_e32 v31, v83, v75
	v_mul_f32_e32 v41, v82, v75
	v_fma_f32 v31, v82, v74, -v31
	v_fmac_f32_e32 v41, v83, v74
	v_add_f32_e32 v16, v16, v31
	v_add_f32_e32 v18, v18, v41
	s_waitcnt lgkmcnt(0)
	v_mul_f32_e32 v31, v83, v79
	v_mul_f32_e32 v41, v82, v79
	;; [unrolled: 1-line block ×3, first 2 shown]
	v_fma_f32 v31, v82, v78, -v31
	v_fmac_f32_e32 v41, v83, v78
	v_fma_f32 v13, v70, v74, -v13
	v_fmac_f32_e32 v15, v71, v74
	v_add_f32_e32 v14, v14, v31
	v_add_f32_e32 v12, v12, v41
	v_mul_f32_e32 v31, v73, v77
	v_mul_f32_e32 v41, v72, v77
	v_add_f32_e32 v13, v64, v13
	v_add_f32_e32 v15, v66, v15
	v_mul_f32_e32 v17, v71, v79
	v_mul_f32_e32 v19, v70, v79
	v_fma_f32 v31, v72, v76, -v31
	v_fmac_f32_e32 v41, v73, v76
	v_fma_f32 v17, v70, v78, -v17
	v_fmac_f32_e32 v19, v71, v78
	v_add_f32_e32 v31, v13, v31
	v_add_f32_e32 v41, v15, v41
	v_mul_f32_e32 v13, v73, v81
	v_mul_f32_e32 v15, v72, v81
	v_add_f32_e32 v17, v60, v17
	v_add_f32_e32 v19, v62, v19
	v_fma_f32 v13, v72, v80, -v13
	v_fmac_f32_e32 v15, v73, v80
	v_add_f32_e32 v60, v17, v13
	v_add_f32_e32 v62, v19, v15
	v_mul_f32_e32 v13, v85, v77
	v_mul_f32_e32 v15, v84, v77
	v_fma_f32 v13, v84, v76, -v13
	v_fmac_f32_e32 v15, v85, v76
	v_add_f32_e32 v64, v16, v13
	v_add_f32_e32 v66, v18, v15
	v_mul_f32_e32 v13, v85, v81
	v_mul_f32_e32 v15, v84, v81
	v_fma_f32 v13, v84, v80, -v13
	v_fmac_f32_e32 v15, v85, v80
	v_add_f32_e32 v74, v14, v13
	v_add_f32_e32 v75, v12, v15
	ds_read2_b64 v[12:15], v63 offset0:64 offset1:96
	s_add_u32 s20, s20, 32
	s_addc_u32 s21, s21, 0
	s_sub_i32 s12, s20, 32
	s_cmp_ge_i32 s12, s49
	s_waitcnt lgkmcnt(0)
	v_mul_f32_e32 v16, v9, v13
	v_mul_f32_e32 v17, v8, v13
	v_fma_f32 v16, v8, v12, -v16
	v_fmac_f32_e32 v17, v9, v12
	v_add_f32_e32 v31, v31, v16
	v_add_f32_e32 v41, v41, v17
	ds_read2_b64 v[16:19], v67 offset0:64 offset1:96
	s_waitcnt lgkmcnt(0)
	v_mul_f32_e32 v70, v9, v17
	v_fma_f32 v70, v8, v16, -v70
	v_mul_f32_e32 v8, v8, v17
	v_fmac_f32_e32 v8, v9, v16
	v_add_f32_e32 v9, v60, v70
	ds_read_b128 v[70:73], v23 offset:4112
	v_add_f32_e32 v8, v62, v8
	v_mul_f32_e32 v62, v10, v15
	v_fmac_f32_e32 v62, v11, v14
	v_add_f32_e32 v41, v41, v62
	s_waitcnt lgkmcnt(0)
	v_mul_f32_e32 v60, v71, v13
	v_fma_f32 v60, v70, v12, -v60
	v_mul_f32_e32 v13, v70, v13
	v_fmac_f32_e32 v13, v71, v12
	v_add_f32_e32 v12, v64, v60
	v_mul_f32_e32 v60, v71, v17
	v_fma_f32 v60, v70, v16, -v60
	v_mul_f32_e32 v17, v70, v17
	v_fmac_f32_e32 v17, v71, v16
	v_add_f32_e32 v16, v74, v60
	v_mul_f32_e32 v60, v11, v15
	v_fma_f32 v60, v10, v14, -v60
	v_add_f32_e32 v31, v31, v60
	v_mul_f32_e32 v60, v11, v19
	v_fma_f32 v60, v10, v18, -v60
	v_mul_f32_e32 v10, v10, v19
	v_fmac_f32_e32 v10, v11, v18
	v_add_f32_e32 v60, v9, v60
	v_add_f32_e32 v62, v8, v10
	v_mul_f32_e32 v8, v73, v15
	v_mul_f32_e32 v9, v72, v15
	v_add_f32_e32 v13, v66, v13
	v_fma_f32 v8, v72, v14, -v8
	v_fmac_f32_e32 v9, v73, v14
	v_add_f32_e32 v64, v12, v8
	v_add_f32_e32 v66, v13, v9
	v_mul_f32_e32 v8, v73, v19
	v_mul_f32_e32 v9, v72, v19
	v_add_f32_e32 v17, v75, v17
	v_fma_f32 v8, v72, v18, -v8
	v_fmac_f32_e32 v9, v73, v18
	v_add_f32_e32 v70, v16, v8
	v_add_f32_e32 v71, v17, v9
	ds_read2_b64 v[8:11], v63 offset0:128 offset1:160
	s_waitcnt lgkmcnt(0)
	v_mul_f32_e32 v12, v5, v9
	v_mul_f32_e32 v13, v4, v9
	v_fma_f32 v12, v4, v8, -v12
	v_fmac_f32_e32 v13, v5, v8
	v_add_f32_e32 v31, v31, v12
	v_add_f32_e32 v41, v41, v13
	ds_read2_b64 v[12:15], v67 offset0:128 offset1:160
	s_waitcnt lgkmcnt(0)
	v_mul_f32_e32 v16, v5, v13
	v_fma_f32 v16, v4, v12, -v16
	v_mul_f32_e32 v4, v4, v13
	v_fmac_f32_e32 v4, v5, v12
	v_add_f32_e32 v5, v60, v16
	ds_read_b128 v[16:19], v23 offset:4128
	v_add_f32_e32 v4, v62, v4
	s_waitcnt lgkmcnt(0)
	v_mul_f32_e32 v60, v17, v9
	v_fma_f32 v60, v16, v8, -v60
	v_mul_f32_e32 v9, v16, v9
	v_fmac_f32_e32 v9, v17, v8
	v_add_f32_e32 v8, v64, v60
	v_mul_f32_e32 v60, v17, v13
	v_fma_f32 v60, v16, v12, -v60
	v_mul_f32_e32 v13, v16, v13
	v_mul_f32_e32 v16, v7, v11
	v_fma_f32 v16, v6, v10, -v16
	v_add_f32_e32 v16, v31, v16
	v_mul_f32_e32 v31, v7, v15
	v_fmac_f32_e32 v13, v17, v12
	v_mul_f32_e32 v17, v6, v11
	v_fma_f32 v31, v6, v14, -v31
	v_mul_f32_e32 v6, v6, v15
	v_fmac_f32_e32 v17, v7, v10
	v_fmac_f32_e32 v6, v7, v14
	v_add_f32_e32 v17, v41, v17
	v_add_f32_e32 v31, v5, v31
	v_add_f32_e32 v41, v4, v6
	v_mul_f32_e32 v4, v19, v11
	v_mul_f32_e32 v5, v18, v11
	v_add_f32_e32 v9, v66, v9
	v_fma_f32 v4, v18, v10, -v4
	v_fmac_f32_e32 v5, v19, v10
	v_add_f32_e32 v12, v70, v60
	v_add_f32_e32 v60, v8, v4
	;; [unrolled: 1-line block ×3, first 2 shown]
	v_mul_f32_e32 v4, v19, v15
	v_mul_f32_e32 v5, v18, v15
	v_add_f32_e32 v13, v71, v13
	v_fma_f32 v4, v18, v14, -v4
	v_fmac_f32_e32 v5, v19, v14
	v_add_f32_e32 v18, v12, v4
	v_add_f32_e32 v19, v13, v5
	ds_read2_b64 v[4:7], v63 offset0:192 offset1:224
	s_waitcnt lgkmcnt(0)
	v_mul_f32_e32 v8, v1, v5
	v_mul_f32_e32 v9, v0, v5
	v_fma_f32 v8, v0, v4, -v8
	v_fmac_f32_e32 v9, v1, v4
	v_add_f32_e32 v16, v16, v8
	v_add_f32_e32 v17, v17, v9
	ds_read2_b64 v[8:11], v67 offset0:192 offset1:224
	s_waitcnt lgkmcnt(0)
	v_mul_f32_e32 v12, v1, v9
	v_fma_f32 v12, v0, v8, -v12
	v_mul_f32_e32 v0, v0, v9
	v_fmac_f32_e32 v0, v1, v8
	v_add_f32_e32 v1, v31, v12
	ds_read_b128 v[12:15], v23 offset:4144
	v_add_f32_e32 v0, v41, v0
	s_waitcnt lgkmcnt(0)
	v_mul_f32_e32 v31, v13, v5
	v_fma_f32 v31, v12, v4, -v31
	v_mul_f32_e32 v5, v12, v5
	v_fmac_f32_e32 v5, v13, v4
	v_add_f32_e32 v4, v60, v31
	v_mul_f32_e32 v31, v13, v9
	v_fma_f32 v31, v12, v8, -v31
	v_mul_f32_e32 v9, v12, v9
	v_mul_f32_e32 v12, v3, v7
	v_fma_f32 v12, v2, v6, -v12
	v_add_f32_e32 v12, v16, v12
	v_mul_f32_e32 v16, v3, v11
	v_fmac_f32_e32 v9, v13, v8
	v_mul_f32_e32 v13, v2, v7
	v_fma_f32 v16, v2, v10, -v16
	v_mul_f32_e32 v2, v2, v11
	v_fmac_f32_e32 v13, v3, v6
	v_fmac_f32_e32 v2, v3, v10
	v_add_f32_e32 v13, v17, v13
	v_add_f32_e32 v17, v0, v2
	v_mul_f32_e32 v0, v15, v7
	v_add_f32_e32 v16, v1, v16
	v_fma_f32 v0, v14, v6, -v0
	v_mul_f32_e32 v1, v14, v7
	v_add_f32_e32 v5, v62, v5
	v_add_f32_e32 v8, v18, v31
	v_fmac_f32_e32 v1, v15, v6
	v_add_f32_e32 v18, v4, v0
	v_mul_f32_e32 v0, v15, v11
	v_add_f32_e32 v9, v19, v9
	v_add_f32_e32 v19, v5, v1
	v_fma_f32 v0, v14, v10, -v0
	v_mul_f32_e32 v1, v14, v11
	v_fmac_f32_e32 v1, v15, v10
	v_add_f32_e32 v31, v8, v0
	v_add_u32_e32 v8, 0x800, v63
	v_add_f32_e32 v41, v9, v1
	ds_read_b128 v[0:3], v23 offset:64
	ds_read2_b64 v[4:7], v8 offset1:32
	s_waitcnt lgkmcnt(0)
	v_mul_f32_e32 v9, v1, v5
	v_fma_f32 v9, v0, v4, -v9
	v_mul_f32_e32 v10, v0, v5
	v_fmac_f32_e32 v10, v1, v4
	v_add_f32_e32 v60, v12, v9
	v_add_u32_e32 v9, 0x800, v67
	v_add_f32_e32 v62, v13, v10
	ds_read2_b64 v[10:13], v9 offset1:32
	s_waitcnt lgkmcnt(0)
	v_mul_f32_e32 v14, v1, v11
	v_fma_f32 v14, v0, v10, -v14
	v_mul_f32_e32 v0, v0, v11
	v_fmac_f32_e32 v0, v1, v10
	v_add_f32_e32 v1, v16, v14
	v_add_f32_e32 v0, v17, v0
	ds_read_b128 v[14:17], v23 offset:4160
	s_waitcnt lgkmcnt(0)
	v_mul_f32_e32 v64, v15, v5
	v_fma_f32 v64, v14, v4, -v64
	v_mul_f32_e32 v5, v14, v5
	v_fmac_f32_e32 v5, v15, v4
	v_add_f32_e32 v4, v18, v64
	v_mul_f32_e32 v18, v15, v11
	v_fma_f32 v18, v14, v10, -v18
	v_mul_f32_e32 v11, v14, v11
	v_fmac_f32_e32 v11, v15, v10
	v_add_f32_e32 v10, v31, v18
	v_mul_f32_e32 v14, v3, v7
	v_mul_f32_e32 v18, v3, v13
	v_fma_f32 v14, v2, v6, -v14
	v_mul_f32_e32 v15, v2, v7
	v_fma_f32 v18, v2, v12, -v18
	v_mul_f32_e32 v2, v2, v13
	v_fmac_f32_e32 v2, v3, v12
	v_add_f32_e32 v5, v19, v5
	v_add_f32_e32 v18, v1, v18
	v_add_f32_e32 v19, v0, v2
	v_mul_f32_e32 v0, v17, v7
	v_mul_f32_e32 v1, v16, v7
	v_fma_f32 v0, v16, v6, -v0
	v_fmac_f32_e32 v1, v17, v6
	v_add_f32_e32 v11, v41, v11
	v_add_f32_e32 v31, v4, v0
	;; [unrolled: 1-line block ×3, first 2 shown]
	v_mul_f32_e32 v0, v17, v13
	v_mul_f32_e32 v1, v16, v13
	v_fmac_f32_e32 v15, v3, v6
	v_fma_f32 v0, v16, v12, -v0
	v_fmac_f32_e32 v1, v17, v12
	v_add_f32_e32 v14, v60, v14
	v_add_f32_e32 v15, v62, v15
	;; [unrolled: 1-line block ×4, first 2 shown]
	ds_read_b128 v[10:13], v23 offset:80
	ds_read2_b64 v[0:3], v8 offset0:64 offset1:96
	s_waitcnt lgkmcnt(0)
	v_mul_f32_e32 v4, v11, v1
	v_mul_f32_e32 v5, v10, v1
	v_fma_f32 v4, v10, v0, -v4
	v_fmac_f32_e32 v5, v11, v0
	v_add_f32_e32 v64, v14, v4
	v_add_f32_e32 v66, v15, v5
	ds_read2_b64 v[4:7], v9 offset0:64 offset1:96
	s_waitcnt lgkmcnt(0)
	v_mul_f32_e32 v14, v11, v5
	v_fma_f32 v14, v10, v4, -v14
	v_mul_f32_e32 v10, v10, v5
	v_fmac_f32_e32 v10, v11, v4
	v_add_f32_e32 v11, v18, v14
	ds_read_b128 v[14:17], v23 offset:4176
	v_add_f32_e32 v10, v19, v10
	s_waitcnt lgkmcnt(0)
	v_mul_f32_e32 v18, v15, v1
	v_fma_f32 v18, v14, v0, -v18
	v_mul_f32_e32 v1, v14, v1
	v_fmac_f32_e32 v1, v15, v0
	v_add_f32_e32 v0, v31, v18
	v_mul_f32_e32 v18, v15, v5
	v_fma_f32 v18, v14, v4, -v18
	v_mul_f32_e32 v5, v14, v5
	v_fmac_f32_e32 v5, v15, v4
	v_add_f32_e32 v4, v60, v18
	v_mul_f32_e32 v14, v13, v3
	v_mul_f32_e32 v18, v13, v7
	v_fma_f32 v14, v12, v2, -v14
	v_mul_f32_e32 v15, v12, v3
	v_fma_f32 v18, v12, v6, -v18
	v_mul_f32_e32 v12, v12, v7
	v_fmac_f32_e32 v12, v13, v6
	v_add_f32_e32 v19, v10, v12
	v_mul_f32_e32 v10, v17, v3
	v_mul_f32_e32 v3, v16, v3
	v_add_f32_e32 v1, v41, v1
	v_fma_f32 v10, v16, v2, -v10
	v_fmac_f32_e32 v3, v17, v2
	v_add_f32_e32 v31, v0, v10
	v_add_f32_e32 v41, v1, v3
	v_mul_f32_e32 v0, v17, v7
	v_mul_f32_e32 v1, v16, v7
	v_add_f32_e32 v5, v62, v5
	v_fma_f32 v0, v16, v6, -v0
	v_fmac_f32_e32 v1, v17, v6
	v_fmac_f32_e32 v15, v13, v2
	v_add_f32_e32 v60, v4, v0
	v_add_f32_e32 v62, v5, v1
	ds_read_b128 v[0:3], v23 offset:96
	ds_read2_b64 v[4:7], v8 offset0:128 offset1:160
	v_add_f32_e32 v18, v11, v18
	v_add_f32_e32 v14, v64, v14
	;; [unrolled: 1-line block ×3, first 2 shown]
	s_waitcnt lgkmcnt(0)
	v_mul_f32_e32 v10, v1, v5
	v_mul_f32_e32 v11, v0, v5
	v_fma_f32 v10, v0, v4, -v10
	v_fmac_f32_e32 v11, v1, v4
	v_add_f32_e32 v64, v14, v10
	v_add_f32_e32 v66, v15, v11
	ds_read2_b64 v[10:13], v9 offset0:128 offset1:160
	s_waitcnt lgkmcnt(0)
	v_mul_f32_e32 v14, v1, v11
	v_fma_f32 v14, v0, v10, -v14
	v_mul_f32_e32 v0, v0, v11
	v_fmac_f32_e32 v0, v1, v10
	v_add_f32_e32 v1, v18, v14
	ds_read_b128 v[14:17], v23 offset:4192
	v_add_f32_e32 v0, v19, v0
	s_waitcnt lgkmcnt(0)
	v_mul_f32_e32 v18, v15, v5
	v_fma_f32 v18, v14, v4, -v18
	v_mul_f32_e32 v5, v14, v5
	v_fmac_f32_e32 v5, v15, v4
	v_add_f32_e32 v4, v31, v18
	v_mul_f32_e32 v18, v15, v11
	v_fma_f32 v18, v14, v10, -v18
	v_mul_f32_e32 v11, v14, v11
	v_fmac_f32_e32 v11, v15, v10
	v_add_f32_e32 v10, v60, v18
	v_mul_f32_e32 v14, v3, v7
	v_mul_f32_e32 v18, v3, v13
	v_fma_f32 v14, v2, v6, -v14
	v_mul_f32_e32 v15, v2, v7
	v_fma_f32 v18, v2, v12, -v18
	v_mul_f32_e32 v2, v2, v13
	v_fmac_f32_e32 v2, v3, v12
	v_add_f32_e32 v18, v1, v18
	v_add_f32_e32 v19, v0, v2
	v_mul_f32_e32 v0, v17, v7
	v_mul_f32_e32 v1, v16, v7
	v_add_f32_e32 v5, v41, v5
	v_fma_f32 v0, v16, v6, -v0
	v_fmac_f32_e32 v1, v17, v6
	v_add_f32_e32 v31, v4, v0
	v_add_f32_e32 v41, v5, v1
	v_mul_f32_e32 v0, v17, v13
	v_mul_f32_e32 v1, v16, v13
	v_add_f32_e32 v11, v62, v11
	v_fma_f32 v0, v16, v12, -v0
	v_fmac_f32_e32 v1, v17, v12
	v_fmac_f32_e32 v15, v3, v6
	v_add_f32_e32 v16, v10, v0
	v_add_f32_e32 v17, v11, v1
	ds_read_b128 v[10:13], v23 offset:112
	ds_read2_b64 v[0:3], v8 offset0:192 offset1:224
	v_add_f32_e32 v14, v64, v14
	v_add_f32_e32 v15, v66, v15
	s_waitcnt lgkmcnt(0)
	v_mul_f32_e32 v4, v11, v1
	v_mul_f32_e32 v5, v10, v1
	v_fma_f32 v4, v10, v0, -v4
	v_fmac_f32_e32 v5, v11, v0
	v_add_f32_e32 v14, v14, v4
	v_add_f32_e32 v15, v15, v5
	ds_read2_b64 v[4:7], v9 offset0:192 offset1:224
	s_waitcnt lgkmcnt(0)
	v_mul_f32_e32 v8, v11, v5
	v_mul_f32_e32 v9, v10, v5
	v_fma_f32 v8, v10, v4, -v8
	v_fmac_f32_e32 v9, v11, v4
	v_add_f32_e32 v18, v18, v8
	v_add_f32_e32 v19, v19, v9
	ds_read_b128 v[8:11], v23 offset:4208
	s_waitcnt lgkmcnt(0)
	v_mul_f32_e32 v60, v9, v1
	v_fma_f32 v60, v8, v0, -v60
	v_mul_f32_e32 v1, v8, v1
	v_fmac_f32_e32 v1, v9, v0
	v_add_f32_e32 v0, v31, v60
	v_mul_f32_e32 v31, v9, v5
	v_fma_f32 v31, v8, v4, -v31
	v_mul_f32_e32 v5, v8, v5
	v_mul_f32_e32 v8, v13, v3
	v_fma_f32 v8, v12, v2, -v8
	v_fmac_f32_e32 v5, v9, v4
	v_mul_f32_e32 v9, v12, v3
	v_add_f32_e32 v14, v14, v8
	v_mul_f32_e32 v8, v13, v7
	v_fmac_f32_e32 v9, v13, v2
	v_fma_f32 v8, v12, v6, -v8
	v_add_f32_e32 v9, v15, v9
	v_mul_f32_e32 v12, v12, v7
	v_add_f32_e32 v15, v18, v8
	v_mul_f32_e32 v8, v11, v3
	v_mul_f32_e32 v3, v10, v3
	v_add_f32_e32 v1, v41, v1
	v_fmac_f32_e32 v12, v13, v6
	v_fma_f32 v8, v10, v2, -v8
	v_fmac_f32_e32 v3, v11, v2
	v_add_f32_e32 v4, v16, v31
	v_add_f32_e32 v16, v19, v12
	;; [unrolled: 1-line block ×4, first 2 shown]
	v_mul_f32_e32 v0, v11, v7
	v_mul_f32_e32 v1, v10, v7
	v_add_f32_e32 v5, v17, v5
	v_fma_f32 v0, v10, v6, -v0
	v_fmac_f32_e32 v1, v11, v6
	v_add_u32_e32 v8, 0x1000, v63
	v_add_f32_e32 v31, v4, v0
	v_add_f32_e32 v41, v5, v1
	ds_read_b128 v[0:3], v23 offset:128
	ds_read2_b64 v[4:7], v8 offset1:32
	s_waitcnt lgkmcnt(0)
	v_mul_f32_e32 v11, v0, v5
	v_mul_f32_e32 v10, v1, v5
	v_fmac_f32_e32 v11, v1, v4
	v_fma_f32 v10, v0, v4, -v10
	v_add_f32_e32 v62, v9, v11
	v_add_u32_e32 v9, 0x1000, v67
	v_add_f32_e32 v60, v14, v10
	ds_read2_b64 v[10:13], v9 offset1:32
	s_waitcnt lgkmcnt(0)
	v_mul_f32_e32 v14, v1, v11
	v_fma_f32 v14, v0, v10, -v14
	v_mul_f32_e32 v0, v0, v11
	v_fmac_f32_e32 v0, v1, v10
	v_add_f32_e32 v1, v15, v14
	v_add_f32_e32 v0, v16, v0
	ds_read_b128 v[14:17], v23 offset:4224
	s_waitcnt lgkmcnt(0)
	v_mul_f32_e32 v64, v15, v5
	v_fma_f32 v64, v14, v4, -v64
	v_mul_f32_e32 v5, v14, v5
	v_fmac_f32_e32 v5, v15, v4
	v_add_f32_e32 v4, v18, v64
	v_mul_f32_e32 v18, v15, v11
	v_fma_f32 v18, v14, v10, -v18
	v_mul_f32_e32 v11, v14, v11
	v_fmac_f32_e32 v11, v15, v10
	v_add_f32_e32 v10, v31, v18
	v_mul_f32_e32 v14, v3, v7
	v_mul_f32_e32 v18, v3, v13
	v_fma_f32 v14, v2, v6, -v14
	v_mul_f32_e32 v15, v2, v7
	v_fma_f32 v18, v2, v12, -v18
	v_mul_f32_e32 v2, v2, v13
	v_fmac_f32_e32 v2, v3, v12
	v_add_f32_e32 v5, v19, v5
	v_add_f32_e32 v18, v1, v18
	;; [unrolled: 1-line block ×3, first 2 shown]
	v_mul_f32_e32 v0, v17, v7
	v_mul_f32_e32 v1, v16, v7
	v_fma_f32 v0, v16, v6, -v0
	v_fmac_f32_e32 v1, v17, v6
	v_add_f32_e32 v11, v41, v11
	v_add_f32_e32 v31, v4, v0
	;; [unrolled: 1-line block ×3, first 2 shown]
	v_mul_f32_e32 v0, v17, v13
	v_mul_f32_e32 v1, v16, v13
	v_fmac_f32_e32 v15, v3, v6
	v_fma_f32 v0, v16, v12, -v0
	v_fmac_f32_e32 v1, v17, v12
	v_add_f32_e32 v14, v60, v14
	v_add_f32_e32 v15, v62, v15
	;; [unrolled: 1-line block ×4, first 2 shown]
	ds_read_b128 v[10:13], v23 offset:144
	ds_read2_b64 v[0:3], v8 offset0:64 offset1:96
	s_waitcnt lgkmcnt(0)
	v_mul_f32_e32 v4, v11, v1
	v_mul_f32_e32 v5, v10, v1
	v_fma_f32 v4, v10, v0, -v4
	v_fmac_f32_e32 v5, v11, v0
	v_add_f32_e32 v64, v14, v4
	v_add_f32_e32 v66, v15, v5
	ds_read2_b64 v[4:7], v9 offset0:64 offset1:96
	s_waitcnt lgkmcnt(0)
	v_mul_f32_e32 v14, v11, v5
	v_fma_f32 v14, v10, v4, -v14
	v_mul_f32_e32 v10, v10, v5
	v_fmac_f32_e32 v10, v11, v4
	v_add_f32_e32 v11, v18, v14
	ds_read_b128 v[14:17], v23 offset:4240
	v_add_f32_e32 v10, v19, v10
	s_waitcnt lgkmcnt(0)
	v_mul_f32_e32 v18, v15, v1
	v_fma_f32 v18, v14, v0, -v18
	v_mul_f32_e32 v1, v14, v1
	v_fmac_f32_e32 v1, v15, v0
	v_add_f32_e32 v0, v31, v18
	v_mul_f32_e32 v18, v15, v5
	v_fma_f32 v18, v14, v4, -v18
	v_mul_f32_e32 v5, v14, v5
	v_fmac_f32_e32 v5, v15, v4
	v_add_f32_e32 v4, v60, v18
	v_mul_f32_e32 v14, v13, v3
	v_mul_f32_e32 v18, v13, v7
	v_fma_f32 v14, v12, v2, -v14
	v_mul_f32_e32 v15, v12, v3
	v_fma_f32 v18, v12, v6, -v18
	v_mul_f32_e32 v12, v12, v7
	v_fmac_f32_e32 v12, v13, v6
	v_add_f32_e32 v19, v10, v12
	v_mul_f32_e32 v10, v17, v3
	v_mul_f32_e32 v3, v16, v3
	v_add_f32_e32 v1, v41, v1
	v_fma_f32 v10, v16, v2, -v10
	v_fmac_f32_e32 v3, v17, v2
	v_add_f32_e32 v31, v0, v10
	v_add_f32_e32 v41, v1, v3
	v_mul_f32_e32 v0, v17, v7
	v_mul_f32_e32 v1, v16, v7
	v_add_f32_e32 v5, v62, v5
	v_fma_f32 v0, v16, v6, -v0
	v_fmac_f32_e32 v1, v17, v6
	v_fmac_f32_e32 v15, v13, v2
	v_add_f32_e32 v60, v4, v0
	v_add_f32_e32 v62, v5, v1
	ds_read_b128 v[0:3], v23 offset:160
	ds_read2_b64 v[4:7], v8 offset0:128 offset1:160
	v_add_f32_e32 v18, v11, v18
	v_add_f32_e32 v14, v64, v14
	;; [unrolled: 1-line block ×3, first 2 shown]
	s_waitcnt lgkmcnt(0)
	v_mul_f32_e32 v10, v1, v5
	v_mul_f32_e32 v11, v0, v5
	v_fma_f32 v10, v0, v4, -v10
	v_fmac_f32_e32 v11, v1, v4
	v_add_f32_e32 v64, v14, v10
	v_add_f32_e32 v66, v15, v11
	ds_read2_b64 v[10:13], v9 offset0:128 offset1:160
	s_waitcnt lgkmcnt(0)
	v_mul_f32_e32 v14, v1, v11
	v_fma_f32 v14, v0, v10, -v14
	v_mul_f32_e32 v0, v0, v11
	v_fmac_f32_e32 v0, v1, v10
	v_add_f32_e32 v1, v18, v14
	ds_read_b128 v[14:17], v23 offset:4256
	v_add_f32_e32 v0, v19, v0
	s_waitcnt lgkmcnt(0)
	v_mul_f32_e32 v18, v15, v5
	v_fma_f32 v18, v14, v4, -v18
	v_mul_f32_e32 v5, v14, v5
	v_fmac_f32_e32 v5, v15, v4
	v_add_f32_e32 v4, v31, v18
	v_mul_f32_e32 v18, v15, v11
	v_fma_f32 v18, v14, v10, -v18
	v_mul_f32_e32 v11, v14, v11
	v_fmac_f32_e32 v11, v15, v10
	v_add_f32_e32 v10, v60, v18
	v_mul_f32_e32 v14, v3, v7
	v_mul_f32_e32 v18, v3, v13
	v_fma_f32 v14, v2, v6, -v14
	v_mul_f32_e32 v15, v2, v7
	v_fma_f32 v18, v2, v12, -v18
	v_mul_f32_e32 v2, v2, v13
	v_fmac_f32_e32 v2, v3, v12
	v_add_f32_e32 v18, v1, v18
	v_add_f32_e32 v19, v0, v2
	v_mul_f32_e32 v0, v17, v7
	v_mul_f32_e32 v1, v16, v7
	v_add_f32_e32 v5, v41, v5
	v_fma_f32 v0, v16, v6, -v0
	v_fmac_f32_e32 v1, v17, v6
	v_add_f32_e32 v31, v4, v0
	v_add_f32_e32 v41, v5, v1
	v_mul_f32_e32 v0, v17, v13
	v_mul_f32_e32 v1, v16, v13
	v_add_f32_e32 v11, v62, v11
	v_fma_f32 v0, v16, v12, -v0
	v_fmac_f32_e32 v1, v17, v12
	v_fmac_f32_e32 v15, v3, v6
	v_add_f32_e32 v16, v10, v0
	v_add_f32_e32 v17, v11, v1
	ds_read_b128 v[10:13], v23 offset:176
	ds_read2_b64 v[0:3], v8 offset0:192 offset1:224
	v_add_f32_e32 v14, v64, v14
	v_add_f32_e32 v15, v66, v15
	s_waitcnt lgkmcnt(0)
	v_mul_f32_e32 v4, v11, v1
	v_mul_f32_e32 v5, v10, v1
	v_fma_f32 v4, v10, v0, -v4
	v_fmac_f32_e32 v5, v11, v0
	v_add_f32_e32 v14, v14, v4
	v_add_f32_e32 v15, v15, v5
	ds_read2_b64 v[4:7], v9 offset0:192 offset1:224
	s_waitcnt lgkmcnt(0)
	v_mul_f32_e32 v8, v11, v5
	v_mul_f32_e32 v9, v10, v5
	v_fma_f32 v8, v10, v4, -v8
	v_fmac_f32_e32 v9, v11, v4
	v_add_f32_e32 v18, v18, v8
	v_add_f32_e32 v19, v19, v9
	ds_read_b128 v[8:11], v23 offset:4272
	s_waitcnt lgkmcnt(0)
	v_mul_f32_e32 v60, v9, v1
	v_fma_f32 v60, v8, v0, -v60
	v_mul_f32_e32 v1, v8, v1
	v_fmac_f32_e32 v1, v9, v0
	v_add_f32_e32 v0, v31, v60
	v_mul_f32_e32 v31, v9, v5
	v_fma_f32 v31, v8, v4, -v31
	v_mul_f32_e32 v5, v8, v5
	v_mul_f32_e32 v8, v13, v3
	v_fma_f32 v8, v12, v2, -v8
	v_fmac_f32_e32 v5, v9, v4
	v_mul_f32_e32 v9, v12, v3
	v_add_f32_e32 v14, v14, v8
	v_mul_f32_e32 v8, v13, v7
	v_fmac_f32_e32 v9, v13, v2
	v_fma_f32 v8, v12, v6, -v8
	v_add_f32_e32 v9, v15, v9
	v_mul_f32_e32 v12, v12, v7
	v_add_f32_e32 v15, v18, v8
	v_mul_f32_e32 v8, v11, v3
	v_mul_f32_e32 v3, v10, v3
	v_add_f32_e32 v1, v41, v1
	v_fmac_f32_e32 v12, v13, v6
	v_fma_f32 v8, v10, v2, -v8
	v_fmac_f32_e32 v3, v11, v2
	v_add_f32_e32 v4, v16, v31
	v_add_f32_e32 v16, v19, v12
	;; [unrolled: 1-line block ×4, first 2 shown]
	v_mul_f32_e32 v0, v11, v7
	v_mul_f32_e32 v1, v10, v7
	v_add_f32_e32 v5, v17, v5
	v_fma_f32 v0, v10, v6, -v0
	v_fmac_f32_e32 v1, v11, v6
	v_add_u32_e32 v8, 0x1800, v63
	v_add_f32_e32 v31, v4, v0
	v_add_f32_e32 v41, v5, v1
	ds_read_b128 v[0:3], v23 offset:192
	ds_read2_b64 v[4:7], v8 offset1:32
	s_waitcnt lgkmcnt(0)
	v_mul_f32_e32 v11, v0, v5
	v_mul_f32_e32 v10, v1, v5
	v_fmac_f32_e32 v11, v1, v4
	v_fma_f32 v10, v0, v4, -v10
	v_add_f32_e32 v62, v9, v11
	v_add_u32_e32 v9, 0x1800, v67
	v_add_f32_e32 v60, v14, v10
	ds_read2_b64 v[10:13], v9 offset1:32
	s_waitcnt lgkmcnt(0)
	v_mul_f32_e32 v14, v1, v11
	v_fma_f32 v14, v0, v10, -v14
	v_mul_f32_e32 v0, v0, v11
	v_fmac_f32_e32 v0, v1, v10
	v_add_f32_e32 v1, v15, v14
	v_add_f32_e32 v0, v16, v0
	ds_read_b128 v[14:17], v23 offset:4288
	s_waitcnt lgkmcnt(0)
	v_mul_f32_e32 v64, v15, v5
	v_fma_f32 v64, v14, v4, -v64
	v_mul_f32_e32 v5, v14, v5
	v_fmac_f32_e32 v5, v15, v4
	v_add_f32_e32 v4, v18, v64
	v_mul_f32_e32 v18, v15, v11
	v_fma_f32 v18, v14, v10, -v18
	v_mul_f32_e32 v11, v14, v11
	v_fmac_f32_e32 v11, v15, v10
	v_add_f32_e32 v10, v31, v18
	v_mul_f32_e32 v14, v3, v7
	v_mul_f32_e32 v18, v3, v13
	v_fma_f32 v14, v2, v6, -v14
	v_mul_f32_e32 v15, v2, v7
	v_fma_f32 v18, v2, v12, -v18
	v_mul_f32_e32 v2, v2, v13
	v_fmac_f32_e32 v2, v3, v12
	v_add_f32_e32 v5, v19, v5
	v_add_f32_e32 v18, v1, v18
	;; [unrolled: 1-line block ×3, first 2 shown]
	v_mul_f32_e32 v0, v17, v7
	v_mul_f32_e32 v1, v16, v7
	v_fma_f32 v0, v16, v6, -v0
	v_fmac_f32_e32 v1, v17, v6
	v_add_f32_e32 v11, v41, v11
	v_add_f32_e32 v31, v4, v0
	;; [unrolled: 1-line block ×3, first 2 shown]
	v_mul_f32_e32 v0, v17, v13
	v_mul_f32_e32 v1, v16, v13
	v_fmac_f32_e32 v15, v3, v6
	v_fma_f32 v0, v16, v12, -v0
	v_fmac_f32_e32 v1, v17, v12
	v_add_f32_e32 v14, v60, v14
	v_add_f32_e32 v15, v62, v15
	;; [unrolled: 1-line block ×4, first 2 shown]
	ds_read_b128 v[10:13], v23 offset:208
	ds_read2_b64 v[0:3], v8 offset0:64 offset1:96
	s_waitcnt lgkmcnt(0)
	v_mul_f32_e32 v4, v11, v1
	v_mul_f32_e32 v5, v10, v1
	v_fma_f32 v4, v10, v0, -v4
	v_fmac_f32_e32 v5, v11, v0
	v_add_f32_e32 v64, v14, v4
	v_add_f32_e32 v66, v15, v5
	ds_read2_b64 v[4:7], v9 offset0:64 offset1:96
	s_waitcnt lgkmcnt(0)
	v_mul_f32_e32 v14, v11, v5
	v_fma_f32 v14, v10, v4, -v14
	v_mul_f32_e32 v10, v10, v5
	v_fmac_f32_e32 v10, v11, v4
	v_add_f32_e32 v11, v18, v14
	ds_read_b128 v[14:17], v23 offset:4304
	v_add_f32_e32 v10, v19, v10
	s_waitcnt lgkmcnt(0)
	v_mul_f32_e32 v18, v15, v1
	v_fma_f32 v18, v14, v0, -v18
	v_mul_f32_e32 v1, v14, v1
	v_fmac_f32_e32 v1, v15, v0
	v_add_f32_e32 v0, v31, v18
	v_mul_f32_e32 v18, v15, v5
	v_fma_f32 v18, v14, v4, -v18
	v_mul_f32_e32 v5, v14, v5
	v_fmac_f32_e32 v5, v15, v4
	v_add_f32_e32 v4, v60, v18
	v_mul_f32_e32 v14, v13, v3
	v_mul_f32_e32 v18, v13, v7
	v_fma_f32 v14, v12, v2, -v14
	v_mul_f32_e32 v15, v12, v3
	v_fma_f32 v18, v12, v6, -v18
	v_mul_f32_e32 v12, v12, v7
	v_fmac_f32_e32 v12, v13, v6
	v_add_f32_e32 v19, v10, v12
	v_mul_f32_e32 v10, v17, v3
	v_mul_f32_e32 v3, v16, v3
	v_add_f32_e32 v1, v41, v1
	v_fma_f32 v10, v16, v2, -v10
	v_fmac_f32_e32 v3, v17, v2
	v_add_f32_e32 v31, v0, v10
	v_add_f32_e32 v41, v1, v3
	v_mul_f32_e32 v0, v17, v7
	v_mul_f32_e32 v1, v16, v7
	v_add_f32_e32 v5, v62, v5
	v_fma_f32 v0, v16, v6, -v0
	v_fmac_f32_e32 v1, v17, v6
	v_fmac_f32_e32 v15, v13, v2
	v_add_f32_e32 v60, v4, v0
	v_add_f32_e32 v62, v5, v1
	ds_read_b128 v[0:3], v23 offset:224
	ds_read2_b64 v[4:7], v8 offset0:128 offset1:160
	v_add_f32_e32 v18, v11, v18
	v_add_f32_e32 v14, v64, v14
	;; [unrolled: 1-line block ×3, first 2 shown]
	s_waitcnt lgkmcnt(0)
	v_mul_f32_e32 v10, v1, v5
	v_mul_f32_e32 v11, v0, v5
	v_fma_f32 v10, v0, v4, -v10
	v_fmac_f32_e32 v11, v1, v4
	v_add_f32_e32 v64, v14, v10
	v_add_f32_e32 v66, v15, v11
	ds_read2_b64 v[10:13], v9 offset0:128 offset1:160
	s_waitcnt lgkmcnt(0)
	v_mul_f32_e32 v14, v1, v11
	v_fma_f32 v14, v0, v10, -v14
	v_mul_f32_e32 v0, v0, v11
	v_fmac_f32_e32 v0, v1, v10
	v_add_f32_e32 v1, v18, v14
	ds_read_b128 v[14:17], v23 offset:4320
	v_add_f32_e32 v0, v19, v0
	s_waitcnt lgkmcnt(0)
	v_mul_f32_e32 v18, v15, v5
	v_fma_f32 v18, v14, v4, -v18
	v_mul_f32_e32 v5, v14, v5
	v_fmac_f32_e32 v5, v15, v4
	v_add_f32_e32 v4, v31, v18
	v_mul_f32_e32 v18, v15, v11
	v_fma_f32 v18, v14, v10, -v18
	v_mul_f32_e32 v11, v14, v11
	v_fmac_f32_e32 v11, v15, v10
	v_add_f32_e32 v10, v60, v18
	v_mul_f32_e32 v14, v3, v7
	v_mul_f32_e32 v18, v3, v13
	v_fma_f32 v14, v2, v6, -v14
	v_mul_f32_e32 v15, v2, v7
	v_fma_f32 v18, v2, v12, -v18
	v_mul_f32_e32 v2, v2, v13
	v_fmac_f32_e32 v2, v3, v12
	v_add_f32_e32 v18, v1, v18
	v_add_f32_e32 v19, v0, v2
	v_mul_f32_e32 v0, v17, v7
	v_mul_f32_e32 v1, v16, v7
	v_add_f32_e32 v5, v41, v5
	v_fma_f32 v0, v16, v6, -v0
	v_fmac_f32_e32 v1, v17, v6
	v_add_f32_e32 v31, v4, v0
	v_add_f32_e32 v41, v5, v1
	v_mul_f32_e32 v0, v17, v13
	v_mul_f32_e32 v1, v16, v13
	v_add_f32_e32 v11, v62, v11
	v_fma_f32 v0, v16, v12, -v0
	v_fmac_f32_e32 v1, v17, v12
	v_fmac_f32_e32 v15, v3, v6
	v_add_f32_e32 v16, v10, v0
	v_add_f32_e32 v17, v11, v1
	ds_read_b128 v[10:13], v23 offset:240
	ds_read2_b64 v[0:3], v8 offset0:192 offset1:224
	v_add_f32_e32 v14, v64, v14
	v_add_f32_e32 v15, v66, v15
	s_waitcnt lgkmcnt(0)
	v_mul_f32_e32 v4, v11, v1
	v_mul_f32_e32 v5, v10, v1
	v_fma_f32 v4, v10, v0, -v4
	v_fmac_f32_e32 v5, v11, v0
	v_add_f32_e32 v14, v14, v4
	v_add_f32_e32 v15, v15, v5
	ds_read2_b64 v[4:7], v9 offset0:192 offset1:224
	s_waitcnt lgkmcnt(0)
	v_mul_f32_e32 v8, v11, v5
	v_mul_f32_e32 v9, v10, v5
	v_fma_f32 v8, v10, v4, -v8
	v_fmac_f32_e32 v9, v11, v4
	v_add_f32_e32 v18, v18, v8
	v_add_f32_e32 v19, v19, v9
	ds_read_b128 v[8:11], v23 offset:4336
	s_waitcnt lgkmcnt(0)
	s_barrier
	v_mul_f32_e32 v60, v9, v1
	v_fma_f32 v60, v8, v0, -v60
	v_mul_f32_e32 v1, v8, v1
	v_fmac_f32_e32 v1, v9, v0
	v_add_f32_e32 v0, v31, v60
	v_mul_f32_e32 v31, v9, v5
	v_fma_f32 v31, v8, v4, -v31
	v_mul_f32_e32 v5, v8, v5
	v_mul_f32_e32 v8, v13, v3
	v_fma_f32 v8, v12, v2, -v8
	v_add_f32_e32 v64, v14, v8
	v_mul_f32_e32 v8, v13, v7
	v_fma_f32 v8, v12, v6, -v8
	v_add_f32_e32 v60, v18, v8
	v_mul_f32_e32 v8, v11, v3
	v_fma_f32 v8, v10, v2, -v8
	v_fmac_f32_e32 v5, v9, v4
	v_add_f32_e32 v4, v16, v31
	v_add_f32_e32 v16, v0, v8
	v_mul_f32_e32 v0, v11, v7
	v_fma_f32 v0, v10, v6, -v0
	v_add_f32_e32 v14, v4, v0
	v_mov_b32_e32 v0, s39
	v_mul_f32_e32 v9, v12, v3
	v_mul_f32_e32 v3, v10, v3
	v_addc_co_u32_e64 v59, s[10:11], v59, v0, s[10:11]
	v_add_f32_e32 v1, v41, v1
	v_fmac_f32_e32 v9, v13, v2
	v_fmac_f32_e32 v3, v11, v2
	v_add_co_u32_e64 v56, s[10:11], s38, v56
	v_add_f32_e32 v66, v15, v9
	v_mul_f32_e32 v9, v12, v7
	v_add_f32_e32 v18, v1, v3
	v_mul_f32_e32 v1, v10, v7
	v_addc_co_u32_e64 v57, s[10:11], v57, v0, s[10:11]
	v_add_f32_e32 v5, v17, v5
	v_fmac_f32_e32 v9, v13, v6
	v_fmac_f32_e32 v1, v11, v6
	v_add_co_u32_e64 v54, s[10:11], s42, v54
	v_mov_b32_e32 v0, s43
	v_add_f32_e32 v62, v19, v9
	v_add_f32_e32 v12, v5, v1
	v_addc_co_u32_e64 v55, s[10:11], v55, v0, s[10:11]
	s_cbranch_scc1 .LBB93_55
.LBB93_7:                               ;   Parent Loop BB93_4 Depth=1
                                        ; =>  This Inner Loop Header: Depth=2
	v_mov_b32_e32 v0, s21
	v_add_co_u32_e64 v2, s[10:11], s20, v22
	v_addc_co_u32_e64 v3, s[10:11], 0, v0, s[10:11]
	v_add_co_u32_e64 v0, s[10:11], v56, v46
	v_addc_co_u32_e64 v1, s[10:11], v57, v47, s[10:11]
	v_cmp_eq_u64_e64 s[10:11], s[20:21], v[44:45]
	s_and_b64 s[24:25], s[36:37], s[10:11]
	v_cmp_gt_i64_e64 s[10:11], v[2:3], v[42:43]
	s_or_b64 s[14:15], s[16:17], s[10:11]
	v_cmp_le_i64_e64 s[12:13], s[30:31], v[2:3]
	s_or_b64 s[14:15], s[14:15], s[24:25]
	s_or_b64 s[14:15], s[12:13], s[14:15]
	s_xor_b64 s[14:15], s[14:15], -1
	s_and_saveexec_b64 s[18:19], s[14:15]
	s_xor_b64 s[14:15], exec, s[18:19]
	s_cbranch_execz .LBB93_9
; %bb.8:                                ;   in Loop: Header=BB93_7 Depth=2
	global_load_dwordx2 v[4:5], v[0:1], off
	s_waitcnt vmcnt(0)
	v_xor_b32_e32 v5, 0x80000000, v5
	ds_write_b64 v61, v[4:5]
.LBB93_9:                               ;   in Loop: Header=BB93_7 Depth=2
	s_or_saveexec_b64 s[14:15], s[14:15]
	s_xor_b64 s[22:23], s[24:25], -1
	s_xor_b64 exec, exec, s[14:15]
	s_cbranch_execz .LBB93_15
; %bb.10:                               ;   in Loop: Header=BB93_7 Depth=2
	s_and_saveexec_b64 s[18:19], s[22:23]
	s_xor_b64 s[18:19], exec, s[18:19]
	s_cbranch_execz .LBB93_12
; %bb.11:                               ;   in Loop: Header=BB93_7 Depth=2
	v_mov_b32_e32 v4, v25
	v_mov_b32_e32 v5, v25
	ds_write_b64 v61, v[4:5]
.LBB93_12:                              ;   in Loop: Header=BB93_7 Depth=2
	s_andn2_saveexec_b64 s[18:19], s[18:19]
	s_cbranch_execz .LBB93_14
; %bb.13:                               ;   in Loop: Header=BB93_7 Depth=2
	ds_write_b64 v61, v[24:25]
.LBB93_14:                              ;   in Loop: Header=BB93_7 Depth=2
	s_or_b64 exec, exec, s[18:19]
.LBB93_15:                              ;   in Loop: Header=BB93_7 Depth=2
	s_or_b64 exec, exec, s[14:15]
	v_add_co_u32_e64 v4, s[14:15], 16, v2
	v_addc_co_u32_e64 v5, s[14:15], 0, v3, s[14:15]
	v_cmp_eq_u64_e64 s[14:15], s[20:21], v[52:53]
	v_cmp_gt_i64_e64 s[18:19], v[4:5], v[42:43]
	s_and_b64 s[26:27], s[36:37], s[14:15]
	s_or_b64 s[18:19], s[16:17], s[18:19]
	v_cmp_le_i64_e64 s[14:15], s[30:31], v[4:5]
	s_or_b64 s[18:19], s[18:19], s[26:27]
	s_or_b64 s[18:19], s[14:15], s[18:19]
	s_xor_b64 s[18:19], s[18:19], -1
	s_and_saveexec_b64 s[28:29], s[18:19]
	s_xor_b64 s[28:29], exec, s[28:29]
	s_cbranch_execz .LBB93_17
; %bb.16:                               ;   in Loop: Header=BB93_7 Depth=2
	v_add_co_u32_e64 v4, s[18:19], v58, v46
	v_addc_co_u32_e64 v5, s[18:19], v59, v47, s[18:19]
	global_load_dwordx2 v[4:5], v[4:5], off
	s_waitcnt vmcnt(0)
	v_xor_b32_e32 v5, 0x80000000, v5
	ds_write_b64 v61, v[4:5] offset:128
.LBB93_17:                              ;   in Loop: Header=BB93_7 Depth=2
	s_andn2_saveexec_b64 s[18:19], s[28:29]
	s_cbranch_execz .LBB93_23
; %bb.18:                               ;   in Loop: Header=BB93_7 Depth=2
	s_xor_b64 s[26:27], s[26:27], -1
	s_and_saveexec_b64 s[28:29], s[26:27]
	s_xor_b64 s[26:27], exec, s[28:29]
	s_cbranch_execz .LBB93_20
; %bb.19:                               ;   in Loop: Header=BB93_7 Depth=2
	v_mov_b32_e32 v4, v25
	v_mov_b32_e32 v5, v25
	ds_write_b64 v61, v[4:5] offset:128
.LBB93_20:                              ;   in Loop: Header=BB93_7 Depth=2
	s_andn2_saveexec_b64 s[26:27], s[26:27]
	s_cbranch_execz .LBB93_22
; %bb.21:                               ;   in Loop: Header=BB93_7 Depth=2
	ds_write_b64 v61, v[24:25] offset:128
.LBB93_22:                              ;   in Loop: Header=BB93_7 Depth=2
	s_or_b64 exec, exec, s[26:27]
.LBB93_23:                              ;   in Loop: Header=BB93_7 Depth=2
	s_or_b64 exec, exec, s[18:19]
	v_cmp_eq_u64_e64 s[18:19], s[20:21], v[50:51]
	s_and_b64 s[26:27], s[36:37], s[18:19]
	v_cmp_gt_i64_e64 s[18:19], v[2:3], v[48:49]
	s_or_b64 s[18:19], s[8:9], s[18:19]
	s_or_b64 s[18:19], s[18:19], s[26:27]
	s_or_b64 s[12:13], s[12:13], s[18:19]
	s_xor_b64 s[12:13], s[12:13], -1
	s_and_saveexec_b64 s[18:19], s[12:13]
	s_xor_b64 s[12:13], exec, s[18:19]
	s_cbranch_execz .LBB93_25
; %bb.24:                               ;   in Loop: Header=BB93_7 Depth=2
	global_load_dwordx2 v[0:1], v[0:1], off offset:128
	s_waitcnt vmcnt(0)
	v_xor_b32_e32 v1, 0x80000000, v1
	ds_write_b64 v61, v[0:1] offset:4096
.LBB93_25:                              ;   in Loop: Header=BB93_7 Depth=2
	s_andn2_saveexec_b64 s[12:13], s[12:13]
	s_cbranch_execz .LBB93_31
; %bb.26:                               ;   in Loop: Header=BB93_7 Depth=2
	s_xor_b64 s[18:19], s[26:27], -1
	s_and_saveexec_b64 s[26:27], s[18:19]
	s_xor_b64 s[18:19], exec, s[26:27]
	s_cbranch_execz .LBB93_28
; %bb.27:                               ;   in Loop: Header=BB93_7 Depth=2
	v_mov_b32_e32 v0, v25
	v_mov_b32_e32 v1, v25
	ds_write_b64 v61, v[0:1] offset:4096
.LBB93_28:                              ;   in Loop: Header=BB93_7 Depth=2
	s_andn2_saveexec_b64 s[18:19], s[18:19]
	s_cbranch_execz .LBB93_30
; %bb.29:                               ;   in Loop: Header=BB93_7 Depth=2
	ds_write_b64 v61, v[24:25] offset:4096
.LBB93_30:                              ;   in Loop: Header=BB93_7 Depth=2
	s_or_b64 exec, exec, s[18:19]
.LBB93_31:                              ;   in Loop: Header=BB93_7 Depth=2
	s_or_b64 exec, exec, s[12:13]
	s_or_b64 s[10:11], s[8:9], s[10:11]
	s_or_b64 s[10:11], s[10:11], s[24:25]
	;; [unrolled: 1-line block ×3, first 2 shown]
	s_xor_b64 s[10:11], s[10:11], -1
	s_and_saveexec_b64 s[12:13], s[10:11]
	s_xor_b64 s[12:13], exec, s[12:13]
	s_cbranch_execz .LBB93_33
; %bb.32:                               ;   in Loop: Header=BB93_7 Depth=2
	v_add_co_u32_e64 v0, s[10:11], v58, v46
	v_addc_co_u32_e64 v1, s[10:11], v59, v47, s[10:11]
	global_load_dwordx2 v[0:1], v[0:1], off offset:128
	s_waitcnt vmcnt(0)
	v_xor_b32_e32 v1, 0x80000000, v1
	ds_write_b64 v61, v[0:1] offset:4224
.LBB93_33:                              ;   in Loop: Header=BB93_7 Depth=2
	s_andn2_saveexec_b64 s[10:11], s[12:13]
	s_cbranch_execz .LBB93_39
; %bb.34:                               ;   in Loop: Header=BB93_7 Depth=2
	s_and_saveexec_b64 s[12:13], s[22:23]
	s_xor_b64 s[12:13], exec, s[12:13]
	s_cbranch_execz .LBB93_36
; %bb.35:                               ;   in Loop: Header=BB93_7 Depth=2
	v_mov_b32_e32 v0, v25
	v_mov_b32_e32 v1, v25
	ds_write_b64 v61, v[0:1] offset:4224
.LBB93_36:                              ;   in Loop: Header=BB93_7 Depth=2
	s_andn2_saveexec_b64 s[12:13], s[12:13]
	s_cbranch_execz .LBB93_38
; %bb.37:                               ;   in Loop: Header=BB93_7 Depth=2
	ds_write_b64 v61, v[24:25] offset:4224
.LBB93_38:                              ;   in Loop: Header=BB93_7 Depth=2
	s_or_b64 exec, exec, s[12:13]
.LBB93_39:                              ;   in Loop: Header=BB93_7 Depth=2
	s_or_b64 exec, exec, s[10:11]
	v_mov_b32_e32 v1, s21
	v_add_co_u32_e64 v0, s[10:11], s20, v20
	v_addc_co_u32_e64 v1, s[10:11], 0, v1, s[10:11]
	v_add_co_u32_e64 v2, s[10:11], v54, v34
	v_addc_co_u32_e64 v3, s[10:11], v55, v35, s[10:11]
	v_cmp_le_i64_e64 s[10:11], s[30:31], v[0:1]
	s_or_b64 s[12:13], s[10:11], vcc
	s_xor_b64 s[12:13], s[12:13], -1
	s_and_saveexec_b64 s[14:15], s[12:13]
	s_xor_b64 s[12:13], exec, s[14:15]
	s_cbranch_execz .LBB93_41
; %bb.40:                               ;   in Loop: Header=BB93_7 Depth=2
	global_load_dwordx2 v[4:5], v[2:3], off offset:-128
	s_waitcnt vmcnt(0)
	ds_write_b64 v65, v[4:5]
.LBB93_41:                              ;   in Loop: Header=BB93_7 Depth=2
	s_andn2_saveexec_b64 s[12:13], s[12:13]
	s_cbranch_execz .LBB93_43
; %bb.42:                               ;   in Loop: Header=BB93_7 Depth=2
	v_mov_b32_e32 v4, v25
	v_mov_b32_e32 v5, v25
	ds_write_b64 v65, v[4:5]
.LBB93_43:                              ;   in Loop: Header=BB93_7 Depth=2
	s_or_b64 exec, exec, s[12:13]
	s_or_b64 s[10:11], s[10:11], s[0:1]
	s_xor_b64 s[10:11], s[10:11], -1
	s_and_saveexec_b64 s[12:13], s[10:11]
	s_xor_b64 s[10:11], exec, s[12:13]
	s_cbranch_execz .LBB93_45
; %bb.44:                               ;   in Loop: Header=BB93_7 Depth=2
	global_load_dwordx2 v[2:3], v[2:3], off
	s_waitcnt vmcnt(0)
	ds_write_b64 v65, v[2:3] offset:128
.LBB93_45:                              ;   in Loop: Header=BB93_7 Depth=2
	s_andn2_saveexec_b64 s[10:11], s[10:11]
	s_cbranch_execz .LBB93_47
; %bb.46:                               ;   in Loop: Header=BB93_7 Depth=2
	v_mov_b32_e32 v2, v25
	v_mov_b32_e32 v3, v25
	ds_write_b64 v65, v[2:3] offset:128
.LBB93_47:                              ;   in Loop: Header=BB93_7 Depth=2
	s_or_b64 exec, exec, s[10:11]
	v_cmp_le_i64_e64 s[10:11], s[44:45], v[0:1]
	s_or_b64 s[12:13], s[10:11], vcc
	s_xor_b64 s[12:13], s[12:13], -1
	s_and_saveexec_b64 s[14:15], s[12:13]
	s_xor_b64 s[14:15], exec, s[14:15]
	s_cbranch_execz .LBB93_49
; %bb.48:                               ;   in Loop: Header=BB93_7 Depth=2
	v_add_co_u32_e64 v0, s[12:13], v54, v40
	v_addc_co_u32_e64 v1, s[12:13], v55, v21, s[12:13]
	global_load_dwordx2 v[0:1], v[0:1], off offset:-128
	s_waitcnt vmcnt(0)
	ds_write_b64 v65, v[0:1] offset:4096
.LBB93_49:                              ;   in Loop: Header=BB93_7 Depth=2
	s_andn2_saveexec_b64 s[12:13], s[14:15]
	s_cbranch_execz .LBB93_51
; %bb.50:                               ;   in Loop: Header=BB93_7 Depth=2
	v_mov_b32_e32 v0, v25
	v_mov_b32_e32 v1, v25
	ds_write_b64 v65, v[0:1] offset:4096
.LBB93_51:                              ;   in Loop: Header=BB93_7 Depth=2
	s_or_b64 exec, exec, s[12:13]
	s_or_b64 s[10:11], s[10:11], s[0:1]
	s_xor_b64 s[10:11], s[10:11], -1
	s_and_saveexec_b64 s[12:13], s[10:11]
	s_xor_b64 s[12:13], exec, s[12:13]
	s_cbranch_execz .LBB93_53
; %bb.52:                               ;   in Loop: Header=BB93_7 Depth=2
	v_add_co_u32_e64 v0, s[10:11], v54, v40
	v_addc_co_u32_e64 v1, s[10:11], v55, v21, s[10:11]
	global_load_dwordx2 v[0:1], v[0:1], off
	s_waitcnt vmcnt(0)
	ds_write_b64 v65, v[0:1] offset:4224
.LBB93_53:                              ;   in Loop: Header=BB93_7 Depth=2
	s_andn2_saveexec_b64 s[10:11], s[12:13]
	s_cbranch_execz .LBB93_6
; %bb.54:                               ;   in Loop: Header=BB93_7 Depth=2
	v_mov_b32_e32 v0, v25
	v_mov_b32_e32 v1, v25
	ds_write_b64 v65, v[0:1] offset:4224
	s_branch .LBB93_6
.LBB93_55:                              ;   in Loop: Header=BB93_4 Depth=1
	v_mul_lo_u32 v2, v43, s40
	v_mul_lo_u32 v3, v42, s41
	v_mad_u64_u32 v[0:1], s[10:11], v42, s40, 0
	v_add3_u32 v1, v1, v3, v2
	v_lshlrev_b64 v[0:1], 3, v[0:1]
	v_mov_b32_e32 v2, s47
	v_add_co_u32_e64 v0, s[10:11], s46, v0
	v_cmp_gt_i32_e64 s[8:9], s30, v42
	v_addc_co_u32_e64 v1, s[10:11], v2, v1, s[10:11]
	s_and_b64 s[10:11], s[2:3], s[8:9]
	s_and_saveexec_b64 s[12:13], s[10:11]
	s_cbranch_execz .LBB93_57
; %bb.56:                               ;   in Loop: Header=BB93_4 Depth=1
	v_add_co_u32_e64 v2, s[10:11], v0, v36
	v_addc_co_u32_e64 v3, s[10:11], v1, v37, s[10:11]
	global_load_dwordx2 v[4:5], v[2:3], off
	v_pk_mul_f32 v[6:7], v[66:67], s[34:35] op_sel_hi:[0,1]
	v_pk_fma_f32 v[8:9], v[64:65], s[34:35], v[6:7] op_sel:[0,0,1] op_sel_hi:[1,1,0] neg_lo:[0,0,1] neg_hi:[0,0,1]
	v_pk_fma_f32 v[6:7], v[64:65], s[34:35], v[6:7] op_sel:[0,0,1] op_sel_hi:[0,1,0]
	v_mov_b32_e32 v9, v7
	s_waitcnt vmcnt(0)
	v_pk_add_f32 v[4:5], v[4:5], v[8:9]
	global_store_dwordx2 v[2:3], v[4:5], off
.LBB93_57:                              ;   in Loop: Header=BB93_4 Depth=1
	s_or_b64 exec, exec, s[12:13]
	s_and_b64 s[8:9], s[4:5], s[8:9]
	s_and_saveexec_b64 s[10:11], s[8:9]
	s_cbranch_execz .LBB93_59
; %bb.58:                               ;   in Loop: Header=BB93_4 Depth=1
	v_lshlrev_b64 v[2:3], 3, v[28:29]
	v_add_co_u32_e64 v0, s[8:9], v0, v2
	v_addc_co_u32_e64 v1, s[8:9], v1, v3, s[8:9]
	global_load_dwordx2 v[2:3], v[0:1], off
	v_pk_mul_f32 v[4:5], v[62:63], s[34:35] op_sel_hi:[0,1]
	v_pk_fma_f32 v[6:7], v[60:61], s[34:35], v[4:5] op_sel:[0,0,1] op_sel_hi:[1,1,0] neg_lo:[0,0,1] neg_hi:[0,0,1]
	v_pk_fma_f32 v[4:5], v[60:61], s[34:35], v[4:5] op_sel:[0,0,1] op_sel_hi:[0,1,0]
	v_mov_b32_e32 v7, v5
	s_waitcnt vmcnt(0)
	v_pk_add_f32 v[2:3], v[2:3], v[6:7]
	global_store_dwordx2 v[0:1], v[2:3], off
.LBB93_59:                              ;   in Loop: Header=BB93_4 Depth=1
	s_or_b64 exec, exec, s[10:11]
	v_add_u32_e32 v0, 16, v42
	v_ashrrev_i32_e32 v1, 31, v0
	v_cmp_gt_i32_e64 s[8:9], s30, v0
	v_mul_lo_u32 v2, v1, s40
	v_mul_lo_u32 v3, v0, s41
	v_mad_u64_u32 v[0:1], s[10:11], v0, s40, 0
	v_add3_u32 v1, v1, v3, v2
	v_lshlrev_b64 v[0:1], 3, v[0:1]
	v_mov_b32_e32 v2, s47
	v_add_co_u32_e64 v0, s[10:11], s46, v0
	v_addc_co_u32_e64 v1, s[10:11], v2, v1, s[10:11]
	s_and_b64 s[10:11], s[2:3], s[8:9]
	s_and_saveexec_b64 s[12:13], s[10:11]
	s_cbranch_execz .LBB93_61
; %bb.60:                               ;   in Loop: Header=BB93_4 Depth=1
	v_add_co_u32_e64 v2, s[10:11], v0, v36
	v_addc_co_u32_e64 v3, s[10:11], v1, v37, s[10:11]
	global_load_dwordx2 v[4:5], v[2:3], off
	v_pk_mul_f32 v[6:7], v[18:19], s[34:35] op_sel_hi:[0,1]
	v_pk_fma_f32 v[8:9], v[16:17], s[34:35], v[6:7] op_sel:[0,0,1] op_sel_hi:[1,1,0] neg_lo:[0,0,1] neg_hi:[0,0,1]
	v_pk_fma_f32 v[6:7], v[16:17], s[34:35], v[6:7] op_sel:[0,0,1] op_sel_hi:[0,1,0]
	v_mov_b32_e32 v9, v7
	s_waitcnt vmcnt(0)
	v_pk_add_f32 v[4:5], v[4:5], v[8:9]
	global_store_dwordx2 v[2:3], v[4:5], off
.LBB93_61:                              ;   in Loop: Header=BB93_4 Depth=1
	s_or_b64 exec, exec, s[12:13]
	s_and_b64 s[8:9], s[4:5], s[8:9]
	s_and_saveexec_b64 s[10:11], s[8:9]
	s_cbranch_execz .LBB93_3
; %bb.62:                               ;   in Loop: Header=BB93_4 Depth=1
	v_lshlrev_b64 v[2:3], 3, v[28:29]
	v_add_co_u32_e64 v0, s[8:9], v0, v2
	v_addc_co_u32_e64 v1, s[8:9], v1, v3, s[8:9]
	global_load_dwordx2 v[2:3], v[0:1], off
	v_pk_mul_f32 v[4:5], v[12:13], s[34:35] op_sel_hi:[0,1]
	v_pk_fma_f32 v[6:7], v[14:15], s[34:35], v[4:5] op_sel:[0,0,1] op_sel_hi:[1,1,0] neg_lo:[0,0,1] neg_hi:[0,0,1]
	v_pk_fma_f32 v[4:5], v[14:15], s[34:35], v[4:5] op_sel:[0,0,1] op_sel_hi:[0,1,0]
	v_mov_b32_e32 v7, v5
	s_waitcnt vmcnt(0)
	v_pk_add_f32 v[2:3], v[2:3], v[6:7]
	global_store_dwordx2 v[0:1], v[2:3], off
	s_branch .LBB93_3
.LBB93_63:
	s_endpgm
	.section	.rodata,"a",@progbits
	.p2align	6, 0x0
	.amdhsa_kernel _ZL30rocblas_trmm_outofplace_kernelI19rocblas_complex_numIfELi32ELi2ELb0ELb0ELb1ELb1ES1_KS1_S1_Ev17rocblas_diagonal_iiT6_lPT7_lllS6_lllPT8_llli
		.amdhsa_group_segment_fixed_size 16384
		.amdhsa_private_segment_fixed_size 0
		.amdhsa_kernarg_size 392
		.amdhsa_user_sgpr_count 6
		.amdhsa_user_sgpr_private_segment_buffer 1
		.amdhsa_user_sgpr_dispatch_ptr 0
		.amdhsa_user_sgpr_queue_ptr 0
		.amdhsa_user_sgpr_kernarg_segment_ptr 1
		.amdhsa_user_sgpr_dispatch_id 0
		.amdhsa_user_sgpr_flat_scratch_init 0
		.amdhsa_user_sgpr_kernarg_preload_length 0
		.amdhsa_user_sgpr_kernarg_preload_offset 0
		.amdhsa_user_sgpr_private_segment_size 0
		.amdhsa_uses_dynamic_stack 0
		.amdhsa_system_sgpr_private_segment_wavefront_offset 0
		.amdhsa_system_sgpr_workgroup_id_x 1
		.amdhsa_system_sgpr_workgroup_id_y 1
		.amdhsa_system_sgpr_workgroup_id_z 1
		.amdhsa_system_sgpr_workgroup_info 0
		.amdhsa_system_vgpr_workitem_id 1
		.amdhsa_next_free_vgpr 86
		.amdhsa_next_free_sgpr 50
		.amdhsa_accum_offset 88
		.amdhsa_reserve_vcc 1
		.amdhsa_reserve_flat_scratch 0
		.amdhsa_float_round_mode_32 0
		.amdhsa_float_round_mode_16_64 0
		.amdhsa_float_denorm_mode_32 3
		.amdhsa_float_denorm_mode_16_64 3
		.amdhsa_dx10_clamp 1
		.amdhsa_ieee_mode 1
		.amdhsa_fp16_overflow 0
		.amdhsa_tg_split 0
		.amdhsa_exception_fp_ieee_invalid_op 0
		.amdhsa_exception_fp_denorm_src 0
		.amdhsa_exception_fp_ieee_div_zero 0
		.amdhsa_exception_fp_ieee_overflow 0
		.amdhsa_exception_fp_ieee_underflow 0
		.amdhsa_exception_fp_ieee_inexact 0
		.amdhsa_exception_int_div_zero 0
	.end_amdhsa_kernel
	.section	.text._ZL30rocblas_trmm_outofplace_kernelI19rocblas_complex_numIfELi32ELi2ELb0ELb0ELb1ELb1ES1_KS1_S1_Ev17rocblas_diagonal_iiT6_lPT7_lllS6_lllPT8_llli,"axG",@progbits,_ZL30rocblas_trmm_outofplace_kernelI19rocblas_complex_numIfELi32ELi2ELb0ELb0ELb1ELb1ES1_KS1_S1_Ev17rocblas_diagonal_iiT6_lPT7_lllS6_lllPT8_llli,comdat
.Lfunc_end93:
	.size	_ZL30rocblas_trmm_outofplace_kernelI19rocblas_complex_numIfELi32ELi2ELb0ELb0ELb1ELb1ES1_KS1_S1_Ev17rocblas_diagonal_iiT6_lPT7_lllS6_lllPT8_llli, .Lfunc_end93-_ZL30rocblas_trmm_outofplace_kernelI19rocblas_complex_numIfELi32ELi2ELb0ELb0ELb1ELb1ES1_KS1_S1_Ev17rocblas_diagonal_iiT6_lPT7_lllS6_lllPT8_llli
                                        ; -- End function
	.section	.AMDGPU.csdata,"",@progbits
; Kernel info:
; codeLenInByte = 6788
; NumSgprs: 54
; NumVgprs: 86
; NumAgprs: 0
; TotalNumVgprs: 86
; ScratchSize: 0
; MemoryBound: 0
; FloatMode: 240
; IeeeMode: 1
; LDSByteSize: 16384 bytes/workgroup (compile time only)
; SGPRBlocks: 6
; VGPRBlocks: 10
; NumSGPRsForWavesPerEU: 54
; NumVGPRsForWavesPerEU: 86
; AccumOffset: 88
; Occupancy: 5
; WaveLimiterHint : 0
; COMPUTE_PGM_RSRC2:SCRATCH_EN: 0
; COMPUTE_PGM_RSRC2:USER_SGPR: 6
; COMPUTE_PGM_RSRC2:TRAP_HANDLER: 0
; COMPUTE_PGM_RSRC2:TGID_X_EN: 1
; COMPUTE_PGM_RSRC2:TGID_Y_EN: 1
; COMPUTE_PGM_RSRC2:TGID_Z_EN: 1
; COMPUTE_PGM_RSRC2:TIDIG_COMP_CNT: 1
; COMPUTE_PGM_RSRC3_GFX90A:ACCUM_OFFSET: 21
; COMPUTE_PGM_RSRC3_GFX90A:TG_SPLIT: 0
	.section	.text._ZL30rocblas_trmm_outofplace_kernelI19rocblas_complex_numIfELi32ELi2ELb0ELb1ELb1ELb1EPKS1_S2_S1_Ev17rocblas_diagonal_iiT6_lPT7_lllS7_lllPT8_llli,"axG",@progbits,_ZL30rocblas_trmm_outofplace_kernelI19rocblas_complex_numIfELi32ELi2ELb0ELb1ELb1ELb1EPKS1_S2_S1_Ev17rocblas_diagonal_iiT6_lPT7_lllS7_lllPT8_llli,comdat
	.globl	_ZL30rocblas_trmm_outofplace_kernelI19rocblas_complex_numIfELi32ELi2ELb0ELb1ELb1ELb1EPKS1_S2_S1_Ev17rocblas_diagonal_iiT6_lPT7_lllS7_lllPT8_llli ; -- Begin function _ZL30rocblas_trmm_outofplace_kernelI19rocblas_complex_numIfELi32ELi2ELb0ELb1ELb1ELb1EPKS1_S2_S1_Ev17rocblas_diagonal_iiT6_lPT7_lllS7_lllPT8_llli
	.p2align	8
	.type	_ZL30rocblas_trmm_outofplace_kernelI19rocblas_complex_numIfELi32ELi2ELb0ELb1ELb1ELb1EPKS1_S2_S1_Ev17rocblas_diagonal_iiT6_lPT7_lllS7_lllPT8_llli,@function
_ZL30rocblas_trmm_outofplace_kernelI19rocblas_complex_numIfELi32ELi2ELb0ELb1ELb1ELb1EPKS1_S2_S1_Ev17rocblas_diagonal_iiT6_lPT7_lllS7_lllPT8_llli: ; @_ZL30rocblas_trmm_outofplace_kernelI19rocblas_complex_numIfELi32ELi2ELb0ELb1ELb1ELb1EPKS1_S2_S1_Ev17rocblas_diagonal_iiT6_lPT7_lllS7_lllPT8_llli
; %bb.0:
	s_load_dwordx16 s[16:31], s[4:5], 0x10
	s_waitcnt lgkmcnt(0)
	s_mul_i32 s0, s8, s19
	s_mul_hi_u32 s1, s8, s18
	s_add_i32 s1, s1, s0
	s_mul_i32 s0, s8, s18
	s_lshl_b64 s[0:1], s[0:1], 3
	s_add_u32 s0, s16, s0
	s_addc_u32 s1, s17, s1
	s_load_dwordx2 s[34:35], s[0:1], 0x0
	s_waitcnt lgkmcnt(0)
	s_or_b32 s0, s34, s35
	s_bitset0_b32 s0, 31
	s_cmp_eq_u32 s0, 0
	s_cbranch_scc1 .LBB94_63
; %bb.1:
	s_load_dwordx4 s[44:47], s[4:5], 0x0
	s_waitcnt lgkmcnt(0)
	s_add_i32 s0, s46, -1
	s_ashr_i32 s1, s0, 31
	s_lshr_b32 s1, s1, 27
	s_add_i32 s0, s0, s1
	s_ashr_i32 s33, s0, 5
	s_cmp_gt_i32 s7, s33
	s_cbranch_scc1 .LBB94_63
; %bb.2:
	s_load_dwordx8 s[36:43], s[4:5], 0x50
	s_load_dwordx4 s[48:51], s[4:5], 0x70
	s_load_dword s56, s[4:5], 0x8c
	v_and_b32_e32 v4, 0x3ff, v0
	v_bfe_u32 v47, v0, 10, 10
	s_waitcnt lgkmcnt(0)
	s_mul_i32 s1, s8, s39
	s_mul_hi_u32 s2, s8, s38
	s_mul_i32 s0, s8, s38
	s_add_i32 s1, s2, s1
	s_lshl_b64 s[0:1], s[0:1], 3
	s_add_u32 s2, s28, s0
	s_addc_u32 s3, s29, s1
	s_lshl_b64 s[0:1], s[30:31], 3
	s_add_u32 s2, s2, s0
	s_addc_u32 s3, s3, s1
	s_mul_i32 s0, s8, s51
	s_mul_hi_u32 s1, s8, s50
	s_add_i32 s1, s1, s0
	s_mul_i32 s0, s8, s50
	s_lshl_b64 s[0:1], s[0:1], 3
	s_add_u32 s4, s40, s0
	s_addc_u32 s5, s41, s1
	s_lshl_b64 s[0:1], s[42:43], 3
	s_add_u32 s57, s4, s0
	s_addc_u32 s58, s5, s1
	s_cmpk_eq_i32 s44, 0x84
	s_cselect_b64 s[28:29], -1, 0
	s_ashr_i32 s47, s46, 31
	s_ashr_i32 s0, s45, 31
	s_lshl_b64 s[30:31], s[24:25], 8
	s_lshl_b64 s[38:39], s[36:37], 8
	v_lshl_add_u32 v0, s6, 5, v4
	s_add_u32 s40, s46, -16
	v_ashrrev_i32_e32 v1, 31, v0
	s_addc_u32 s41, s47, -1
	s_lshl_b32 s9, s7, 5
	v_lshlrev_b64 v[12:13], 3, v[0:1]
	v_add_u32_e32 v18, s9, v4
	v_add_u32_e32 v20, s9, v47
	s_mul_i32 s9, s27, s8
	s_mul_hi_u32 s10, s26, s8
	v_mov_b32_e32 v2, s3
	v_add_co_u32_e32 v14, vcc, s2, v12
	s_add_i32 s9, s10, s9
	s_mul_i32 s8, s26, s8
	v_addc_co_u32_e32 v15, vcc, v2, v13, vcc
	s_lshl_b32 s6, s56, 5
	s_lshl_b64 s[8:9], s[8:9], 3
	s_lshl_b64 s[10:11], s[22:23], 3
	v_mov_b32_e32 v3, s0
	v_sub_co_u32_e32 v2, vcc, s45, v0
	s_add_u32 s8, s8, s10
	v_subb_co_u32_e32 v3, vcc, v3, v1, vcc
	v_lshlrev_b32_e32 v1, 3, v4
	s_addc_u32 s9, s9, s11
	v_lshlrev_b32_e32 v49, 8, v47
	v_or_b32_e32 v53, 0x2000, v1
	v_add_u32_e32 v16, 16, v0
	s_add_u32 s20, s20, s8
	v_add_u32_e32 v51, v49, v1
	v_cmp_gt_i64_e64 s[0:1], 1, v[2:3]
	v_add_u32_e32 v55, v53, v49
	v_cmp_gt_i64_e64 s[2:3], 17, v[2:3]
	v_cmp_gt_i32_e64 s[4:5], s45, v0
	v_cmp_gt_i32_e64 s[16:17], s45, v16
	v_ashrrev_i32_e32 v17, 31, v16
	v_add_u32_e32 v57, 0x2080, v1
	s_addc_u32 s21, s21, s9
	s_lshl_b64 s[22:23], s[24:25], 3
	s_lshl_b64 s[26:27], s[36:37], 3
	s_movk_i32 s59, 0x80
	v_mov_b32_e32 v23, 0
	v_mov_b32_e32 v22, 1.0
	s_branch .LBB94_4
.LBB94_3:                               ;   in Loop: Header=BB94_4 Depth=1
	s_or_b64 exec, exec, s[8:9]
	s_add_i32 s7, s56, s7
	v_add_u32_e32 v18, s6, v18
	s_cmp_le_i32 s7, s33
	v_add_u32_e32 v20, s6, v20
	s_cbranch_scc0 .LBB94_63
.LBB94_4:                               ; =>This Loop Header: Depth=1
                                        ;     Child Loop BB94_7 Depth 2
	s_lshl_b32 s8, s7, 5
	v_add_u32_e32 v24, s8, v47
	s_sub_i32 s60, s46, s8
	v_ashrrev_i32_e32 v19, 31, v18
	v_ashrrev_i32_e32 v21, 31, v20
	;; [unrolled: 1-line block ×3, first 2 shown]
	s_cmp_lt_i32 s60, 1
	v_mov_b32_e32 v58, v23
	v_mov_b32_e32 v60, v23
	;; [unrolled: 1-line block ×8, first 2 shown]
	s_cbranch_scc1 .LBB94_55
; %bb.5:                                ;   in Loop: Header=BB94_4 Depth=1
	v_sub_co_u32_e32 v26, vcc, v20, v18
	v_subb_co_u32_e32 v27, vcc, v21, v19, vcc
	v_lshlrev_b64 v[0:1], 3, v[18:19]
	v_add_co_u32_e32 v2, vcc, 0x80, v0
	v_addc_co_u32_e32 v0, vcc, 0, v1, vcc
	v_mul_lo_u32 v3, s24, v0
	v_pk_mov_b32 v[0:1], s[20:21], s[20:21] op_sel:[0,1]
	v_mad_u64_u32 v[30:31], s[8:9], s24, v2, v[0:1]
	v_mad_u64_u32 v[32:33], s[8:9], s22, v18, v[0:1]
	v_mul_lo_u32 v0, s22, v19
	v_mul_lo_u32 v1, s23, v18
	v_add3_u32 v33, v1, v33, v0
	v_mov_b32_e32 v0, 0x80
	v_mul_lo_u32 v4, s25, v2
	v_mov_b32_e32 v1, 0
	v_lshlrev_b64 v[28:29], 3, v[20:21]
	v_add3_u32 v31, v4, v31, v3
	v_mad_u64_u32 v[34:35], s[8:9], s26, v20, v[0:1]
	v_mul_lo_u32 v2, s26, v21
	v_mul_lo_u32 v3, s27, v20
	v_add3_u32 v35, v3, v35, v2
	v_add_co_u32_e32 v2, vcc, s59, v28
	v_mad_u64_u32 v[36:37], s[8:9], s36, v2, v[0:1]
	v_add_co_u32_e64 v40, s[10:11], 16, v26
	v_addc_co_u32_e32 v3, vcc, 0, v29, vcc
	v_add_co_u32_e64 v38, s[8:9], 16, v24
	v_addc_co_u32_e64 v41, s[10:11], 0, v27, s[10:11]
	v_mul_lo_u32 v3, s36, v3
	v_mul_lo_u32 v4, s37, v2
	v_addc_co_u32_e64 v39, s[8:9], 0, v25, s[8:9]
	v_add_co_u32_e64 v42, s[10:11], -16, v26
	v_add3_u32 v37, v4, v37, v3
	v_cmp_le_i32_e32 vcc, s46, v24
	v_cmp_le_i64_e64 s[8:9], s[46:47], v[38:39]
	v_addc_co_u32_e64 v43, s[10:11], -1, v27, s[10:11]
	s_mov_b64 s[42:43], 0
	v_mov_b32_e32 v46, 0
	v_pk_mov_b32 v[44:45], v[14:15], v[14:15] op_sel:[0,1]
	v_mov_b32_e32 v48, 0
	v_mov_b32_e32 v52, 0
	;; [unrolled: 1-line block ×7, first 2 shown]
	s_branch .LBB94_7
.LBB94_6:                               ;   in Loop: Header=BB94_7 Depth=2
	s_or_b64 exec, exec, s[10:11]
	s_waitcnt lgkmcnt(0)
	s_barrier
	ds_read2_b64 v[62:65], v53 offset1:32
	ds_read_b128 v[66:69], v49
	ds_read_b128 v[8:11], v49 offset:16
	ds_read_b128 v[4:7], v49 offset:32
	;; [unrolled: 1-line block ×3, first 2 shown]
	ds_read2_b64 v[70:73], v57 offset1:32
	s_waitcnt lgkmcnt(4)
	v_mul_f32_e32 v59, v67, v63
	v_fma_f32 v59, v66, v62, -v59
	v_mul_f32_e32 v61, v66, v63
	v_fmac_f32_e32 v61, v67, v62
	v_add_f32_e32 v78, v58, v59
	s_waitcnt lgkmcnt(0)
	v_mul_f32_e32 v58, v67, v71
	v_add_f32_e32 v79, v60, v61
	v_fma_f32 v74, v66, v70, -v58
	ds_read_b128 v[58:61], v49 offset:4096
	v_mul_f32_e32 v66, v66, v71
	v_fmac_f32_e32 v66, v67, v70
	v_add_f32_e32 v54, v54, v74
	ds_read_b128 v[74:77], v49 offset:4112
	v_add_f32_e32 v56, v56, v66
	s_waitcnt lgkmcnt(1)
	v_mul_f32_e32 v66, v59, v63
	v_mul_f32_e32 v63, v58, v63
	v_fma_f32 v66, v58, v62, -v66
	v_fmac_f32_e32 v63, v59, v62
	v_mul_f32_e32 v62, v59, v71
	v_fma_f32 v62, v58, v70, -v62
	v_mul_f32_e32 v58, v58, v71
	v_fmac_f32_e32 v58, v59, v70
	v_add_f32_e32 v46, v46, v58
	v_mul_f32_e32 v58, v69, v65
	v_mul_f32_e32 v59, v68, v65
	v_fma_f32 v58, v68, v64, -v58
	v_fmac_f32_e32 v59, v69, v64
	v_add_f32_e32 v50, v50, v66
	v_add_f32_e32 v66, v78, v58
	;; [unrolled: 1-line block ×3, first 2 shown]
	v_mul_f32_e32 v58, v69, v73
	v_mul_f32_e32 v59, v68, v73
	v_fma_f32 v58, v68, v72, -v58
	v_fmac_f32_e32 v59, v69, v72
	v_add_f32_e32 v54, v54, v58
	v_add_f32_e32 v56, v56, v59
	v_mul_f32_e32 v58, v61, v65
	v_mul_f32_e32 v59, v60, v65
	v_add_f32_e32 v52, v52, v63
	v_add_f32_e32 v48, v48, v62
	v_fma_f32 v58, v60, v64, -v58
	v_fmac_f32_e32 v59, v61, v64
	ds_read2_b64 v[62:65], v53 offset0:64 offset1:96
	v_add_f32_e32 v50, v50, v58
	v_mul_f32_e32 v58, v61, v73
	v_add_f32_e32 v52, v52, v59
	v_fma_f32 v58, v60, v72, -v58
	v_mul_f32_e32 v59, v60, v73
	v_fmac_f32_e32 v59, v61, v72
	v_add_f32_e32 v48, v48, v58
	s_waitcnt lgkmcnt(0)
	v_mul_f32_e32 v58, v9, v63
	v_add_f32_e32 v46, v46, v59
	v_fma_f32 v68, v8, v62, -v58
	ds_read2_b64 v[58:61], v57 offset0:64 offset1:96
	v_add_f32_e32 v66, v66, v68
	v_mul_f32_e32 v69, v8, v63
	v_fmac_f32_e32 v69, v9, v62
	v_add_f32_e32 v67, v67, v69
	s_waitcnt lgkmcnt(0)
	v_mul_f32_e32 v68, v9, v59
	v_fma_f32 v68, v8, v58, -v68
	v_mul_f32_e32 v8, v8, v59
	v_fmac_f32_e32 v8, v9, v58
	v_add_f32_e32 v9, v54, v68
	v_mul_f32_e32 v54, v75, v63
	v_add_f32_e32 v8, v56, v8
	v_fma_f32 v54, v74, v62, -v54
	v_mul_f32_e32 v56, v74, v63
	v_fmac_f32_e32 v56, v75, v62
	v_add_f32_e32 v50, v50, v54
	v_mul_f32_e32 v54, v75, v59
	v_add_f32_e32 v52, v52, v56
	v_fma_f32 v54, v74, v58, -v54
	v_mul_f32_e32 v56, v74, v59
	v_fmac_f32_e32 v56, v75, v58
	v_add_f32_e32 v48, v48, v54
	v_mul_f32_e32 v54, v11, v65
	v_mul_f32_e32 v58, v11, v61
	v_add_f32_e32 v46, v46, v56
	v_fma_f32 v54, v10, v64, -v54
	v_mul_f32_e32 v56, v10, v65
	v_fma_f32 v58, v10, v60, -v58
	v_mul_f32_e32 v10, v10, v61
	v_fmac_f32_e32 v56, v11, v64
	v_fmac_f32_e32 v10, v11, v60
	v_add_f32_e32 v56, v67, v56
	v_add_f32_e32 v67, v8, v10
	v_mul_f32_e32 v8, v77, v65
	v_add_f32_e32 v54, v66, v54
	v_add_f32_e32 v66, v9, v58
	v_fma_f32 v8, v76, v64, -v8
	v_mul_f32_e32 v9, v76, v65
	v_fmac_f32_e32 v9, v77, v64
	v_add_f32_e32 v50, v50, v8
	v_mul_f32_e32 v8, v77, v61
	v_add_f32_e32 v52, v52, v9
	v_fma_f32 v58, v76, v60, -v8
	ds_read2_b64 v[8:11], v53 offset0:128 offset1:160
	v_mul_f32_e32 v59, v76, v61
	v_fmac_f32_e32 v59, v77, v60
	v_add_f32_e32 v48, v48, v58
	v_add_f32_e32 v46, v46, v59
	s_waitcnt lgkmcnt(0)
	v_mul_f32_e32 v58, v5, v9
	v_fma_f32 v62, v4, v8, -v58
	ds_read2_b64 v[58:61], v57 offset0:128 offset1:160
	v_mul_f32_e32 v63, v4, v9
	v_fmac_f32_e32 v63, v5, v8
	v_add_f32_e32 v54, v54, v62
	v_add_f32_e32 v56, v56, v63
	s_waitcnt lgkmcnt(0)
	v_mul_f32_e32 v62, v5, v59
	v_fma_f32 v68, v4, v58, -v62
	ds_read_b128 v[62:65], v49 offset:4128
	v_mul_f32_e32 v4, v4, v59
	v_fmac_f32_e32 v4, v5, v58
	v_add_f32_e32 v5, v66, v68
	v_add_f32_e32 v4, v67, v4
	ds_read_b128 v[66:69], v49 offset:4144
	s_waitcnt lgkmcnt(1)
	v_mul_f32_e32 v70, v63, v9
	v_fma_f32 v70, v62, v8, -v70
	v_mul_f32_e32 v9, v62, v9
	v_fmac_f32_e32 v9, v63, v8
	v_add_f32_e32 v8, v50, v70
	v_mul_f32_e32 v50, v63, v59
	v_fma_f32 v50, v62, v58, -v50
	v_add_f32_e32 v48, v48, v50
	v_mul_f32_e32 v50, v7, v11
	v_add_f32_e32 v9, v52, v9
	v_mul_f32_e32 v52, v62, v59
	v_fma_f32 v50, v6, v10, -v50
	v_fmac_f32_e32 v52, v63, v58
	v_add_f32_e32 v50, v54, v50
	v_mul_f32_e32 v54, v7, v61
	v_add_f32_e32 v46, v46, v52
	v_mul_f32_e32 v52, v6, v11
	v_fma_f32 v54, v6, v60, -v54
	v_mul_f32_e32 v6, v6, v61
	v_fmac_f32_e32 v52, v7, v10
	v_fmac_f32_e32 v6, v7, v60
	v_add_f32_e32 v52, v56, v52
	v_add_f32_e32 v56, v4, v6
	v_mul_f32_e32 v4, v65, v11
	v_add_f32_e32 v54, v5, v54
	v_fma_f32 v4, v64, v10, -v4
	v_mul_f32_e32 v5, v64, v11
	v_fmac_f32_e32 v5, v65, v10
	v_add_f32_e32 v58, v8, v4
	v_mul_f32_e32 v4, v65, v61
	v_add_f32_e32 v59, v9, v5
	v_fma_f32 v8, v64, v60, -v4
	ds_read2_b64 v[4:7], v53 offset0:192 offset1:224
	v_mul_f32_e32 v9, v64, v61
	v_fmac_f32_e32 v9, v65, v60
	v_add_f32_e32 v48, v48, v8
	v_add_f32_e32 v46, v46, v9
	s_waitcnt lgkmcnt(0)
	v_mul_f32_e32 v8, v1, v5
	v_fma_f32 v60, v0, v4, -v8
	ds_read2_b64 v[8:11], v57 offset0:192 offset1:224
	v_add_f32_e32 v50, v50, v60
	v_mul_f32_e32 v61, v0, v5
	v_fmac_f32_e32 v61, v1, v4
	v_add_f32_e32 v52, v52, v61
	s_waitcnt lgkmcnt(0)
	v_mul_f32_e32 v60, v1, v9
	v_fma_f32 v60, v0, v8, -v60
	v_mul_f32_e32 v0, v0, v9
	v_fmac_f32_e32 v0, v1, v8
	v_add_f32_e32 v1, v54, v60
	v_mul_f32_e32 v54, v67, v5
	v_fma_f32 v54, v66, v4, -v54
	v_mul_f32_e32 v5, v66, v5
	v_fmac_f32_e32 v5, v67, v4
	v_add_f32_e32 v4, v58, v54
	v_mul_f32_e32 v54, v67, v9
	v_mul_f32_e32 v9, v66, v9
	v_fma_f32 v54, v66, v8, -v54
	v_fmac_f32_e32 v9, v67, v8
	v_mul_f32_e32 v8, v3, v7
	v_fma_f32 v8, v2, v6, -v8
	v_add_f32_e32 v50, v50, v8
	v_mul_f32_e32 v8, v3, v11
	v_add_f32_e32 v46, v46, v9
	v_mul_f32_e32 v9, v2, v7
	v_fma_f32 v8, v2, v10, -v8
	v_mul_f32_e32 v2, v2, v11
	v_add_f32_e32 v0, v56, v0
	v_fmac_f32_e32 v2, v3, v10
	v_add_f32_e32 v56, v0, v2
	v_mul_f32_e32 v0, v69, v7
	v_add_f32_e32 v48, v48, v54
	v_add_f32_e32 v54, v1, v8
	v_fma_f32 v0, v68, v6, -v0
	v_mul_f32_e32 v1, v68, v7
	v_add_f32_e32 v5, v59, v5
	v_fmac_f32_e32 v9, v3, v6
	v_fmac_f32_e32 v1, v69, v6
	v_add_f32_e32 v74, v4, v0
	v_mul_f32_e32 v0, v69, v11
	v_add_u32_e32 v4, 0x800, v53
	v_add_f32_e32 v52, v52, v9
	v_add_f32_e32 v75, v5, v1
	v_fma_f32 v5, v68, v10, -v0
	ds_read2_b64 v[0:3], v4 offset1:32
	ds_read_b128 v[6:9], v49 offset:64
	v_mul_f32_e32 v11, v68, v11
	v_fmac_f32_e32 v11, v69, v10
	v_add_f32_e32 v10, v48, v5
	v_add_f32_e32 v11, v46, v11
	s_waitcnt lgkmcnt(0)
	v_mul_f32_e32 v5, v7, v1
	v_fma_f32 v46, v6, v0, -v5
	v_add_u32_e32 v5, 0x800, v57
	ds_read2_b64 v[62:65], v5 offset1:32
	ds_read_b128 v[58:61], v49 offset:80
	ds_read_b128 v[66:69], v49 offset:4160
	v_add_f32_e32 v46, v50, v46
	v_mul_f32_e32 v48, v6, v1
	s_waitcnt lgkmcnt(2)
	v_mul_f32_e32 v50, v7, v63
	v_fma_f32 v50, v6, v62, -v50
	v_mul_f32_e32 v6, v6, v63
	v_fmac_f32_e32 v48, v7, v0
	v_fmac_f32_e32 v6, v7, v62
	v_add_f32_e32 v7, v54, v50
	s_waitcnt lgkmcnt(0)
	v_mul_f32_e32 v50, v67, v1
	v_fma_f32 v50, v66, v0, -v50
	v_mul_f32_e32 v1, v66, v1
	v_fmac_f32_e32 v1, v67, v0
	v_add_f32_e32 v0, v74, v50
	v_mul_f32_e32 v50, v67, v63
	v_fma_f32 v50, v66, v62, -v50
	v_add_f32_e32 v10, v10, v50
	v_mul_f32_e32 v50, v9, v3
	v_add_f32_e32 v48, v52, v48
	v_mul_f32_e32 v52, v66, v63
	v_fma_f32 v50, v8, v2, -v50
	v_fmac_f32_e32 v52, v67, v62
	v_add_f32_e32 v46, v46, v50
	v_mul_f32_e32 v50, v9, v65
	v_add_f32_e32 v11, v11, v52
	v_mul_f32_e32 v52, v8, v3
	v_fma_f32 v50, v8, v64, -v50
	v_mul_f32_e32 v8, v8, v65
	v_add_f32_e32 v6, v56, v6
	v_fmac_f32_e32 v52, v9, v2
	v_fmac_f32_e32 v8, v9, v64
	v_add_f32_e32 v48, v48, v52
	v_add_f32_e32 v52, v6, v8
	v_mul_f32_e32 v6, v69, v3
	v_fma_f32 v6, v68, v2, -v6
	v_mul_f32_e32 v3, v68, v3
	v_add_f32_e32 v1, v75, v1
	v_fmac_f32_e32 v3, v69, v2
	v_add_f32_e32 v54, v0, v6
	v_mul_f32_e32 v0, v69, v65
	v_add_f32_e32 v56, v1, v3
	v_fma_f32 v6, v68, v64, -v0
	ds_read2_b64 v[0:3], v4 offset0:64 offset1:96
	v_add_f32_e32 v50, v7, v50
	v_mul_f32_e32 v7, v68, v65
	v_fmac_f32_e32 v7, v69, v64
	v_add_f32_e32 v10, v10, v6
	s_waitcnt lgkmcnt(0)
	v_mul_f32_e32 v6, v59, v1
	v_add_f32_e32 v11, v11, v7
	v_fma_f32 v62, v58, v0, -v6
	ds_read2_b64 v[6:9], v5 offset0:64 offset1:96
	ds_read_b128 v[70:73], v49 offset:4176
	v_add_f32_e32 v46, v46, v62
	v_mul_f32_e32 v63, v58, v1
	v_fmac_f32_e32 v63, v59, v0
	s_waitcnt lgkmcnt(1)
	v_mul_f32_e32 v62, v59, v7
	v_fma_f32 v62, v58, v6, -v62
	v_mul_f32_e32 v58, v58, v7
	v_fmac_f32_e32 v58, v59, v6
	v_add_f32_e32 v52, v52, v58
	s_waitcnt lgkmcnt(0)
	v_mul_f32_e32 v58, v71, v1
	v_fma_f32 v58, v70, v0, -v58
	v_mul_f32_e32 v1, v70, v1
	v_fmac_f32_e32 v1, v71, v0
	v_add_f32_e32 v0, v54, v58
	v_mul_f32_e32 v54, v71, v7
	v_fma_f32 v54, v70, v6, -v54
	v_mul_f32_e32 v7, v70, v7
	v_fmac_f32_e32 v7, v71, v6
	v_add_f32_e32 v6, v10, v54
	v_mul_f32_e32 v10, v61, v3
	v_fma_f32 v10, v60, v2, -v10
	v_add_f32_e32 v10, v46, v10
	v_mul_f32_e32 v46, v61, v9
	v_add_f32_e32 v50, v50, v62
	v_add_f32_e32 v7, v11, v7
	v_mul_f32_e32 v11, v60, v3
	v_fma_f32 v46, v60, v8, -v46
	v_add_f32_e32 v48, v48, v63
	v_fmac_f32_e32 v11, v61, v2
	v_add_f32_e32 v46, v50, v46
	v_mul_f32_e32 v50, v73, v3
	v_add_f32_e32 v11, v48, v11
	v_mul_f32_e32 v48, v60, v9
	v_fma_f32 v50, v72, v2, -v50
	v_mul_f32_e32 v3, v72, v3
	v_add_f32_e32 v1, v56, v1
	v_fmac_f32_e32 v48, v61, v8
	v_fmac_f32_e32 v3, v73, v2
	v_add_f32_e32 v50, v0, v50
	v_mul_f32_e32 v0, v73, v9
	v_add_f32_e32 v48, v52, v48
	v_add_f32_e32 v52, v1, v3
	v_fma_f32 v54, v72, v8, -v0
	ds_read2_b64 v[0:3], v4 offset0:128 offset1:160
	ds_read_b128 v[58:61], v49 offset:96
	v_mul_f32_e32 v9, v72, v9
	v_fmac_f32_e32 v9, v73, v8
	v_add_f32_e32 v54, v6, v54
	v_add_f32_e32 v56, v7, v9
	s_waitcnt lgkmcnt(0)
	v_mul_f32_e32 v62, v59, v1
	v_fma_f32 v66, v58, v0, -v62
	ds_read2_b64 v[62:65], v5 offset0:128 offset1:160
	v_mul_f32_e32 v67, v58, v1
	v_fmac_f32_e32 v67, v59, v0
	v_add_f32_e32 v10, v10, v66
	ds_read_b128 v[6:9], v49 offset:112
	s_waitcnt lgkmcnt(1)
	v_mul_f32_e32 v66, v59, v63
	v_add_f32_e32 v11, v11, v67
	v_fma_f32 v70, v58, v62, -v66
	ds_read_b128 v[66:69], v49 offset:4192
	v_mul_f32_e32 v58, v58, v63
	v_fmac_f32_e32 v58, v59, v62
	v_add_f32_e32 v48, v48, v58
	v_add_f32_e32 v46, v46, v70
	s_waitcnt lgkmcnt(0)
	v_mul_f32_e32 v58, v67, v1
	v_fma_f32 v58, v66, v0, -v58
	v_mul_f32_e32 v1, v66, v1
	v_fmac_f32_e32 v1, v67, v0
	v_add_f32_e32 v0, v50, v58
	v_mul_f32_e32 v50, v67, v63
	v_fma_f32 v50, v66, v62, -v50
	v_add_f32_e32 v50, v54, v50
	v_mul_f32_e32 v54, v61, v3
	v_add_f32_e32 v1, v52, v1
	v_mul_f32_e32 v52, v66, v63
	v_fma_f32 v54, v60, v2, -v54
	v_fmac_f32_e32 v52, v67, v62
	v_add_f32_e32 v10, v10, v54
	v_mul_f32_e32 v54, v61, v65
	v_add_f32_e32 v52, v56, v52
	v_mul_f32_e32 v56, v60, v3
	v_fma_f32 v54, v60, v64, -v54
	v_fmac_f32_e32 v56, v61, v2
	v_add_f32_e32 v46, v46, v54
	v_mul_f32_e32 v54, v69, v3
	v_add_f32_e32 v11, v11, v56
	v_mul_f32_e32 v56, v60, v65
	v_fma_f32 v54, v68, v2, -v54
	v_mul_f32_e32 v3, v68, v3
	v_fmac_f32_e32 v56, v61, v64
	v_fmac_f32_e32 v3, v69, v2
	v_add_f32_e32 v54, v0, v54
	v_mul_f32_e32 v0, v69, v65
	v_add_f32_e32 v48, v48, v56
	v_add_f32_e32 v56, v1, v3
	v_fma_f32 v58, v68, v64, -v0
	ds_read2_b64 v[0:3], v4 offset0:192 offset1:224
	v_add_f32_e32 v50, v50, v58
	ds_read2_b64 v[58:61], v5 offset0:192 offset1:224
	ds_read_b128 v[70:73], v49 offset:4208
	v_mul_f32_e32 v4, v68, v65
	s_waitcnt lgkmcnt(2)
	v_mul_f32_e32 v5, v6, v1
	v_fmac_f32_e32 v4, v69, v64
	v_fmac_f32_e32 v5, v7, v0
	v_add_f32_e32 v4, v52, v4
	v_mul_f32_e32 v52, v7, v1
	v_add_f32_e32 v5, v11, v5
	s_waitcnt lgkmcnt(1)
	v_mul_f32_e32 v11, v7, v59
	v_fma_f32 v52, v6, v0, -v52
	v_fma_f32 v11, v6, v58, -v11
	v_mul_f32_e32 v6, v6, v59
	v_fmac_f32_e32 v6, v7, v58
	v_add_f32_e32 v7, v46, v11
	s_waitcnt lgkmcnt(0)
	v_mul_f32_e32 v46, v70, v59
	v_fmac_f32_e32 v46, v71, v58
	v_mul_f32_e32 v11, v71, v1
	v_add_f32_e32 v46, v4, v46
	v_mul_f32_e32 v4, v9, v3
	v_add_f32_e32 v10, v10, v52
	v_fma_f32 v11, v70, v0, -v11
	v_mul_f32_e32 v1, v70, v1
	v_fma_f32 v4, v8, v2, -v4
	v_fmac_f32_e32 v1, v71, v0
	v_add_f32_e32 v0, v54, v11
	v_mul_f32_e32 v11, v71, v59
	v_add_f32_e32 v10, v10, v4
	v_mul_f32_e32 v4, v9, v61
	v_add_f32_e32 v6, v48, v6
	v_fma_f32 v11, v70, v58, -v11
	v_mul_f32_e32 v48, v8, v3
	v_fma_f32 v4, v8, v60, -v4
	v_add_f32_e32 v11, v50, v11
	v_fmac_f32_e32 v48, v9, v2
	v_add_f32_e32 v50, v7, v4
	v_mul_f32_e32 v4, v73, v3
	v_add_f32_e32 v48, v5, v48
	v_mul_f32_e32 v5, v8, v61
	v_fma_f32 v4, v72, v2, -v4
	v_mul_f32_e32 v3, v72, v3
	v_add_f32_e32 v1, v56, v1
	v_fmac_f32_e32 v5, v9, v60
	v_fmac_f32_e32 v3, v73, v2
	v_add_f32_e32 v54, v0, v4
	v_mul_f32_e32 v0, v73, v61
	v_add_u32_e32 v4, 0x1000, v53
	v_add_f32_e32 v52, v6, v5
	v_add_f32_e32 v56, v1, v3
	v_fma_f32 v5, v72, v60, -v0
	ds_read2_b64 v[0:3], v4 offset1:32
	ds_read_b128 v[6:9], v49 offset:128
	v_add_f32_e32 v11, v11, v5
	v_mul_f32_e32 v58, v72, v61
	v_fmac_f32_e32 v58, v73, v60
	v_add_f32_e32 v46, v46, v58
	s_waitcnt lgkmcnt(0)
	v_mul_f32_e32 v5, v7, v1
	v_fma_f32 v66, v6, v0, -v5
	v_add_u32_e32 v5, 0x1000, v57
	ds_read2_b64 v[62:65], v5 offset1:32
	v_mul_f32_e32 v67, v6, v1
	v_fmac_f32_e32 v67, v7, v0
	v_add_f32_e32 v10, v10, v66
	ds_read_b128 v[58:61], v49 offset:144
	s_waitcnt lgkmcnt(1)
	v_mul_f32_e32 v66, v7, v63
	v_add_f32_e32 v48, v48, v67
	v_fma_f32 v70, v6, v62, -v66
	ds_read_b128 v[66:69], v49 offset:4224
	v_mul_f32_e32 v6, v6, v63
	v_fmac_f32_e32 v6, v7, v62
	v_add_f32_e32 v7, v50, v70
	v_add_f32_e32 v6, v52, v6
	s_waitcnt lgkmcnt(0)
	v_mul_f32_e32 v50, v67, v1
	v_fma_f32 v50, v66, v0, -v50
	v_mul_f32_e32 v1, v66, v1
	v_fmac_f32_e32 v1, v67, v0
	v_add_f32_e32 v0, v54, v50
	v_mul_f32_e32 v50, v67, v63
	v_fma_f32 v50, v66, v62, -v50
	v_add_f32_e32 v11, v11, v50
	v_mul_f32_e32 v50, v9, v3
	v_mul_f32_e32 v52, v66, v63
	v_fma_f32 v50, v8, v2, -v50
	v_fmac_f32_e32 v52, v67, v62
	v_add_f32_e32 v10, v10, v50
	v_mul_f32_e32 v50, v9, v65
	v_add_f32_e32 v46, v46, v52
	v_mul_f32_e32 v52, v8, v3
	v_fma_f32 v50, v8, v64, -v50
	v_mul_f32_e32 v8, v8, v65
	v_fmac_f32_e32 v52, v9, v2
	v_fmac_f32_e32 v8, v9, v64
	v_add_f32_e32 v48, v48, v52
	v_add_f32_e32 v52, v6, v8
	v_mul_f32_e32 v6, v69, v3
	v_fma_f32 v6, v68, v2, -v6
	v_mul_f32_e32 v3, v68, v3
	v_add_f32_e32 v1, v56, v1
	v_fmac_f32_e32 v3, v69, v2
	v_add_f32_e32 v54, v0, v6
	v_mul_f32_e32 v0, v69, v65
	v_add_f32_e32 v56, v1, v3
	v_fma_f32 v6, v68, v64, -v0
	ds_read2_b64 v[0:3], v4 offset0:64 offset1:96
	v_add_f32_e32 v50, v7, v50
	v_mul_f32_e32 v7, v68, v65
	v_fmac_f32_e32 v7, v69, v64
	v_add_f32_e32 v11, v11, v6
	s_waitcnt lgkmcnt(0)
	v_mul_f32_e32 v6, v59, v1
	v_add_f32_e32 v46, v46, v7
	v_fma_f32 v62, v58, v0, -v6
	ds_read2_b64 v[6:9], v5 offset0:64 offset1:96
	ds_read_b128 v[70:73], v49 offset:4240
	v_add_f32_e32 v10, v10, v62
	v_mul_f32_e32 v63, v58, v1
	v_fmac_f32_e32 v63, v59, v0
	s_waitcnt lgkmcnt(1)
	v_mul_f32_e32 v62, v59, v7
	v_fma_f32 v62, v58, v6, -v62
	v_mul_f32_e32 v58, v58, v7
	v_fmac_f32_e32 v58, v59, v6
	v_add_f32_e32 v52, v52, v58
	s_waitcnt lgkmcnt(0)
	v_mul_f32_e32 v58, v71, v1
	v_fma_f32 v58, v70, v0, -v58
	v_mul_f32_e32 v1, v70, v1
	v_fmac_f32_e32 v1, v71, v0
	v_add_f32_e32 v0, v54, v58
	v_mul_f32_e32 v54, v71, v7
	v_mul_f32_e32 v7, v70, v7
	v_fma_f32 v54, v70, v6, -v54
	v_fmac_f32_e32 v7, v71, v6
	v_add_f32_e32 v6, v11, v54
	v_add_f32_e32 v7, v46, v7
	v_mul_f32_e32 v11, v61, v3
	v_mul_f32_e32 v46, v60, v3
	v_add_f32_e32 v48, v48, v63
	v_fma_f32 v11, v60, v2, -v11
	v_fmac_f32_e32 v46, v61, v2
	v_add_f32_e32 v10, v10, v11
	v_add_f32_e32 v11, v48, v46
	v_mul_f32_e32 v46, v61, v9
	v_add_f32_e32 v50, v50, v62
	v_fma_f32 v46, v60, v8, -v46
	v_add_f32_e32 v46, v50, v46
	v_mul_f32_e32 v50, v73, v3
	v_mul_f32_e32 v48, v60, v9
	v_fma_f32 v50, v72, v2, -v50
	v_mul_f32_e32 v3, v72, v3
	v_add_f32_e32 v1, v56, v1
	v_fmac_f32_e32 v48, v61, v8
	v_fmac_f32_e32 v3, v73, v2
	v_add_f32_e32 v50, v0, v50
	v_mul_f32_e32 v0, v73, v9
	v_add_f32_e32 v48, v52, v48
	v_add_f32_e32 v52, v1, v3
	v_fma_f32 v54, v72, v8, -v0
	ds_read2_b64 v[0:3], v4 offset0:128 offset1:160
	ds_read_b128 v[58:61], v49 offset:160
	v_mul_f32_e32 v9, v72, v9
	v_fmac_f32_e32 v9, v73, v8
	v_add_f32_e32 v54, v6, v54
	v_add_f32_e32 v56, v7, v9
	s_waitcnt lgkmcnt(0)
	v_mul_f32_e32 v62, v59, v1
	v_fma_f32 v66, v58, v0, -v62
	ds_read2_b64 v[62:65], v5 offset0:128 offset1:160
	v_mul_f32_e32 v67, v58, v1
	v_fmac_f32_e32 v67, v59, v0
	v_add_f32_e32 v10, v10, v66
	ds_read_b128 v[6:9], v49 offset:176
	s_waitcnt lgkmcnt(1)
	v_mul_f32_e32 v66, v59, v63
	v_add_f32_e32 v11, v11, v67
	v_fma_f32 v70, v58, v62, -v66
	ds_read_b128 v[66:69], v49 offset:4256
	v_mul_f32_e32 v58, v58, v63
	v_fmac_f32_e32 v58, v59, v62
	v_add_f32_e32 v48, v48, v58
	v_add_f32_e32 v46, v46, v70
	s_waitcnt lgkmcnt(0)
	v_mul_f32_e32 v58, v67, v1
	v_fma_f32 v58, v66, v0, -v58
	v_mul_f32_e32 v1, v66, v1
	v_fmac_f32_e32 v1, v67, v0
	v_add_f32_e32 v0, v50, v58
	v_mul_f32_e32 v50, v67, v63
	v_fma_f32 v50, v66, v62, -v50
	v_add_f32_e32 v50, v54, v50
	v_mul_f32_e32 v54, v61, v3
	v_add_f32_e32 v1, v52, v1
	v_mul_f32_e32 v52, v66, v63
	v_fma_f32 v54, v60, v2, -v54
	v_fmac_f32_e32 v52, v67, v62
	v_add_f32_e32 v10, v10, v54
	v_mul_f32_e32 v54, v61, v65
	v_add_f32_e32 v52, v56, v52
	v_mul_f32_e32 v56, v60, v3
	v_fma_f32 v54, v60, v64, -v54
	v_fmac_f32_e32 v56, v61, v2
	v_add_f32_e32 v46, v46, v54
	v_mul_f32_e32 v54, v69, v3
	v_add_f32_e32 v11, v11, v56
	v_mul_f32_e32 v56, v60, v65
	v_fma_f32 v54, v68, v2, -v54
	v_mul_f32_e32 v3, v68, v3
	v_fmac_f32_e32 v56, v61, v64
	v_fmac_f32_e32 v3, v69, v2
	v_add_f32_e32 v54, v0, v54
	v_mul_f32_e32 v0, v69, v65
	v_add_f32_e32 v48, v48, v56
	v_add_f32_e32 v56, v1, v3
	v_fma_f32 v58, v68, v64, -v0
	ds_read2_b64 v[0:3], v4 offset0:192 offset1:224
	v_add_f32_e32 v50, v50, v58
	ds_read2_b64 v[58:61], v5 offset0:192 offset1:224
	ds_read_b128 v[70:73], v49 offset:4272
	v_mul_f32_e32 v4, v68, v65
	s_waitcnt lgkmcnt(2)
	v_mul_f32_e32 v5, v6, v1
	v_fmac_f32_e32 v4, v69, v64
	v_fmac_f32_e32 v5, v7, v0
	v_add_f32_e32 v4, v52, v4
	v_mul_f32_e32 v52, v7, v1
	v_add_f32_e32 v5, v11, v5
	s_waitcnt lgkmcnt(1)
	v_mul_f32_e32 v11, v7, v59
	v_fma_f32 v52, v6, v0, -v52
	v_fma_f32 v11, v6, v58, -v11
	v_mul_f32_e32 v6, v6, v59
	v_fmac_f32_e32 v6, v7, v58
	v_add_f32_e32 v7, v46, v11
	s_waitcnt lgkmcnt(0)
	v_mul_f32_e32 v46, v70, v59
	v_fmac_f32_e32 v46, v71, v58
	v_mul_f32_e32 v11, v71, v1
	v_add_f32_e32 v46, v4, v46
	v_mul_f32_e32 v4, v9, v3
	v_add_f32_e32 v10, v10, v52
	v_fma_f32 v11, v70, v0, -v11
	v_mul_f32_e32 v1, v70, v1
	v_fma_f32 v4, v8, v2, -v4
	v_fmac_f32_e32 v1, v71, v0
	v_add_f32_e32 v0, v54, v11
	v_mul_f32_e32 v11, v71, v59
	v_add_f32_e32 v10, v10, v4
	v_mul_f32_e32 v4, v9, v61
	v_add_f32_e32 v6, v48, v6
	v_fma_f32 v11, v70, v58, -v11
	v_mul_f32_e32 v48, v8, v3
	v_fma_f32 v4, v8, v60, -v4
	v_add_f32_e32 v11, v50, v11
	v_fmac_f32_e32 v48, v9, v2
	v_add_f32_e32 v50, v7, v4
	v_mul_f32_e32 v4, v73, v3
	v_add_f32_e32 v48, v5, v48
	v_mul_f32_e32 v5, v8, v61
	v_fma_f32 v4, v72, v2, -v4
	v_mul_f32_e32 v3, v72, v3
	v_add_f32_e32 v1, v56, v1
	v_fmac_f32_e32 v5, v9, v60
	v_fmac_f32_e32 v3, v73, v2
	v_add_f32_e32 v54, v0, v4
	v_mul_f32_e32 v0, v73, v61
	v_add_u32_e32 v4, 0x1800, v53
	v_add_f32_e32 v52, v6, v5
	v_add_f32_e32 v56, v1, v3
	v_fma_f32 v5, v72, v60, -v0
	ds_read2_b64 v[0:3], v4 offset1:32
	ds_read_b128 v[6:9], v49 offset:192
	v_add_f32_e32 v11, v11, v5
	v_mul_f32_e32 v58, v72, v61
	v_fmac_f32_e32 v58, v73, v60
	v_add_f32_e32 v46, v46, v58
	s_waitcnt lgkmcnt(0)
	v_mul_f32_e32 v5, v7, v1
	v_fma_f32 v66, v6, v0, -v5
	v_add_u32_e32 v5, 0x1800, v57
	ds_read2_b64 v[62:65], v5 offset1:32
	v_mul_f32_e32 v67, v6, v1
	v_fmac_f32_e32 v67, v7, v0
	v_add_f32_e32 v10, v10, v66
	ds_read_b128 v[58:61], v49 offset:208
	s_waitcnt lgkmcnt(1)
	v_mul_f32_e32 v66, v7, v63
	v_add_f32_e32 v48, v48, v67
	v_fma_f32 v70, v6, v62, -v66
	ds_read_b128 v[66:69], v49 offset:4288
	v_mul_f32_e32 v6, v6, v63
	v_fmac_f32_e32 v6, v7, v62
	v_add_f32_e32 v7, v50, v70
	v_add_f32_e32 v6, v52, v6
	s_waitcnt lgkmcnt(0)
	v_mul_f32_e32 v50, v67, v1
	v_fma_f32 v50, v66, v0, -v50
	v_mul_f32_e32 v1, v66, v1
	v_fmac_f32_e32 v1, v67, v0
	v_add_f32_e32 v0, v54, v50
	v_mul_f32_e32 v50, v67, v63
	v_fma_f32 v50, v66, v62, -v50
	v_add_f32_e32 v11, v11, v50
	v_mul_f32_e32 v50, v9, v3
	v_mul_f32_e32 v52, v66, v63
	v_fma_f32 v50, v8, v2, -v50
	v_fmac_f32_e32 v52, v67, v62
	v_add_f32_e32 v10, v10, v50
	v_mul_f32_e32 v50, v9, v65
	v_add_f32_e32 v46, v46, v52
	v_mul_f32_e32 v52, v8, v3
	v_fma_f32 v50, v8, v64, -v50
	v_mul_f32_e32 v8, v8, v65
	v_fmac_f32_e32 v52, v9, v2
	v_fmac_f32_e32 v8, v9, v64
	v_add_f32_e32 v48, v48, v52
	v_add_f32_e32 v52, v6, v8
	v_mul_f32_e32 v6, v69, v3
	v_fma_f32 v6, v68, v2, -v6
	v_mul_f32_e32 v3, v68, v3
	v_add_f32_e32 v1, v56, v1
	v_fmac_f32_e32 v3, v69, v2
	v_add_f32_e32 v54, v0, v6
	v_mul_f32_e32 v0, v69, v65
	v_add_f32_e32 v56, v1, v3
	v_fma_f32 v6, v68, v64, -v0
	ds_read2_b64 v[0:3], v4 offset0:64 offset1:96
	v_add_f32_e32 v50, v7, v50
	v_mul_f32_e32 v7, v68, v65
	v_fmac_f32_e32 v7, v69, v64
	v_add_f32_e32 v11, v11, v6
	s_waitcnt lgkmcnt(0)
	v_mul_f32_e32 v6, v59, v1
	v_add_f32_e32 v46, v46, v7
	v_fma_f32 v62, v58, v0, -v6
	ds_read2_b64 v[6:9], v5 offset0:64 offset1:96
	ds_read_b128 v[70:73], v49 offset:4304
	v_add_f32_e32 v10, v10, v62
	v_mul_f32_e32 v63, v58, v1
	v_fmac_f32_e32 v63, v59, v0
	s_waitcnt lgkmcnt(1)
	v_mul_f32_e32 v62, v59, v7
	v_fma_f32 v62, v58, v6, -v62
	v_mul_f32_e32 v58, v58, v7
	v_fmac_f32_e32 v58, v59, v6
	v_add_f32_e32 v52, v52, v58
	s_waitcnt lgkmcnt(0)
	v_mul_f32_e32 v58, v71, v1
	v_fma_f32 v58, v70, v0, -v58
	v_mul_f32_e32 v1, v70, v1
	v_fmac_f32_e32 v1, v71, v0
	v_add_f32_e32 v0, v54, v58
	v_mul_f32_e32 v54, v71, v7
	v_mul_f32_e32 v7, v70, v7
	v_fma_f32 v54, v70, v6, -v54
	v_fmac_f32_e32 v7, v71, v6
	v_add_f32_e32 v6, v11, v54
	v_add_f32_e32 v7, v46, v7
	v_mul_f32_e32 v11, v61, v3
	v_mul_f32_e32 v46, v60, v3
	v_add_f32_e32 v48, v48, v63
	v_fma_f32 v11, v60, v2, -v11
	v_fmac_f32_e32 v46, v61, v2
	v_add_f32_e32 v10, v10, v11
	v_add_f32_e32 v11, v48, v46
	v_mul_f32_e32 v46, v61, v9
	v_add_f32_e32 v50, v50, v62
	v_fma_f32 v46, v60, v8, -v46
	v_add_f32_e32 v46, v50, v46
	v_mul_f32_e32 v50, v73, v3
	v_mul_f32_e32 v48, v60, v9
	v_fma_f32 v50, v72, v2, -v50
	v_mul_f32_e32 v3, v72, v3
	v_add_f32_e32 v1, v56, v1
	v_fmac_f32_e32 v48, v61, v8
	v_fmac_f32_e32 v3, v73, v2
	v_add_f32_e32 v50, v0, v50
	v_mul_f32_e32 v0, v73, v9
	v_add_f32_e32 v48, v52, v48
	v_add_f32_e32 v52, v1, v3
	v_fma_f32 v54, v72, v8, -v0
	ds_read2_b64 v[0:3], v4 offset0:128 offset1:160
	ds_read_b128 v[58:61], v49 offset:224
	v_mul_f32_e32 v9, v72, v9
	v_fmac_f32_e32 v9, v73, v8
	v_add_f32_e32 v54, v6, v54
	v_add_f32_e32 v56, v7, v9
	s_waitcnt lgkmcnt(0)
	v_mul_f32_e32 v62, v59, v1
	v_fma_f32 v66, v58, v0, -v62
	ds_read2_b64 v[62:65], v5 offset0:128 offset1:160
	v_mul_f32_e32 v67, v58, v1
	v_fmac_f32_e32 v67, v59, v0
	v_add_f32_e32 v10, v10, v66
	ds_read_b128 v[6:9], v49 offset:240
	s_waitcnt lgkmcnt(1)
	v_mul_f32_e32 v66, v59, v63
	v_add_f32_e32 v11, v11, v67
	v_fma_f32 v70, v58, v62, -v66
	ds_read_b128 v[66:69], v49 offset:4320
	v_mul_f32_e32 v58, v58, v63
	v_fmac_f32_e32 v58, v59, v62
	v_add_f32_e32 v48, v48, v58
	v_add_f32_e32 v46, v46, v70
	s_waitcnt lgkmcnt(0)
	v_mul_f32_e32 v58, v67, v1
	v_fma_f32 v58, v66, v0, -v58
	v_mul_f32_e32 v1, v66, v1
	v_fmac_f32_e32 v1, v67, v0
	v_add_f32_e32 v0, v50, v58
	v_mul_f32_e32 v50, v67, v63
	v_fma_f32 v50, v66, v62, -v50
	v_add_f32_e32 v50, v54, v50
	v_mul_f32_e32 v54, v61, v3
	v_add_f32_e32 v1, v52, v1
	v_mul_f32_e32 v52, v66, v63
	v_fma_f32 v54, v60, v2, -v54
	v_fmac_f32_e32 v52, v67, v62
	v_add_f32_e32 v10, v10, v54
	v_mul_f32_e32 v54, v61, v65
	v_add_f32_e32 v52, v56, v52
	v_mul_f32_e32 v56, v60, v3
	v_fma_f32 v54, v60, v64, -v54
	v_fmac_f32_e32 v56, v61, v2
	v_add_f32_e32 v46, v46, v54
	v_mul_f32_e32 v54, v69, v3
	v_add_f32_e32 v11, v11, v56
	v_mul_f32_e32 v56, v60, v65
	v_fma_f32 v54, v68, v2, -v54
	v_mul_f32_e32 v3, v68, v3
	v_fmac_f32_e32 v56, v61, v64
	v_fmac_f32_e32 v3, v69, v2
	v_add_f32_e32 v54, v0, v54
	v_mul_f32_e32 v0, v69, v65
	v_add_f32_e32 v48, v48, v56
	v_add_f32_e32 v56, v1, v3
	v_fma_f32 v58, v68, v64, -v0
	ds_read2_b64 v[0:3], v4 offset0:192 offset1:224
	ds_read2_b64 v[60:63], v5 offset0:192 offset1:224
	ds_read_b128 v[70:73], v49 offset:4336
	v_mul_f32_e32 v4, v68, v65
	v_fmac_f32_e32 v4, v69, v64
	s_waitcnt lgkmcnt(2)
	v_mul_f32_e32 v5, v6, v1
	v_fmac_f32_e32 v5, v7, v0
	v_add_f32_e32 v4, v52, v4
	v_mul_f32_e32 v52, v7, v1
	v_add_f32_e32 v5, v11, v5
	s_waitcnt lgkmcnt(1)
	v_mul_f32_e32 v11, v7, v61
	v_fma_f32 v52, v6, v0, -v52
	v_fma_f32 v11, v6, v60, -v11
	v_mul_f32_e32 v6, v6, v61
	v_fmac_f32_e32 v6, v7, v60
	v_add_f32_e32 v7, v46, v11
	s_waitcnt lgkmcnt(0)
	v_mul_f32_e32 v11, v71, v1
	v_add_f32_e32 v6, v48, v6
	v_fma_f32 v11, v70, v0, -v11
	v_mul_f32_e32 v1, v70, v1
	v_mul_f32_e32 v48, v8, v3
	v_fmac_f32_e32 v1, v71, v0
	v_add_f32_e32 v0, v54, v11
	v_mul_f32_e32 v11, v71, v61
	v_mul_f32_e32 v46, v70, v61
	v_fmac_f32_e32 v48, v9, v2
	v_fma_f32 v11, v70, v60, -v11
	v_fmac_f32_e32 v46, v71, v60
	v_add_f32_e32 v60, v5, v48
	v_mul_f32_e32 v5, v9, v63
	v_fma_f32 v5, v8, v62, -v5
	v_add_f32_e32 v54, v7, v5
	v_mul_f32_e32 v5, v73, v3
	v_add_f32_e32 v50, v50, v58
	v_fma_f32 v5, v72, v2, -v5
	v_add_f32_e32 v11, v50, v11
	v_add_f32_e32 v50, v0, v5
	v_mul_f32_e32 v0, v73, v63
	v_fma_f32 v0, v72, v62, -v0
	v_add_f32_e32 v48, v11, v0
	v_mov_b32_e32 v0, s31
	v_add_co_u32_e64 v30, s[10:11], s30, v30
	v_add_f32_e32 v4, v4, v46
	v_mul_f32_e32 v46, v9, v3
	v_mul_f32_e32 v3, v72, v3
	v_addc_co_u32_e64 v31, s[10:11], v31, v0, s[10:11]
	v_add_f32_e32 v1, v56, v1
	v_fmac_f32_e32 v3, v73, v2
	v_add_co_u32_e64 v32, s[10:11], s30, v32
	v_add_f32_e32 v10, v10, v52
	v_fma_f32 v46, v8, v2, -v46
	v_mul_f32_e32 v8, v8, v63
	v_add_f32_e32 v52, v1, v3
	v_mul_f32_e32 v1, v72, v63
	s_add_u32 s42, s42, 32
	v_addc_co_u32_e64 v33, s[10:11], v33, v0, s[10:11]
	v_fmac_f32_e32 v8, v9, v62
	v_fmac_f32_e32 v1, v73, v62
	s_addc_u32 s43, s43, 0
	v_mov_b32_e32 v0, s39
	v_add_co_u32_e64 v44, s[10:11], s38, v44
	v_add_f32_e32 v58, v10, v46
	v_add_f32_e32 v56, v6, v8
	;; [unrolled: 1-line block ×3, first 2 shown]
	s_cmp_ge_i32 s42, s60
	v_addc_co_u32_e64 v45, s[10:11], v45, v0, s[10:11]
	s_barrier
	s_cbranch_scc1 .LBB94_55
.LBB94_7:                               ;   Parent Loop BB94_4 Depth=1
                                        ; =>  This Inner Loop Header: Depth=2
	v_mov_b32_e32 v0, s43
	v_add_co_u32_e64 v2, s[10:11], s42, v18
	v_addc_co_u32_e64 v3, s[10:11], v19, v0, s[10:11]
	v_add_co_u32_e64 v0, s[10:11], v32, v28
	v_addc_co_u32_e64 v1, s[10:11], v33, v29, s[10:11]
	v_cmp_eq_u64_e64 s[10:11], s[42:43], v[26:27]
	s_and_b64 s[50:51], s[28:29], s[10:11]
	v_cmp_lt_i64_e64 s[10:11], v[2:3], v[24:25]
	v_cmp_le_i64_e64 s[12:13], s[46:47], v[2:3]
	s_or_b64 s[14:15], vcc, s[10:11]
	s_or_b64 s[14:15], s[12:13], s[14:15]
	s_or_b64 s[14:15], s[14:15], s[50:51]
	s_xor_b64 s[14:15], s[14:15], -1
	s_and_saveexec_b64 s[18:19], s[14:15]
	s_xor_b64 s[14:15], exec, s[18:19]
	s_cbranch_execz .LBB94_9
; %bb.8:                                ;   in Loop: Header=BB94_7 Depth=2
	global_load_dwordx2 v[4:5], v[0:1], off
	s_waitcnt vmcnt(0)
	v_xor_b32_e32 v5, 0x80000000, v5
	ds_write_b64 v51, v[4:5]
.LBB94_9:                               ;   in Loop: Header=BB94_7 Depth=2
	s_or_saveexec_b64 s[14:15], s[14:15]
	s_xor_b64 s[44:45], s[50:51], -1
	s_xor_b64 exec, exec, s[14:15]
	s_cbranch_execz .LBB94_15
; %bb.10:                               ;   in Loop: Header=BB94_7 Depth=2
	s_and_saveexec_b64 s[18:19], s[44:45]
	s_xor_b64 s[18:19], exec, s[18:19]
	s_cbranch_execz .LBB94_12
; %bb.11:                               ;   in Loop: Header=BB94_7 Depth=2
	v_mov_b32_e32 v4, v23
	v_mov_b32_e32 v5, v23
	ds_write_b64 v51, v[4:5]
.LBB94_12:                              ;   in Loop: Header=BB94_7 Depth=2
	s_andn2_saveexec_b64 s[18:19], s[18:19]
	s_cbranch_execz .LBB94_14
; %bb.13:                               ;   in Loop: Header=BB94_7 Depth=2
	ds_write_b64 v51, v[22:23]
.LBB94_14:                              ;   in Loop: Header=BB94_7 Depth=2
	s_or_b64 exec, exec, s[18:19]
.LBB94_15:                              ;   in Loop: Header=BB94_7 Depth=2
	s_or_b64 exec, exec, s[14:15]
	v_add_co_u32_e64 v4, s[14:15], 16, v2
	v_addc_co_u32_e64 v5, s[14:15], 0, v3, s[14:15]
	v_cmp_eq_u64_e64 s[14:15], s[42:43], v[42:43]
	v_cmp_lt_i64_e64 s[18:19], v[4:5], v[24:25]
	s_and_b64 s[52:53], s[28:29], s[14:15]
	v_cmp_le_i64_e64 s[14:15], s[46:47], v[4:5]
	s_or_b64 s[18:19], vcc, s[18:19]
	s_or_b64 s[18:19], s[14:15], s[18:19]
	s_or_b64 s[18:19], s[18:19], s[52:53]
	s_xor_b64 s[18:19], s[18:19], -1
	s_and_saveexec_b64 s[54:55], s[18:19]
	s_xor_b64 s[54:55], exec, s[54:55]
	s_cbranch_execz .LBB94_17
; %bb.16:                               ;   in Loop: Header=BB94_7 Depth=2
	v_add_co_u32_e64 v4, s[18:19], v30, v28
	v_addc_co_u32_e64 v5, s[18:19], v31, v29, s[18:19]
	global_load_dwordx2 v[4:5], v[4:5], off
	s_waitcnt vmcnt(0)
	v_xor_b32_e32 v5, 0x80000000, v5
	ds_write_b64 v51, v[4:5] offset:128
.LBB94_17:                              ;   in Loop: Header=BB94_7 Depth=2
	s_andn2_saveexec_b64 s[18:19], s[54:55]
	s_cbranch_execz .LBB94_23
; %bb.18:                               ;   in Loop: Header=BB94_7 Depth=2
	s_xor_b64 s[52:53], s[52:53], -1
	s_and_saveexec_b64 s[54:55], s[52:53]
	s_xor_b64 s[52:53], exec, s[54:55]
	s_cbranch_execz .LBB94_20
; %bb.19:                               ;   in Loop: Header=BB94_7 Depth=2
	v_mov_b32_e32 v4, v23
	v_mov_b32_e32 v5, v23
	ds_write_b64 v51, v[4:5] offset:128
.LBB94_20:                              ;   in Loop: Header=BB94_7 Depth=2
	s_andn2_saveexec_b64 s[52:53], s[52:53]
	s_cbranch_execz .LBB94_22
; %bb.21:                               ;   in Loop: Header=BB94_7 Depth=2
	ds_write_b64 v51, v[22:23] offset:128
.LBB94_22:                              ;   in Loop: Header=BB94_7 Depth=2
	s_or_b64 exec, exec, s[52:53]
.LBB94_23:                              ;   in Loop: Header=BB94_7 Depth=2
	s_or_b64 exec, exec, s[18:19]
	v_cmp_eq_u64_e64 s[18:19], s[42:43], v[40:41]
	s_and_b64 s[52:53], s[28:29], s[18:19]
	v_cmp_lt_i64_e64 s[18:19], v[2:3], v[38:39]
	s_or_b64 s[18:19], s[8:9], s[18:19]
	s_or_b64 s[18:19], s[18:19], s[52:53]
	;; [unrolled: 1-line block ×3, first 2 shown]
	s_xor_b64 s[12:13], s[12:13], -1
	s_and_saveexec_b64 s[18:19], s[12:13]
	s_xor_b64 s[12:13], exec, s[18:19]
	s_cbranch_execz .LBB94_25
; %bb.24:                               ;   in Loop: Header=BB94_7 Depth=2
	global_load_dwordx2 v[0:1], v[0:1], off offset:128
	s_waitcnt vmcnt(0)
	v_xor_b32_e32 v1, 0x80000000, v1
	ds_write_b64 v51, v[0:1] offset:4096
.LBB94_25:                              ;   in Loop: Header=BB94_7 Depth=2
	s_andn2_saveexec_b64 s[12:13], s[12:13]
	s_cbranch_execz .LBB94_31
; %bb.26:                               ;   in Loop: Header=BB94_7 Depth=2
	s_xor_b64 s[18:19], s[52:53], -1
	s_and_saveexec_b64 s[52:53], s[18:19]
	s_xor_b64 s[18:19], exec, s[52:53]
	s_cbranch_execz .LBB94_28
; %bb.27:                               ;   in Loop: Header=BB94_7 Depth=2
	v_mov_b32_e32 v0, v23
	v_mov_b32_e32 v1, v23
	ds_write_b64 v51, v[0:1] offset:4096
.LBB94_28:                              ;   in Loop: Header=BB94_7 Depth=2
	s_andn2_saveexec_b64 s[18:19], s[18:19]
	s_cbranch_execz .LBB94_30
; %bb.29:                               ;   in Loop: Header=BB94_7 Depth=2
	ds_write_b64 v51, v[22:23] offset:4096
.LBB94_30:                              ;   in Loop: Header=BB94_7 Depth=2
	s_or_b64 exec, exec, s[18:19]
.LBB94_31:                              ;   in Loop: Header=BB94_7 Depth=2
	s_or_b64 exec, exec, s[12:13]
	s_or_b64 s[10:11], s[8:9], s[10:11]
	s_or_b64 s[10:11], s[14:15], s[10:11]
	;; [unrolled: 1-line block ×3, first 2 shown]
	s_xor_b64 s[10:11], s[10:11], -1
	s_and_saveexec_b64 s[12:13], s[10:11]
	s_xor_b64 s[12:13], exec, s[12:13]
	s_cbranch_execz .LBB94_33
; %bb.32:                               ;   in Loop: Header=BB94_7 Depth=2
	v_add_co_u32_e64 v0, s[10:11], v30, v28
	v_addc_co_u32_e64 v1, s[10:11], v31, v29, s[10:11]
	global_load_dwordx2 v[0:1], v[0:1], off offset:128
	s_waitcnt vmcnt(0)
	v_xor_b32_e32 v1, 0x80000000, v1
	ds_write_b64 v51, v[0:1] offset:4224
.LBB94_33:                              ;   in Loop: Header=BB94_7 Depth=2
	s_andn2_saveexec_b64 s[10:11], s[12:13]
	s_cbranch_execz .LBB94_39
; %bb.34:                               ;   in Loop: Header=BB94_7 Depth=2
	s_and_saveexec_b64 s[12:13], s[44:45]
	s_xor_b64 s[12:13], exec, s[12:13]
	s_cbranch_execz .LBB94_36
; %bb.35:                               ;   in Loop: Header=BB94_7 Depth=2
	v_mov_b32_e32 v0, v23
	v_mov_b32_e32 v1, v23
	ds_write_b64 v51, v[0:1] offset:4224
.LBB94_36:                              ;   in Loop: Header=BB94_7 Depth=2
	s_andn2_saveexec_b64 s[12:13], s[12:13]
	s_cbranch_execz .LBB94_38
; %bb.37:                               ;   in Loop: Header=BB94_7 Depth=2
	ds_write_b64 v51, v[22:23] offset:4224
.LBB94_38:                              ;   in Loop: Header=BB94_7 Depth=2
	s_or_b64 exec, exec, s[12:13]
.LBB94_39:                              ;   in Loop: Header=BB94_7 Depth=2
	s_or_b64 exec, exec, s[10:11]
	v_mov_b32_e32 v1, s43
	v_add_co_u32_e64 v0, s[10:11], s42, v20
	v_addc_co_u32_e64 v1, s[10:11], v21, v1, s[10:11]
	v_add_co_u32_e64 v2, s[10:11], v44, v34
	v_addc_co_u32_e64 v3, s[10:11], v45, v35, s[10:11]
	v_cmp_le_i64_e64 s[10:11], s[46:47], v[0:1]
	s_or_b64 s[12:13], s[10:11], s[0:1]
	s_xor_b64 s[12:13], s[12:13], -1
	s_and_saveexec_b64 s[14:15], s[12:13]
	s_xor_b64 s[12:13], exec, s[14:15]
	s_cbranch_execz .LBB94_41
; %bb.40:                               ;   in Loop: Header=BB94_7 Depth=2
	global_load_dwordx2 v[4:5], v[2:3], off offset:-128
	s_waitcnt vmcnt(0)
	ds_write_b64 v55, v[4:5]
.LBB94_41:                              ;   in Loop: Header=BB94_7 Depth=2
	s_andn2_saveexec_b64 s[12:13], s[12:13]
	s_cbranch_execz .LBB94_43
; %bb.42:                               ;   in Loop: Header=BB94_7 Depth=2
	v_mov_b32_e32 v4, v23
	v_mov_b32_e32 v5, v23
	ds_write_b64 v55, v[4:5]
.LBB94_43:                              ;   in Loop: Header=BB94_7 Depth=2
	s_or_b64 exec, exec, s[12:13]
	s_or_b64 s[10:11], s[10:11], s[2:3]
	s_xor_b64 s[10:11], s[10:11], -1
	s_and_saveexec_b64 s[12:13], s[10:11]
	s_xor_b64 s[10:11], exec, s[12:13]
	s_cbranch_execz .LBB94_45
; %bb.44:                               ;   in Loop: Header=BB94_7 Depth=2
	global_load_dwordx2 v[2:3], v[2:3], off
	s_waitcnt vmcnt(0)
	ds_write_b64 v55, v[2:3] offset:128
.LBB94_45:                              ;   in Loop: Header=BB94_7 Depth=2
	s_andn2_saveexec_b64 s[10:11], s[10:11]
	s_cbranch_execz .LBB94_47
; %bb.46:                               ;   in Loop: Header=BB94_7 Depth=2
	v_mov_b32_e32 v2, v23
	v_mov_b32_e32 v3, v23
	ds_write_b64 v55, v[2:3] offset:128
.LBB94_47:                              ;   in Loop: Header=BB94_7 Depth=2
	s_or_b64 exec, exec, s[10:11]
	v_cmp_le_i64_e64 s[10:11], s[40:41], v[0:1]
	s_or_b64 s[12:13], s[10:11], s[0:1]
	s_xor_b64 s[12:13], s[12:13], -1
	s_and_saveexec_b64 s[14:15], s[12:13]
	s_xor_b64 s[14:15], exec, s[14:15]
	s_cbranch_execz .LBB94_49
; %bb.48:                               ;   in Loop: Header=BB94_7 Depth=2
	v_add_co_u32_e64 v0, s[12:13], v44, v36
	v_addc_co_u32_e64 v1, s[12:13], v45, v37, s[12:13]
	global_load_dwordx2 v[0:1], v[0:1], off offset:-128
	s_waitcnt vmcnt(0)
	ds_write_b64 v55, v[0:1] offset:4096
.LBB94_49:                              ;   in Loop: Header=BB94_7 Depth=2
	s_andn2_saveexec_b64 s[12:13], s[14:15]
	s_cbranch_execz .LBB94_51
; %bb.50:                               ;   in Loop: Header=BB94_7 Depth=2
	v_mov_b32_e32 v0, v23
	v_mov_b32_e32 v1, v23
	ds_write_b64 v55, v[0:1] offset:4096
.LBB94_51:                              ;   in Loop: Header=BB94_7 Depth=2
	s_or_b64 exec, exec, s[12:13]
	s_or_b64 s[10:11], s[10:11], s[2:3]
	s_xor_b64 s[10:11], s[10:11], -1
	s_and_saveexec_b64 s[12:13], s[10:11]
	s_xor_b64 s[12:13], exec, s[12:13]
	s_cbranch_execz .LBB94_53
; %bb.52:                               ;   in Loop: Header=BB94_7 Depth=2
	v_add_co_u32_e64 v0, s[10:11], v44, v36
	v_addc_co_u32_e64 v1, s[10:11], v45, v37, s[10:11]
	global_load_dwordx2 v[0:1], v[0:1], off
	s_waitcnt vmcnt(0)
	ds_write_b64 v55, v[0:1] offset:4224
.LBB94_53:                              ;   in Loop: Header=BB94_7 Depth=2
	s_andn2_saveexec_b64 s[10:11], s[12:13]
	s_cbranch_execz .LBB94_6
; %bb.54:                               ;   in Loop: Header=BB94_7 Depth=2
	v_mov_b32_e32 v0, v23
	v_mov_b32_e32 v1, v23
	ds_write_b64 v55, v[0:1] offset:4224
	s_branch .LBB94_6
.LBB94_55:                              ;   in Loop: Header=BB94_4 Depth=1
	v_mul_lo_u32 v2, v25, s48
	v_mul_lo_u32 v3, v24, s49
	v_mad_u64_u32 v[0:1], s[8:9], v24, s48, 0
	v_add3_u32 v1, v1, v3, v2
	v_lshlrev_b64 v[0:1], 3, v[0:1]
	v_mov_b32_e32 v2, s58
	v_add_co_u32_e64 v0, s[8:9], s57, v0
	v_cmp_gt_i32_e32 vcc, s46, v24
	v_addc_co_u32_e64 v1, s[8:9], v2, v1, s[8:9]
	s_and_b64 s[8:9], s[4:5], vcc
	s_and_saveexec_b64 s[10:11], s[8:9]
	s_cbranch_execz .LBB94_57
; %bb.56:                               ;   in Loop: Header=BB94_4 Depth=1
	v_add_co_u32_e64 v2, s[8:9], v0, v12
	v_addc_co_u32_e64 v3, s[8:9], v1, v13, s[8:9]
	global_load_dwordx2 v[4:5], v[2:3], off
	v_pk_mul_f32 v[6:7], v[60:61], s[34:35] op_sel_hi:[0,1]
	v_pk_fma_f32 v[8:9], v[58:59], s[34:35], v[6:7] op_sel:[0,0,1] op_sel_hi:[1,1,0] neg_lo:[0,0,1] neg_hi:[0,0,1]
	v_pk_fma_f32 v[6:7], v[58:59], s[34:35], v[6:7] op_sel:[0,0,1] op_sel_hi:[0,1,0]
	v_mov_b32_e32 v9, v7
	s_waitcnt vmcnt(0)
	v_pk_add_f32 v[4:5], v[4:5], v[8:9]
	global_store_dwordx2 v[2:3], v[4:5], off
.LBB94_57:                              ;   in Loop: Header=BB94_4 Depth=1
	s_or_b64 exec, exec, s[10:11]
	s_and_b64 s[10:11], s[16:17], vcc
	s_and_saveexec_b64 s[8:9], s[10:11]
	s_cbranch_execz .LBB94_59
; %bb.58:                               ;   in Loop: Header=BB94_4 Depth=1
	v_lshlrev_b64 v[2:3], 3, v[16:17]
	v_add_co_u32_e32 v0, vcc, v0, v2
	v_addc_co_u32_e32 v1, vcc, v1, v3, vcc
	global_load_dwordx2 v[2:3], v[0:1], off
	v_pk_mul_f32 v[4:5], v[56:57], s[34:35] op_sel_hi:[0,1]
	v_pk_fma_f32 v[6:7], v[54:55], s[34:35], v[4:5] op_sel:[0,0,1] op_sel_hi:[1,1,0] neg_lo:[0,0,1] neg_hi:[0,0,1]
	v_pk_fma_f32 v[4:5], v[54:55], s[34:35], v[4:5] op_sel:[0,0,1] op_sel_hi:[0,1,0]
	v_mov_b32_e32 v7, v5
	s_waitcnt vmcnt(0)
	v_pk_add_f32 v[2:3], v[2:3], v[6:7]
	global_store_dwordx2 v[0:1], v[2:3], off
.LBB94_59:                              ;   in Loop: Header=BB94_4 Depth=1
	s_or_b64 exec, exec, s[8:9]
	v_add_u32_e32 v0, 16, v24
	v_ashrrev_i32_e32 v1, 31, v0
	v_cmp_gt_i32_e32 vcc, s46, v0
	v_mul_lo_u32 v2, v1, s48
	v_mul_lo_u32 v3, v0, s49
	v_mad_u64_u32 v[0:1], s[8:9], v0, s48, 0
	v_add3_u32 v1, v1, v3, v2
	v_lshlrev_b64 v[0:1], 3, v[0:1]
	v_mov_b32_e32 v2, s58
	v_add_co_u32_e64 v0, s[8:9], s57, v0
	v_addc_co_u32_e64 v1, s[8:9], v2, v1, s[8:9]
	s_and_b64 s[8:9], s[4:5], vcc
	s_and_saveexec_b64 s[10:11], s[8:9]
	s_cbranch_execz .LBB94_61
; %bb.60:                               ;   in Loop: Header=BB94_4 Depth=1
	v_add_co_u32_e64 v2, s[8:9], v0, v12
	v_addc_co_u32_e64 v3, s[8:9], v1, v13, s[8:9]
	global_load_dwordx2 v[4:5], v[2:3], off
	v_pk_mul_f32 v[6:7], v[52:53], s[34:35] op_sel_hi:[0,1]
	v_pk_fma_f32 v[8:9], v[50:51], s[34:35], v[6:7] op_sel:[0,0,1] op_sel_hi:[1,1,0] neg_lo:[0,0,1] neg_hi:[0,0,1]
	v_pk_fma_f32 v[6:7], v[50:51], s[34:35], v[6:7] op_sel:[0,0,1] op_sel_hi:[0,1,0]
	v_mov_b32_e32 v9, v7
	s_waitcnt vmcnt(0)
	v_pk_add_f32 v[4:5], v[4:5], v[8:9]
	global_store_dwordx2 v[2:3], v[4:5], off
.LBB94_61:                              ;   in Loop: Header=BB94_4 Depth=1
	s_or_b64 exec, exec, s[10:11]
	s_and_b64 s[10:11], s[16:17], vcc
	s_and_saveexec_b64 s[8:9], s[10:11]
	s_cbranch_execz .LBB94_3
; %bb.62:                               ;   in Loop: Header=BB94_4 Depth=1
	v_lshlrev_b64 v[2:3], 3, v[16:17]
	v_add_co_u32_e32 v0, vcc, v0, v2
	v_addc_co_u32_e32 v1, vcc, v1, v3, vcc
	global_load_dwordx2 v[2:3], v[0:1], off
	v_pk_mul_f32 v[4:5], v[46:47], s[34:35] op_sel_hi:[0,1]
	v_pk_fma_f32 v[6:7], v[48:49], s[34:35], v[4:5] op_sel:[0,0,1] op_sel_hi:[1,1,0] neg_lo:[0,0,1] neg_hi:[0,0,1]
	v_pk_fma_f32 v[4:5], v[48:49], s[34:35], v[4:5] op_sel:[0,0,1] op_sel_hi:[0,1,0]
	v_mov_b32_e32 v7, v5
	s_waitcnt vmcnt(0)
	v_pk_add_f32 v[2:3], v[2:3], v[6:7]
	global_store_dwordx2 v[0:1], v[2:3], off
	s_branch .LBB94_3
.LBB94_63:
	s_endpgm
	.section	.rodata,"a",@progbits
	.p2align	6, 0x0
	.amdhsa_kernel _ZL30rocblas_trmm_outofplace_kernelI19rocblas_complex_numIfELi32ELi2ELb0ELb1ELb1ELb1EPKS1_S2_S1_Ev17rocblas_diagonal_iiT6_lPT7_lllS7_lllPT8_llli
		.amdhsa_group_segment_fixed_size 16384
		.amdhsa_private_segment_fixed_size 0
		.amdhsa_kernarg_size 392
		.amdhsa_user_sgpr_count 6
		.amdhsa_user_sgpr_private_segment_buffer 1
		.amdhsa_user_sgpr_dispatch_ptr 0
		.amdhsa_user_sgpr_queue_ptr 0
		.amdhsa_user_sgpr_kernarg_segment_ptr 1
		.amdhsa_user_sgpr_dispatch_id 0
		.amdhsa_user_sgpr_flat_scratch_init 0
		.amdhsa_user_sgpr_kernarg_preload_length 0
		.amdhsa_user_sgpr_kernarg_preload_offset 0
		.amdhsa_user_sgpr_private_segment_size 0
		.amdhsa_uses_dynamic_stack 0
		.amdhsa_system_sgpr_private_segment_wavefront_offset 0
		.amdhsa_system_sgpr_workgroup_id_x 1
		.amdhsa_system_sgpr_workgroup_id_y 1
		.amdhsa_system_sgpr_workgroup_id_z 1
		.amdhsa_system_sgpr_workgroup_info 0
		.amdhsa_system_vgpr_workitem_id 1
		.amdhsa_next_free_vgpr 80
		.amdhsa_next_free_sgpr 61
		.amdhsa_accum_offset 80
		.amdhsa_reserve_vcc 1
		.amdhsa_reserve_flat_scratch 0
		.amdhsa_float_round_mode_32 0
		.amdhsa_float_round_mode_16_64 0
		.amdhsa_float_denorm_mode_32 3
		.amdhsa_float_denorm_mode_16_64 3
		.amdhsa_dx10_clamp 1
		.amdhsa_ieee_mode 1
		.amdhsa_fp16_overflow 0
		.amdhsa_tg_split 0
		.amdhsa_exception_fp_ieee_invalid_op 0
		.amdhsa_exception_fp_denorm_src 0
		.amdhsa_exception_fp_ieee_div_zero 0
		.amdhsa_exception_fp_ieee_overflow 0
		.amdhsa_exception_fp_ieee_underflow 0
		.amdhsa_exception_fp_ieee_inexact 0
		.amdhsa_exception_int_div_zero 0
	.end_amdhsa_kernel
	.section	.text._ZL30rocblas_trmm_outofplace_kernelI19rocblas_complex_numIfELi32ELi2ELb0ELb1ELb1ELb1EPKS1_S2_S1_Ev17rocblas_diagonal_iiT6_lPT7_lllS7_lllPT8_llli,"axG",@progbits,_ZL30rocblas_trmm_outofplace_kernelI19rocblas_complex_numIfELi32ELi2ELb0ELb1ELb1ELb1EPKS1_S2_S1_Ev17rocblas_diagonal_iiT6_lPT7_lllS7_lllPT8_llli,comdat
.Lfunc_end94:
	.size	_ZL30rocblas_trmm_outofplace_kernelI19rocblas_complex_numIfELi32ELi2ELb0ELb1ELb1ELb1EPKS1_S2_S1_Ev17rocblas_diagonal_iiT6_lPT7_lllS7_lllPT8_llli, .Lfunc_end94-_ZL30rocblas_trmm_outofplace_kernelI19rocblas_complex_numIfELi32ELi2ELb0ELb1ELb1ELb1EPKS1_S2_S1_Ev17rocblas_diagonal_iiT6_lPT7_lllS7_lllPT8_llli
                                        ; -- End function
	.section	.AMDGPU.csdata,"",@progbits
; Kernel info:
; codeLenInByte = 6752
; NumSgprs: 65
; NumVgprs: 80
; NumAgprs: 0
; TotalNumVgprs: 80
; ScratchSize: 0
; MemoryBound: 0
; FloatMode: 240
; IeeeMode: 1
; LDSByteSize: 16384 bytes/workgroup (compile time only)
; SGPRBlocks: 8
; VGPRBlocks: 9
; NumSGPRsForWavesPerEU: 65
; NumVGPRsForWavesPerEU: 80
; AccumOffset: 80
; Occupancy: 6
; WaveLimiterHint : 0
; COMPUTE_PGM_RSRC2:SCRATCH_EN: 0
; COMPUTE_PGM_RSRC2:USER_SGPR: 6
; COMPUTE_PGM_RSRC2:TRAP_HANDLER: 0
; COMPUTE_PGM_RSRC2:TGID_X_EN: 1
; COMPUTE_PGM_RSRC2:TGID_Y_EN: 1
; COMPUTE_PGM_RSRC2:TGID_Z_EN: 1
; COMPUTE_PGM_RSRC2:TIDIG_COMP_CNT: 1
; COMPUTE_PGM_RSRC3_GFX90A:ACCUM_OFFSET: 19
; COMPUTE_PGM_RSRC3_GFX90A:TG_SPLIT: 0
	.section	.text._ZL30rocblas_trmm_outofplace_kernelI19rocblas_complex_numIfELi32ELi2ELb0ELb1ELb1ELb1ES1_KS1_S1_Ev17rocblas_diagonal_iiT6_lPT7_lllS6_lllPT8_llli,"axG",@progbits,_ZL30rocblas_trmm_outofplace_kernelI19rocblas_complex_numIfELi32ELi2ELb0ELb1ELb1ELb1ES1_KS1_S1_Ev17rocblas_diagonal_iiT6_lPT7_lllS6_lllPT8_llli,comdat
	.globl	_ZL30rocblas_trmm_outofplace_kernelI19rocblas_complex_numIfELi32ELi2ELb0ELb1ELb1ELb1ES1_KS1_S1_Ev17rocblas_diagonal_iiT6_lPT7_lllS6_lllPT8_llli ; -- Begin function _ZL30rocblas_trmm_outofplace_kernelI19rocblas_complex_numIfELi32ELi2ELb0ELb1ELb1ELb1ES1_KS1_S1_Ev17rocblas_diagonal_iiT6_lPT7_lllS6_lllPT8_llli
	.p2align	8
	.type	_ZL30rocblas_trmm_outofplace_kernelI19rocblas_complex_numIfELi32ELi2ELb0ELb1ELb1ELb1ES1_KS1_S1_Ev17rocblas_diagonal_iiT6_lPT7_lllS6_lllPT8_llli,@function
_ZL30rocblas_trmm_outofplace_kernelI19rocblas_complex_numIfELi32ELi2ELb0ELb1ELb1ELb1ES1_KS1_S1_Ev17rocblas_diagonal_iiT6_lPT7_lllS6_lllPT8_llli: ; @_ZL30rocblas_trmm_outofplace_kernelI19rocblas_complex_numIfELi32ELi2ELb0ELb1ELb1ELb1ES1_KS1_S1_Ev17rocblas_diagonal_iiT6_lPT7_lllS6_lllPT8_llli
; %bb.0:
	s_load_dwordx4 s[24:27], s[4:5], 0x0
	s_load_dword s29, s[4:5], 0x10
	s_waitcnt lgkmcnt(0)
	s_or_b32 s0, s27, s29
	s_bitset0_b32 s0, 31
	s_cmp_eq_u32 s0, 0
	s_cbranch_scc1 .LBB95_63
; %bb.1:
	s_add_i32 s0, s26, -1
	s_ashr_i32 s1, s0, 31
	s_lshr_b32 s1, s1, 27
	s_add_i32 s0, s0, s1
	s_ashr_i32 s33, s0, 5
	s_cmp_gt_i32 s7, s33
	s_cbranch_scc1 .LBB95_63
; %bb.2:
	s_load_dwordx16 s[36:51], s[4:5], 0x20
	s_load_dwordx8 s[16:23], s[4:5], 0x60
	v_and_b32_e32 v4, 0x3ff, v0
	s_mov_b32 s28, s27
	v_bfe_u32 v47, v0, 10, 10
	s_waitcnt lgkmcnt(0)
	s_mul_i32 s0, s8, s51
	s_mul_hi_u32 s1, s8, s50
	s_add_i32 s1, s1, s0
	s_mul_i32 s0, s8, s50
	s_lshl_b64 s[0:1], s[0:1], 3
	s_add_u32 s2, s44, s0
	s_addc_u32 s3, s45, s1
	s_lshl_b64 s[0:1], s[46:47], 3
	s_add_u32 s2, s2, s0
	s_addc_u32 s3, s3, s1
	s_mul_i32 s0, s8, s23
	s_mul_hi_u32 s1, s8, s22
	s_add_i32 s1, s1, s0
	s_mul_i32 s0, s8, s22
	s_lshl_b64 s[0:1], s[0:1], 3
	s_add_u32 s9, s16, s0
	s_addc_u32 s10, s17, s1
	s_lshl_b64 s[0:1], s[18:19], 3
	s_add_u32 s56, s9, s0
	s_addc_u32 s57, s10, s1
	s_cmpk_eq_i32 s24, 0x84
	v_lshl_add_u32 v0, s6, 5, v4
	s_cselect_b64 s[22:23], -1, 0
	s_ashr_i32 s27, s26, 31
	s_ashr_i32 s0, s25, 31
	s_lshl_b64 s[30:31], s[40:41], 8
	s_lshl_b64 s[34:35], s[48:49], 8
	s_load_dword s6, s[4:5], 0x8c
	s_add_u32 s44, s26, -16
	v_ashrrev_i32_e32 v1, 31, v0
	s_addc_u32 s45, s27, -1
	s_lshl_b32 s9, s7, 5
	v_lshlrev_b64 v[12:13], 3, v[0:1]
	v_add_u32_e32 v18, s9, v4
	v_add_u32_e32 v20, s9, v47
	s_mul_i32 s9, s43, s8
	s_mul_hi_u32 s10, s42, s8
	v_mov_b32_e32 v2, s3
	v_add_co_u32_e32 v14, vcc, s2, v12
	s_add_i32 s9, s10, s9
	s_mul_i32 s8, s42, s8
	v_addc_co_u32_e32 v15, vcc, v2, v13, vcc
	s_waitcnt lgkmcnt(0)
	s_lshl_b32 s58, s6, 5
	s_lshl_b64 s[8:9], s[8:9], 3
	s_lshl_b64 s[10:11], s[38:39], 3
	v_mov_b32_e32 v3, s0
	v_sub_co_u32_e32 v2, vcc, s25, v0
	s_add_u32 s8, s8, s10
	v_subb_co_u32_e32 v3, vcc, v3, v1, vcc
	v_lshlrev_b32_e32 v1, 3, v4
	s_addc_u32 s9, s9, s11
	v_lshlrev_b32_e32 v49, 8, v47
	v_or_b32_e32 v53, 0x2000, v1
	v_add_u32_e32 v16, 16, v0
	s_add_u32 s24, s36, s8
	v_add_u32_e32 v51, v49, v1
	v_cmp_gt_i64_e64 s[0:1], 1, v[2:3]
	v_add_u32_e32 v55, v53, v49
	v_cmp_gt_i64_e64 s[2:3], 17, v[2:3]
	v_cmp_gt_i32_e64 s[4:5], s25, v0
	v_cmp_gt_i32_e64 s[16:17], s25, v16
	v_ashrrev_i32_e32 v17, 31, v16
	v_add_u32_e32 v57, 0x2080, v1
	s_addc_u32 s25, s37, s9
	s_lshl_b64 s[36:37], s[40:41], 3
	s_lshl_b64 s[38:39], s[48:49], 3
	s_movk_i32 s59, 0x80
	v_mov_b32_e32 v23, 0
	v_mov_b32_e32 v22, 1.0
	s_branch .LBB95_4
.LBB95_3:                               ;   in Loop: Header=BB95_4 Depth=1
	s_or_b64 exec, exec, s[8:9]
	s_add_i32 s7, s6, s7
	v_add_u32_e32 v18, s58, v18
	s_cmp_le_i32 s7, s33
	v_add_u32_e32 v20, s58, v20
	s_cbranch_scc0 .LBB95_63
.LBB95_4:                               ; =>This Loop Header: Depth=1
                                        ;     Child Loop BB95_7 Depth 2
	s_lshl_b32 s8, s7, 5
	v_add_u32_e32 v24, s8, v47
	s_sub_i32 s60, s26, s8
	v_ashrrev_i32_e32 v19, 31, v18
	v_ashrrev_i32_e32 v21, 31, v20
	;; [unrolled: 1-line block ×3, first 2 shown]
	s_cmp_lt_i32 s60, 1
	v_mov_b32_e32 v58, v23
	v_mov_b32_e32 v60, v23
	;; [unrolled: 1-line block ×8, first 2 shown]
	s_cbranch_scc1 .LBB95_55
; %bb.5:                                ;   in Loop: Header=BB95_4 Depth=1
	v_sub_co_u32_e32 v26, vcc, v20, v18
	v_subb_co_u32_e32 v27, vcc, v21, v19, vcc
	v_lshlrev_b64 v[0:1], 3, v[18:19]
	v_add_co_u32_e32 v2, vcc, 0x80, v0
	v_addc_co_u32_e32 v0, vcc, 0, v1, vcc
	v_mul_lo_u32 v3, s40, v0
	v_pk_mov_b32 v[0:1], s[24:25], s[24:25] op_sel:[0,1]
	v_mad_u64_u32 v[30:31], s[8:9], s40, v2, v[0:1]
	v_mad_u64_u32 v[32:33], s[8:9], s36, v18, v[0:1]
	v_mul_lo_u32 v0, s36, v19
	v_mul_lo_u32 v1, s37, v18
	v_add3_u32 v33, v1, v33, v0
	v_mov_b32_e32 v0, 0x80
	v_mul_lo_u32 v4, s41, v2
	v_mov_b32_e32 v1, 0
	v_lshlrev_b64 v[28:29], 3, v[20:21]
	v_add3_u32 v31, v4, v31, v3
	v_mad_u64_u32 v[34:35], s[8:9], s38, v20, v[0:1]
	v_mul_lo_u32 v2, s38, v21
	v_mul_lo_u32 v3, s39, v20
	v_add3_u32 v35, v3, v35, v2
	v_add_co_u32_e32 v2, vcc, s59, v28
	v_mad_u64_u32 v[36:37], s[8:9], s48, v2, v[0:1]
	v_add_co_u32_e64 v40, s[10:11], 16, v26
	v_addc_co_u32_e32 v3, vcc, 0, v29, vcc
	v_add_co_u32_e64 v38, s[8:9], 16, v24
	v_addc_co_u32_e64 v41, s[10:11], 0, v27, s[10:11]
	v_mul_lo_u32 v3, s48, v3
	v_mul_lo_u32 v4, s49, v2
	v_addc_co_u32_e64 v39, s[8:9], 0, v25, s[8:9]
	v_add_co_u32_e64 v42, s[10:11], -16, v26
	v_add3_u32 v37, v4, v37, v3
	v_cmp_le_i32_e32 vcc, s26, v24
	v_cmp_le_i64_e64 s[8:9], s[26:27], v[38:39]
	v_addc_co_u32_e64 v43, s[10:11], -1, v27, s[10:11]
	s_mov_b64 s[42:43], 0
	v_mov_b32_e32 v46, 0
	v_pk_mov_b32 v[44:45], v[14:15], v[14:15] op_sel:[0,1]
	v_mov_b32_e32 v48, 0
	v_mov_b32_e32 v52, 0
	;; [unrolled: 1-line block ×7, first 2 shown]
	s_branch .LBB95_7
.LBB95_6:                               ;   in Loop: Header=BB95_7 Depth=2
	s_or_b64 exec, exec, s[10:11]
	s_waitcnt lgkmcnt(0)
	s_barrier
	ds_read2_b64 v[62:65], v53 offset1:32
	ds_read_b128 v[66:69], v49
	ds_read_b128 v[8:11], v49 offset:16
	ds_read_b128 v[4:7], v49 offset:32
	;; [unrolled: 1-line block ×3, first 2 shown]
	ds_read2_b64 v[70:73], v57 offset1:32
	s_waitcnt lgkmcnt(4)
	v_mul_f32_e32 v59, v67, v63
	v_fma_f32 v59, v66, v62, -v59
	v_mul_f32_e32 v61, v66, v63
	v_fmac_f32_e32 v61, v67, v62
	v_add_f32_e32 v78, v58, v59
	s_waitcnt lgkmcnt(0)
	v_mul_f32_e32 v58, v67, v71
	v_add_f32_e32 v79, v60, v61
	v_fma_f32 v74, v66, v70, -v58
	ds_read_b128 v[58:61], v49 offset:4096
	v_mul_f32_e32 v66, v66, v71
	v_fmac_f32_e32 v66, v67, v70
	v_add_f32_e32 v54, v54, v74
	ds_read_b128 v[74:77], v49 offset:4112
	v_add_f32_e32 v56, v56, v66
	s_waitcnt lgkmcnt(1)
	v_mul_f32_e32 v66, v59, v63
	v_mul_f32_e32 v63, v58, v63
	v_fma_f32 v66, v58, v62, -v66
	v_fmac_f32_e32 v63, v59, v62
	v_mul_f32_e32 v62, v59, v71
	v_fma_f32 v62, v58, v70, -v62
	v_mul_f32_e32 v58, v58, v71
	v_fmac_f32_e32 v58, v59, v70
	v_add_f32_e32 v46, v46, v58
	v_mul_f32_e32 v58, v69, v65
	v_mul_f32_e32 v59, v68, v65
	v_fma_f32 v58, v68, v64, -v58
	v_fmac_f32_e32 v59, v69, v64
	v_add_f32_e32 v50, v50, v66
	v_add_f32_e32 v66, v78, v58
	;; [unrolled: 1-line block ×3, first 2 shown]
	v_mul_f32_e32 v58, v69, v73
	v_mul_f32_e32 v59, v68, v73
	v_fma_f32 v58, v68, v72, -v58
	v_fmac_f32_e32 v59, v69, v72
	v_add_f32_e32 v54, v54, v58
	v_add_f32_e32 v56, v56, v59
	v_mul_f32_e32 v58, v61, v65
	v_mul_f32_e32 v59, v60, v65
	v_add_f32_e32 v52, v52, v63
	v_add_f32_e32 v48, v48, v62
	v_fma_f32 v58, v60, v64, -v58
	v_fmac_f32_e32 v59, v61, v64
	ds_read2_b64 v[62:65], v53 offset0:64 offset1:96
	v_add_f32_e32 v50, v50, v58
	v_mul_f32_e32 v58, v61, v73
	v_add_f32_e32 v52, v52, v59
	v_fma_f32 v58, v60, v72, -v58
	v_mul_f32_e32 v59, v60, v73
	v_fmac_f32_e32 v59, v61, v72
	v_add_f32_e32 v48, v48, v58
	s_waitcnt lgkmcnt(0)
	v_mul_f32_e32 v58, v9, v63
	v_add_f32_e32 v46, v46, v59
	v_fma_f32 v68, v8, v62, -v58
	ds_read2_b64 v[58:61], v57 offset0:64 offset1:96
	v_add_f32_e32 v66, v66, v68
	v_mul_f32_e32 v69, v8, v63
	v_fmac_f32_e32 v69, v9, v62
	v_add_f32_e32 v67, v67, v69
	s_waitcnt lgkmcnt(0)
	v_mul_f32_e32 v68, v9, v59
	v_fma_f32 v68, v8, v58, -v68
	v_mul_f32_e32 v8, v8, v59
	v_fmac_f32_e32 v8, v9, v58
	v_add_f32_e32 v9, v54, v68
	v_mul_f32_e32 v54, v75, v63
	v_add_f32_e32 v8, v56, v8
	v_fma_f32 v54, v74, v62, -v54
	v_mul_f32_e32 v56, v74, v63
	v_fmac_f32_e32 v56, v75, v62
	v_add_f32_e32 v50, v50, v54
	v_mul_f32_e32 v54, v75, v59
	v_add_f32_e32 v52, v52, v56
	v_fma_f32 v54, v74, v58, -v54
	v_mul_f32_e32 v56, v74, v59
	v_fmac_f32_e32 v56, v75, v58
	v_add_f32_e32 v48, v48, v54
	v_mul_f32_e32 v54, v11, v65
	v_mul_f32_e32 v58, v11, v61
	v_add_f32_e32 v46, v46, v56
	v_fma_f32 v54, v10, v64, -v54
	v_mul_f32_e32 v56, v10, v65
	v_fma_f32 v58, v10, v60, -v58
	v_mul_f32_e32 v10, v10, v61
	v_fmac_f32_e32 v56, v11, v64
	v_fmac_f32_e32 v10, v11, v60
	v_add_f32_e32 v56, v67, v56
	v_add_f32_e32 v67, v8, v10
	v_mul_f32_e32 v8, v77, v65
	v_add_f32_e32 v54, v66, v54
	v_add_f32_e32 v66, v9, v58
	v_fma_f32 v8, v76, v64, -v8
	v_mul_f32_e32 v9, v76, v65
	v_fmac_f32_e32 v9, v77, v64
	v_add_f32_e32 v50, v50, v8
	v_mul_f32_e32 v8, v77, v61
	v_add_f32_e32 v52, v52, v9
	v_fma_f32 v58, v76, v60, -v8
	ds_read2_b64 v[8:11], v53 offset0:128 offset1:160
	v_mul_f32_e32 v59, v76, v61
	v_fmac_f32_e32 v59, v77, v60
	v_add_f32_e32 v48, v48, v58
	v_add_f32_e32 v46, v46, v59
	s_waitcnt lgkmcnt(0)
	v_mul_f32_e32 v58, v5, v9
	v_fma_f32 v62, v4, v8, -v58
	ds_read2_b64 v[58:61], v57 offset0:128 offset1:160
	v_mul_f32_e32 v63, v4, v9
	v_fmac_f32_e32 v63, v5, v8
	v_add_f32_e32 v54, v54, v62
	v_add_f32_e32 v56, v56, v63
	s_waitcnt lgkmcnt(0)
	v_mul_f32_e32 v62, v5, v59
	v_fma_f32 v68, v4, v58, -v62
	ds_read_b128 v[62:65], v49 offset:4128
	v_mul_f32_e32 v4, v4, v59
	v_fmac_f32_e32 v4, v5, v58
	v_add_f32_e32 v5, v66, v68
	v_add_f32_e32 v4, v67, v4
	ds_read_b128 v[66:69], v49 offset:4144
	s_waitcnt lgkmcnt(1)
	v_mul_f32_e32 v70, v63, v9
	v_fma_f32 v70, v62, v8, -v70
	v_mul_f32_e32 v9, v62, v9
	v_fmac_f32_e32 v9, v63, v8
	v_add_f32_e32 v8, v50, v70
	v_mul_f32_e32 v50, v63, v59
	v_fma_f32 v50, v62, v58, -v50
	v_add_f32_e32 v48, v48, v50
	v_mul_f32_e32 v50, v7, v11
	v_add_f32_e32 v9, v52, v9
	v_mul_f32_e32 v52, v62, v59
	v_fma_f32 v50, v6, v10, -v50
	v_fmac_f32_e32 v52, v63, v58
	v_add_f32_e32 v50, v54, v50
	v_mul_f32_e32 v54, v7, v61
	v_add_f32_e32 v46, v46, v52
	v_mul_f32_e32 v52, v6, v11
	v_fma_f32 v54, v6, v60, -v54
	v_mul_f32_e32 v6, v6, v61
	v_fmac_f32_e32 v52, v7, v10
	v_fmac_f32_e32 v6, v7, v60
	v_add_f32_e32 v52, v56, v52
	v_add_f32_e32 v56, v4, v6
	v_mul_f32_e32 v4, v65, v11
	v_add_f32_e32 v54, v5, v54
	v_fma_f32 v4, v64, v10, -v4
	v_mul_f32_e32 v5, v64, v11
	v_fmac_f32_e32 v5, v65, v10
	v_add_f32_e32 v58, v8, v4
	v_mul_f32_e32 v4, v65, v61
	v_add_f32_e32 v59, v9, v5
	v_fma_f32 v8, v64, v60, -v4
	ds_read2_b64 v[4:7], v53 offset0:192 offset1:224
	v_mul_f32_e32 v9, v64, v61
	v_fmac_f32_e32 v9, v65, v60
	v_add_f32_e32 v48, v48, v8
	v_add_f32_e32 v46, v46, v9
	s_waitcnt lgkmcnt(0)
	v_mul_f32_e32 v8, v1, v5
	v_fma_f32 v60, v0, v4, -v8
	ds_read2_b64 v[8:11], v57 offset0:192 offset1:224
	v_add_f32_e32 v50, v50, v60
	v_mul_f32_e32 v61, v0, v5
	v_fmac_f32_e32 v61, v1, v4
	v_add_f32_e32 v52, v52, v61
	s_waitcnt lgkmcnt(0)
	v_mul_f32_e32 v60, v1, v9
	v_fma_f32 v60, v0, v8, -v60
	v_mul_f32_e32 v0, v0, v9
	v_fmac_f32_e32 v0, v1, v8
	v_add_f32_e32 v1, v54, v60
	v_mul_f32_e32 v54, v67, v5
	v_fma_f32 v54, v66, v4, -v54
	v_mul_f32_e32 v5, v66, v5
	v_fmac_f32_e32 v5, v67, v4
	v_add_f32_e32 v4, v58, v54
	v_mul_f32_e32 v54, v67, v9
	v_mul_f32_e32 v9, v66, v9
	v_fma_f32 v54, v66, v8, -v54
	v_fmac_f32_e32 v9, v67, v8
	v_mul_f32_e32 v8, v3, v7
	v_fma_f32 v8, v2, v6, -v8
	v_add_f32_e32 v50, v50, v8
	v_mul_f32_e32 v8, v3, v11
	v_add_f32_e32 v46, v46, v9
	v_mul_f32_e32 v9, v2, v7
	v_fma_f32 v8, v2, v10, -v8
	v_mul_f32_e32 v2, v2, v11
	v_add_f32_e32 v0, v56, v0
	v_fmac_f32_e32 v2, v3, v10
	v_add_f32_e32 v56, v0, v2
	v_mul_f32_e32 v0, v69, v7
	v_add_f32_e32 v48, v48, v54
	v_add_f32_e32 v54, v1, v8
	v_fma_f32 v0, v68, v6, -v0
	v_mul_f32_e32 v1, v68, v7
	v_add_f32_e32 v5, v59, v5
	v_fmac_f32_e32 v9, v3, v6
	v_fmac_f32_e32 v1, v69, v6
	v_add_f32_e32 v74, v4, v0
	v_mul_f32_e32 v0, v69, v11
	v_add_u32_e32 v4, 0x800, v53
	v_add_f32_e32 v52, v52, v9
	v_add_f32_e32 v75, v5, v1
	v_fma_f32 v5, v68, v10, -v0
	ds_read2_b64 v[0:3], v4 offset1:32
	ds_read_b128 v[6:9], v49 offset:64
	v_mul_f32_e32 v11, v68, v11
	v_fmac_f32_e32 v11, v69, v10
	v_add_f32_e32 v10, v48, v5
	v_add_f32_e32 v11, v46, v11
	s_waitcnt lgkmcnt(0)
	v_mul_f32_e32 v5, v7, v1
	v_fma_f32 v46, v6, v0, -v5
	v_add_u32_e32 v5, 0x800, v57
	ds_read2_b64 v[62:65], v5 offset1:32
	ds_read_b128 v[58:61], v49 offset:80
	ds_read_b128 v[66:69], v49 offset:4160
	v_add_f32_e32 v46, v50, v46
	v_mul_f32_e32 v48, v6, v1
	s_waitcnt lgkmcnt(2)
	v_mul_f32_e32 v50, v7, v63
	v_fma_f32 v50, v6, v62, -v50
	v_mul_f32_e32 v6, v6, v63
	v_fmac_f32_e32 v48, v7, v0
	v_fmac_f32_e32 v6, v7, v62
	v_add_f32_e32 v7, v54, v50
	s_waitcnt lgkmcnt(0)
	v_mul_f32_e32 v50, v67, v1
	v_fma_f32 v50, v66, v0, -v50
	v_mul_f32_e32 v1, v66, v1
	v_fmac_f32_e32 v1, v67, v0
	v_add_f32_e32 v0, v74, v50
	v_mul_f32_e32 v50, v67, v63
	v_fma_f32 v50, v66, v62, -v50
	v_add_f32_e32 v10, v10, v50
	v_mul_f32_e32 v50, v9, v3
	v_add_f32_e32 v48, v52, v48
	v_mul_f32_e32 v52, v66, v63
	v_fma_f32 v50, v8, v2, -v50
	v_fmac_f32_e32 v52, v67, v62
	v_add_f32_e32 v46, v46, v50
	v_mul_f32_e32 v50, v9, v65
	v_add_f32_e32 v11, v11, v52
	v_mul_f32_e32 v52, v8, v3
	v_fma_f32 v50, v8, v64, -v50
	v_mul_f32_e32 v8, v8, v65
	v_add_f32_e32 v6, v56, v6
	v_fmac_f32_e32 v52, v9, v2
	v_fmac_f32_e32 v8, v9, v64
	v_add_f32_e32 v48, v48, v52
	v_add_f32_e32 v52, v6, v8
	v_mul_f32_e32 v6, v69, v3
	v_fma_f32 v6, v68, v2, -v6
	v_mul_f32_e32 v3, v68, v3
	v_add_f32_e32 v1, v75, v1
	v_fmac_f32_e32 v3, v69, v2
	v_add_f32_e32 v54, v0, v6
	v_mul_f32_e32 v0, v69, v65
	v_add_f32_e32 v56, v1, v3
	v_fma_f32 v6, v68, v64, -v0
	ds_read2_b64 v[0:3], v4 offset0:64 offset1:96
	v_add_f32_e32 v50, v7, v50
	v_mul_f32_e32 v7, v68, v65
	v_fmac_f32_e32 v7, v69, v64
	v_add_f32_e32 v10, v10, v6
	s_waitcnt lgkmcnt(0)
	v_mul_f32_e32 v6, v59, v1
	v_add_f32_e32 v11, v11, v7
	v_fma_f32 v62, v58, v0, -v6
	ds_read2_b64 v[6:9], v5 offset0:64 offset1:96
	ds_read_b128 v[70:73], v49 offset:4176
	v_add_f32_e32 v46, v46, v62
	v_mul_f32_e32 v63, v58, v1
	v_fmac_f32_e32 v63, v59, v0
	s_waitcnt lgkmcnt(1)
	v_mul_f32_e32 v62, v59, v7
	v_fma_f32 v62, v58, v6, -v62
	v_mul_f32_e32 v58, v58, v7
	v_fmac_f32_e32 v58, v59, v6
	v_add_f32_e32 v52, v52, v58
	s_waitcnt lgkmcnt(0)
	v_mul_f32_e32 v58, v71, v1
	v_fma_f32 v58, v70, v0, -v58
	v_mul_f32_e32 v1, v70, v1
	v_fmac_f32_e32 v1, v71, v0
	v_add_f32_e32 v0, v54, v58
	v_mul_f32_e32 v54, v71, v7
	v_fma_f32 v54, v70, v6, -v54
	v_mul_f32_e32 v7, v70, v7
	v_fmac_f32_e32 v7, v71, v6
	v_add_f32_e32 v6, v10, v54
	v_mul_f32_e32 v10, v61, v3
	v_fma_f32 v10, v60, v2, -v10
	v_add_f32_e32 v10, v46, v10
	v_mul_f32_e32 v46, v61, v9
	v_add_f32_e32 v50, v50, v62
	v_add_f32_e32 v7, v11, v7
	v_mul_f32_e32 v11, v60, v3
	v_fma_f32 v46, v60, v8, -v46
	v_add_f32_e32 v48, v48, v63
	v_fmac_f32_e32 v11, v61, v2
	v_add_f32_e32 v46, v50, v46
	v_mul_f32_e32 v50, v73, v3
	v_add_f32_e32 v11, v48, v11
	v_mul_f32_e32 v48, v60, v9
	v_fma_f32 v50, v72, v2, -v50
	v_mul_f32_e32 v3, v72, v3
	v_add_f32_e32 v1, v56, v1
	v_fmac_f32_e32 v48, v61, v8
	v_fmac_f32_e32 v3, v73, v2
	v_add_f32_e32 v50, v0, v50
	v_mul_f32_e32 v0, v73, v9
	v_add_f32_e32 v48, v52, v48
	v_add_f32_e32 v52, v1, v3
	v_fma_f32 v54, v72, v8, -v0
	ds_read2_b64 v[0:3], v4 offset0:128 offset1:160
	ds_read_b128 v[58:61], v49 offset:96
	v_mul_f32_e32 v9, v72, v9
	v_fmac_f32_e32 v9, v73, v8
	v_add_f32_e32 v54, v6, v54
	v_add_f32_e32 v56, v7, v9
	s_waitcnt lgkmcnt(0)
	v_mul_f32_e32 v62, v59, v1
	v_fma_f32 v66, v58, v0, -v62
	ds_read2_b64 v[62:65], v5 offset0:128 offset1:160
	v_mul_f32_e32 v67, v58, v1
	v_fmac_f32_e32 v67, v59, v0
	v_add_f32_e32 v10, v10, v66
	ds_read_b128 v[6:9], v49 offset:112
	s_waitcnt lgkmcnt(1)
	v_mul_f32_e32 v66, v59, v63
	v_add_f32_e32 v11, v11, v67
	v_fma_f32 v70, v58, v62, -v66
	ds_read_b128 v[66:69], v49 offset:4192
	v_mul_f32_e32 v58, v58, v63
	v_fmac_f32_e32 v58, v59, v62
	v_add_f32_e32 v48, v48, v58
	v_add_f32_e32 v46, v46, v70
	s_waitcnt lgkmcnt(0)
	v_mul_f32_e32 v58, v67, v1
	v_fma_f32 v58, v66, v0, -v58
	v_mul_f32_e32 v1, v66, v1
	v_fmac_f32_e32 v1, v67, v0
	v_add_f32_e32 v0, v50, v58
	v_mul_f32_e32 v50, v67, v63
	v_fma_f32 v50, v66, v62, -v50
	v_add_f32_e32 v50, v54, v50
	v_mul_f32_e32 v54, v61, v3
	v_add_f32_e32 v1, v52, v1
	v_mul_f32_e32 v52, v66, v63
	v_fma_f32 v54, v60, v2, -v54
	v_fmac_f32_e32 v52, v67, v62
	v_add_f32_e32 v10, v10, v54
	v_mul_f32_e32 v54, v61, v65
	v_add_f32_e32 v52, v56, v52
	v_mul_f32_e32 v56, v60, v3
	v_fma_f32 v54, v60, v64, -v54
	v_fmac_f32_e32 v56, v61, v2
	v_add_f32_e32 v46, v46, v54
	v_mul_f32_e32 v54, v69, v3
	v_add_f32_e32 v11, v11, v56
	v_mul_f32_e32 v56, v60, v65
	v_fma_f32 v54, v68, v2, -v54
	v_mul_f32_e32 v3, v68, v3
	v_fmac_f32_e32 v56, v61, v64
	v_fmac_f32_e32 v3, v69, v2
	v_add_f32_e32 v54, v0, v54
	v_mul_f32_e32 v0, v69, v65
	v_add_f32_e32 v48, v48, v56
	v_add_f32_e32 v56, v1, v3
	v_fma_f32 v58, v68, v64, -v0
	ds_read2_b64 v[0:3], v4 offset0:192 offset1:224
	v_add_f32_e32 v50, v50, v58
	ds_read2_b64 v[58:61], v5 offset0:192 offset1:224
	ds_read_b128 v[70:73], v49 offset:4208
	v_mul_f32_e32 v4, v68, v65
	s_waitcnt lgkmcnt(2)
	v_mul_f32_e32 v5, v6, v1
	v_fmac_f32_e32 v4, v69, v64
	v_fmac_f32_e32 v5, v7, v0
	v_add_f32_e32 v4, v52, v4
	v_mul_f32_e32 v52, v7, v1
	v_add_f32_e32 v5, v11, v5
	s_waitcnt lgkmcnt(1)
	v_mul_f32_e32 v11, v7, v59
	v_fma_f32 v52, v6, v0, -v52
	v_fma_f32 v11, v6, v58, -v11
	v_mul_f32_e32 v6, v6, v59
	v_fmac_f32_e32 v6, v7, v58
	v_add_f32_e32 v7, v46, v11
	s_waitcnt lgkmcnt(0)
	v_mul_f32_e32 v46, v70, v59
	v_fmac_f32_e32 v46, v71, v58
	v_mul_f32_e32 v11, v71, v1
	v_add_f32_e32 v46, v4, v46
	v_mul_f32_e32 v4, v9, v3
	v_add_f32_e32 v10, v10, v52
	v_fma_f32 v11, v70, v0, -v11
	v_mul_f32_e32 v1, v70, v1
	v_fma_f32 v4, v8, v2, -v4
	v_fmac_f32_e32 v1, v71, v0
	v_add_f32_e32 v0, v54, v11
	v_mul_f32_e32 v11, v71, v59
	v_add_f32_e32 v10, v10, v4
	v_mul_f32_e32 v4, v9, v61
	v_add_f32_e32 v6, v48, v6
	v_fma_f32 v11, v70, v58, -v11
	v_mul_f32_e32 v48, v8, v3
	v_fma_f32 v4, v8, v60, -v4
	v_add_f32_e32 v11, v50, v11
	v_fmac_f32_e32 v48, v9, v2
	v_add_f32_e32 v50, v7, v4
	v_mul_f32_e32 v4, v73, v3
	v_add_f32_e32 v48, v5, v48
	v_mul_f32_e32 v5, v8, v61
	v_fma_f32 v4, v72, v2, -v4
	v_mul_f32_e32 v3, v72, v3
	v_add_f32_e32 v1, v56, v1
	v_fmac_f32_e32 v5, v9, v60
	v_fmac_f32_e32 v3, v73, v2
	v_add_f32_e32 v54, v0, v4
	v_mul_f32_e32 v0, v73, v61
	v_add_u32_e32 v4, 0x1000, v53
	v_add_f32_e32 v52, v6, v5
	v_add_f32_e32 v56, v1, v3
	v_fma_f32 v5, v72, v60, -v0
	ds_read2_b64 v[0:3], v4 offset1:32
	ds_read_b128 v[6:9], v49 offset:128
	v_add_f32_e32 v11, v11, v5
	v_mul_f32_e32 v58, v72, v61
	v_fmac_f32_e32 v58, v73, v60
	v_add_f32_e32 v46, v46, v58
	s_waitcnt lgkmcnt(0)
	v_mul_f32_e32 v5, v7, v1
	v_fma_f32 v66, v6, v0, -v5
	v_add_u32_e32 v5, 0x1000, v57
	ds_read2_b64 v[62:65], v5 offset1:32
	v_mul_f32_e32 v67, v6, v1
	v_fmac_f32_e32 v67, v7, v0
	v_add_f32_e32 v10, v10, v66
	ds_read_b128 v[58:61], v49 offset:144
	s_waitcnt lgkmcnt(1)
	v_mul_f32_e32 v66, v7, v63
	v_add_f32_e32 v48, v48, v67
	v_fma_f32 v70, v6, v62, -v66
	ds_read_b128 v[66:69], v49 offset:4224
	v_mul_f32_e32 v6, v6, v63
	v_fmac_f32_e32 v6, v7, v62
	v_add_f32_e32 v7, v50, v70
	v_add_f32_e32 v6, v52, v6
	s_waitcnt lgkmcnt(0)
	v_mul_f32_e32 v50, v67, v1
	v_fma_f32 v50, v66, v0, -v50
	v_mul_f32_e32 v1, v66, v1
	v_fmac_f32_e32 v1, v67, v0
	v_add_f32_e32 v0, v54, v50
	v_mul_f32_e32 v50, v67, v63
	v_fma_f32 v50, v66, v62, -v50
	v_add_f32_e32 v11, v11, v50
	v_mul_f32_e32 v50, v9, v3
	v_mul_f32_e32 v52, v66, v63
	v_fma_f32 v50, v8, v2, -v50
	v_fmac_f32_e32 v52, v67, v62
	v_add_f32_e32 v10, v10, v50
	v_mul_f32_e32 v50, v9, v65
	v_add_f32_e32 v46, v46, v52
	v_mul_f32_e32 v52, v8, v3
	v_fma_f32 v50, v8, v64, -v50
	v_mul_f32_e32 v8, v8, v65
	v_fmac_f32_e32 v52, v9, v2
	v_fmac_f32_e32 v8, v9, v64
	v_add_f32_e32 v48, v48, v52
	v_add_f32_e32 v52, v6, v8
	v_mul_f32_e32 v6, v69, v3
	v_fma_f32 v6, v68, v2, -v6
	v_mul_f32_e32 v3, v68, v3
	v_add_f32_e32 v1, v56, v1
	v_fmac_f32_e32 v3, v69, v2
	v_add_f32_e32 v54, v0, v6
	v_mul_f32_e32 v0, v69, v65
	v_add_f32_e32 v56, v1, v3
	v_fma_f32 v6, v68, v64, -v0
	ds_read2_b64 v[0:3], v4 offset0:64 offset1:96
	v_add_f32_e32 v50, v7, v50
	v_mul_f32_e32 v7, v68, v65
	v_fmac_f32_e32 v7, v69, v64
	v_add_f32_e32 v11, v11, v6
	s_waitcnt lgkmcnt(0)
	v_mul_f32_e32 v6, v59, v1
	v_add_f32_e32 v46, v46, v7
	v_fma_f32 v62, v58, v0, -v6
	ds_read2_b64 v[6:9], v5 offset0:64 offset1:96
	ds_read_b128 v[70:73], v49 offset:4240
	v_add_f32_e32 v10, v10, v62
	v_mul_f32_e32 v63, v58, v1
	v_fmac_f32_e32 v63, v59, v0
	s_waitcnt lgkmcnt(1)
	v_mul_f32_e32 v62, v59, v7
	v_fma_f32 v62, v58, v6, -v62
	v_mul_f32_e32 v58, v58, v7
	v_fmac_f32_e32 v58, v59, v6
	v_add_f32_e32 v52, v52, v58
	s_waitcnt lgkmcnt(0)
	v_mul_f32_e32 v58, v71, v1
	v_fma_f32 v58, v70, v0, -v58
	v_mul_f32_e32 v1, v70, v1
	v_fmac_f32_e32 v1, v71, v0
	v_add_f32_e32 v0, v54, v58
	v_mul_f32_e32 v54, v71, v7
	v_mul_f32_e32 v7, v70, v7
	v_fma_f32 v54, v70, v6, -v54
	v_fmac_f32_e32 v7, v71, v6
	v_add_f32_e32 v6, v11, v54
	v_add_f32_e32 v7, v46, v7
	v_mul_f32_e32 v11, v61, v3
	v_mul_f32_e32 v46, v60, v3
	v_add_f32_e32 v48, v48, v63
	v_fma_f32 v11, v60, v2, -v11
	v_fmac_f32_e32 v46, v61, v2
	v_add_f32_e32 v10, v10, v11
	v_add_f32_e32 v11, v48, v46
	v_mul_f32_e32 v46, v61, v9
	v_add_f32_e32 v50, v50, v62
	v_fma_f32 v46, v60, v8, -v46
	v_add_f32_e32 v46, v50, v46
	v_mul_f32_e32 v50, v73, v3
	v_mul_f32_e32 v48, v60, v9
	v_fma_f32 v50, v72, v2, -v50
	v_mul_f32_e32 v3, v72, v3
	v_add_f32_e32 v1, v56, v1
	v_fmac_f32_e32 v48, v61, v8
	v_fmac_f32_e32 v3, v73, v2
	v_add_f32_e32 v50, v0, v50
	v_mul_f32_e32 v0, v73, v9
	v_add_f32_e32 v48, v52, v48
	v_add_f32_e32 v52, v1, v3
	v_fma_f32 v54, v72, v8, -v0
	ds_read2_b64 v[0:3], v4 offset0:128 offset1:160
	ds_read_b128 v[58:61], v49 offset:160
	v_mul_f32_e32 v9, v72, v9
	v_fmac_f32_e32 v9, v73, v8
	v_add_f32_e32 v54, v6, v54
	v_add_f32_e32 v56, v7, v9
	s_waitcnt lgkmcnt(0)
	v_mul_f32_e32 v62, v59, v1
	v_fma_f32 v66, v58, v0, -v62
	ds_read2_b64 v[62:65], v5 offset0:128 offset1:160
	v_mul_f32_e32 v67, v58, v1
	v_fmac_f32_e32 v67, v59, v0
	v_add_f32_e32 v10, v10, v66
	ds_read_b128 v[6:9], v49 offset:176
	s_waitcnt lgkmcnt(1)
	v_mul_f32_e32 v66, v59, v63
	v_add_f32_e32 v11, v11, v67
	v_fma_f32 v70, v58, v62, -v66
	ds_read_b128 v[66:69], v49 offset:4256
	v_mul_f32_e32 v58, v58, v63
	v_fmac_f32_e32 v58, v59, v62
	v_add_f32_e32 v48, v48, v58
	v_add_f32_e32 v46, v46, v70
	s_waitcnt lgkmcnt(0)
	v_mul_f32_e32 v58, v67, v1
	v_fma_f32 v58, v66, v0, -v58
	v_mul_f32_e32 v1, v66, v1
	v_fmac_f32_e32 v1, v67, v0
	v_add_f32_e32 v0, v50, v58
	v_mul_f32_e32 v50, v67, v63
	v_fma_f32 v50, v66, v62, -v50
	v_add_f32_e32 v50, v54, v50
	v_mul_f32_e32 v54, v61, v3
	v_add_f32_e32 v1, v52, v1
	v_mul_f32_e32 v52, v66, v63
	v_fma_f32 v54, v60, v2, -v54
	v_fmac_f32_e32 v52, v67, v62
	v_add_f32_e32 v10, v10, v54
	v_mul_f32_e32 v54, v61, v65
	v_add_f32_e32 v52, v56, v52
	v_mul_f32_e32 v56, v60, v3
	v_fma_f32 v54, v60, v64, -v54
	v_fmac_f32_e32 v56, v61, v2
	v_add_f32_e32 v46, v46, v54
	v_mul_f32_e32 v54, v69, v3
	v_add_f32_e32 v11, v11, v56
	v_mul_f32_e32 v56, v60, v65
	v_fma_f32 v54, v68, v2, -v54
	v_mul_f32_e32 v3, v68, v3
	v_fmac_f32_e32 v56, v61, v64
	v_fmac_f32_e32 v3, v69, v2
	v_add_f32_e32 v54, v0, v54
	v_mul_f32_e32 v0, v69, v65
	v_add_f32_e32 v48, v48, v56
	v_add_f32_e32 v56, v1, v3
	v_fma_f32 v58, v68, v64, -v0
	ds_read2_b64 v[0:3], v4 offset0:192 offset1:224
	v_add_f32_e32 v50, v50, v58
	ds_read2_b64 v[58:61], v5 offset0:192 offset1:224
	ds_read_b128 v[70:73], v49 offset:4272
	v_mul_f32_e32 v4, v68, v65
	s_waitcnt lgkmcnt(2)
	v_mul_f32_e32 v5, v6, v1
	v_fmac_f32_e32 v4, v69, v64
	v_fmac_f32_e32 v5, v7, v0
	v_add_f32_e32 v4, v52, v4
	v_mul_f32_e32 v52, v7, v1
	v_add_f32_e32 v5, v11, v5
	s_waitcnt lgkmcnt(1)
	v_mul_f32_e32 v11, v7, v59
	v_fma_f32 v52, v6, v0, -v52
	v_fma_f32 v11, v6, v58, -v11
	v_mul_f32_e32 v6, v6, v59
	v_fmac_f32_e32 v6, v7, v58
	v_add_f32_e32 v7, v46, v11
	s_waitcnt lgkmcnt(0)
	v_mul_f32_e32 v46, v70, v59
	v_fmac_f32_e32 v46, v71, v58
	v_mul_f32_e32 v11, v71, v1
	v_add_f32_e32 v46, v4, v46
	v_mul_f32_e32 v4, v9, v3
	v_add_f32_e32 v10, v10, v52
	v_fma_f32 v11, v70, v0, -v11
	v_mul_f32_e32 v1, v70, v1
	v_fma_f32 v4, v8, v2, -v4
	v_fmac_f32_e32 v1, v71, v0
	v_add_f32_e32 v0, v54, v11
	v_mul_f32_e32 v11, v71, v59
	v_add_f32_e32 v10, v10, v4
	v_mul_f32_e32 v4, v9, v61
	v_add_f32_e32 v6, v48, v6
	v_fma_f32 v11, v70, v58, -v11
	v_mul_f32_e32 v48, v8, v3
	v_fma_f32 v4, v8, v60, -v4
	v_add_f32_e32 v11, v50, v11
	v_fmac_f32_e32 v48, v9, v2
	v_add_f32_e32 v50, v7, v4
	v_mul_f32_e32 v4, v73, v3
	v_add_f32_e32 v48, v5, v48
	v_mul_f32_e32 v5, v8, v61
	v_fma_f32 v4, v72, v2, -v4
	v_mul_f32_e32 v3, v72, v3
	v_add_f32_e32 v1, v56, v1
	v_fmac_f32_e32 v5, v9, v60
	v_fmac_f32_e32 v3, v73, v2
	v_add_f32_e32 v54, v0, v4
	v_mul_f32_e32 v0, v73, v61
	v_add_u32_e32 v4, 0x1800, v53
	v_add_f32_e32 v52, v6, v5
	v_add_f32_e32 v56, v1, v3
	v_fma_f32 v5, v72, v60, -v0
	ds_read2_b64 v[0:3], v4 offset1:32
	ds_read_b128 v[6:9], v49 offset:192
	v_add_f32_e32 v11, v11, v5
	v_mul_f32_e32 v58, v72, v61
	v_fmac_f32_e32 v58, v73, v60
	v_add_f32_e32 v46, v46, v58
	s_waitcnt lgkmcnt(0)
	v_mul_f32_e32 v5, v7, v1
	v_fma_f32 v66, v6, v0, -v5
	v_add_u32_e32 v5, 0x1800, v57
	ds_read2_b64 v[62:65], v5 offset1:32
	v_mul_f32_e32 v67, v6, v1
	v_fmac_f32_e32 v67, v7, v0
	v_add_f32_e32 v10, v10, v66
	ds_read_b128 v[58:61], v49 offset:208
	s_waitcnt lgkmcnt(1)
	v_mul_f32_e32 v66, v7, v63
	v_add_f32_e32 v48, v48, v67
	v_fma_f32 v70, v6, v62, -v66
	ds_read_b128 v[66:69], v49 offset:4288
	v_mul_f32_e32 v6, v6, v63
	v_fmac_f32_e32 v6, v7, v62
	v_add_f32_e32 v7, v50, v70
	v_add_f32_e32 v6, v52, v6
	s_waitcnt lgkmcnt(0)
	v_mul_f32_e32 v50, v67, v1
	v_fma_f32 v50, v66, v0, -v50
	v_mul_f32_e32 v1, v66, v1
	v_fmac_f32_e32 v1, v67, v0
	v_add_f32_e32 v0, v54, v50
	v_mul_f32_e32 v50, v67, v63
	v_fma_f32 v50, v66, v62, -v50
	v_add_f32_e32 v11, v11, v50
	v_mul_f32_e32 v50, v9, v3
	v_mul_f32_e32 v52, v66, v63
	v_fma_f32 v50, v8, v2, -v50
	v_fmac_f32_e32 v52, v67, v62
	v_add_f32_e32 v10, v10, v50
	v_mul_f32_e32 v50, v9, v65
	v_add_f32_e32 v46, v46, v52
	v_mul_f32_e32 v52, v8, v3
	v_fma_f32 v50, v8, v64, -v50
	v_mul_f32_e32 v8, v8, v65
	v_fmac_f32_e32 v52, v9, v2
	v_fmac_f32_e32 v8, v9, v64
	v_add_f32_e32 v48, v48, v52
	v_add_f32_e32 v52, v6, v8
	v_mul_f32_e32 v6, v69, v3
	v_fma_f32 v6, v68, v2, -v6
	v_mul_f32_e32 v3, v68, v3
	v_add_f32_e32 v1, v56, v1
	v_fmac_f32_e32 v3, v69, v2
	v_add_f32_e32 v54, v0, v6
	v_mul_f32_e32 v0, v69, v65
	v_add_f32_e32 v56, v1, v3
	v_fma_f32 v6, v68, v64, -v0
	ds_read2_b64 v[0:3], v4 offset0:64 offset1:96
	v_add_f32_e32 v50, v7, v50
	v_mul_f32_e32 v7, v68, v65
	v_fmac_f32_e32 v7, v69, v64
	v_add_f32_e32 v11, v11, v6
	s_waitcnt lgkmcnt(0)
	v_mul_f32_e32 v6, v59, v1
	v_add_f32_e32 v46, v46, v7
	v_fma_f32 v62, v58, v0, -v6
	ds_read2_b64 v[6:9], v5 offset0:64 offset1:96
	ds_read_b128 v[70:73], v49 offset:4304
	v_add_f32_e32 v10, v10, v62
	v_mul_f32_e32 v63, v58, v1
	v_fmac_f32_e32 v63, v59, v0
	s_waitcnt lgkmcnt(1)
	v_mul_f32_e32 v62, v59, v7
	v_fma_f32 v62, v58, v6, -v62
	v_mul_f32_e32 v58, v58, v7
	v_fmac_f32_e32 v58, v59, v6
	v_add_f32_e32 v52, v52, v58
	s_waitcnt lgkmcnt(0)
	v_mul_f32_e32 v58, v71, v1
	v_fma_f32 v58, v70, v0, -v58
	v_mul_f32_e32 v1, v70, v1
	v_fmac_f32_e32 v1, v71, v0
	v_add_f32_e32 v0, v54, v58
	v_mul_f32_e32 v54, v71, v7
	v_mul_f32_e32 v7, v70, v7
	v_fma_f32 v54, v70, v6, -v54
	v_fmac_f32_e32 v7, v71, v6
	v_add_f32_e32 v6, v11, v54
	v_add_f32_e32 v7, v46, v7
	v_mul_f32_e32 v11, v61, v3
	v_mul_f32_e32 v46, v60, v3
	v_add_f32_e32 v48, v48, v63
	v_fma_f32 v11, v60, v2, -v11
	v_fmac_f32_e32 v46, v61, v2
	v_add_f32_e32 v10, v10, v11
	v_add_f32_e32 v11, v48, v46
	v_mul_f32_e32 v46, v61, v9
	v_add_f32_e32 v50, v50, v62
	v_fma_f32 v46, v60, v8, -v46
	v_add_f32_e32 v46, v50, v46
	v_mul_f32_e32 v50, v73, v3
	v_mul_f32_e32 v48, v60, v9
	v_fma_f32 v50, v72, v2, -v50
	v_mul_f32_e32 v3, v72, v3
	v_add_f32_e32 v1, v56, v1
	v_fmac_f32_e32 v48, v61, v8
	v_fmac_f32_e32 v3, v73, v2
	v_add_f32_e32 v50, v0, v50
	v_mul_f32_e32 v0, v73, v9
	v_add_f32_e32 v48, v52, v48
	v_add_f32_e32 v52, v1, v3
	v_fma_f32 v54, v72, v8, -v0
	ds_read2_b64 v[0:3], v4 offset0:128 offset1:160
	ds_read_b128 v[58:61], v49 offset:224
	v_mul_f32_e32 v9, v72, v9
	v_fmac_f32_e32 v9, v73, v8
	v_add_f32_e32 v54, v6, v54
	v_add_f32_e32 v56, v7, v9
	s_waitcnt lgkmcnt(0)
	v_mul_f32_e32 v62, v59, v1
	v_fma_f32 v66, v58, v0, -v62
	ds_read2_b64 v[62:65], v5 offset0:128 offset1:160
	v_mul_f32_e32 v67, v58, v1
	v_fmac_f32_e32 v67, v59, v0
	v_add_f32_e32 v10, v10, v66
	ds_read_b128 v[6:9], v49 offset:240
	s_waitcnt lgkmcnt(1)
	v_mul_f32_e32 v66, v59, v63
	v_add_f32_e32 v11, v11, v67
	v_fma_f32 v70, v58, v62, -v66
	ds_read_b128 v[66:69], v49 offset:4320
	v_mul_f32_e32 v58, v58, v63
	v_fmac_f32_e32 v58, v59, v62
	v_add_f32_e32 v48, v48, v58
	v_add_f32_e32 v46, v46, v70
	s_waitcnt lgkmcnt(0)
	v_mul_f32_e32 v58, v67, v1
	v_fma_f32 v58, v66, v0, -v58
	v_mul_f32_e32 v1, v66, v1
	v_fmac_f32_e32 v1, v67, v0
	v_add_f32_e32 v0, v50, v58
	v_mul_f32_e32 v50, v67, v63
	v_fma_f32 v50, v66, v62, -v50
	v_add_f32_e32 v50, v54, v50
	v_mul_f32_e32 v54, v61, v3
	v_add_f32_e32 v1, v52, v1
	v_mul_f32_e32 v52, v66, v63
	v_fma_f32 v54, v60, v2, -v54
	v_fmac_f32_e32 v52, v67, v62
	v_add_f32_e32 v10, v10, v54
	v_mul_f32_e32 v54, v61, v65
	v_add_f32_e32 v52, v56, v52
	v_mul_f32_e32 v56, v60, v3
	v_fma_f32 v54, v60, v64, -v54
	v_fmac_f32_e32 v56, v61, v2
	v_add_f32_e32 v46, v46, v54
	v_mul_f32_e32 v54, v69, v3
	v_add_f32_e32 v11, v11, v56
	v_mul_f32_e32 v56, v60, v65
	v_fma_f32 v54, v68, v2, -v54
	v_mul_f32_e32 v3, v68, v3
	v_fmac_f32_e32 v56, v61, v64
	v_fmac_f32_e32 v3, v69, v2
	v_add_f32_e32 v54, v0, v54
	v_mul_f32_e32 v0, v69, v65
	v_add_f32_e32 v48, v48, v56
	v_add_f32_e32 v56, v1, v3
	v_fma_f32 v58, v68, v64, -v0
	ds_read2_b64 v[0:3], v4 offset0:192 offset1:224
	ds_read2_b64 v[60:63], v5 offset0:192 offset1:224
	ds_read_b128 v[70:73], v49 offset:4336
	v_mul_f32_e32 v4, v68, v65
	v_fmac_f32_e32 v4, v69, v64
	s_waitcnt lgkmcnt(2)
	v_mul_f32_e32 v5, v6, v1
	v_fmac_f32_e32 v5, v7, v0
	v_add_f32_e32 v4, v52, v4
	v_mul_f32_e32 v52, v7, v1
	v_add_f32_e32 v5, v11, v5
	s_waitcnt lgkmcnt(1)
	v_mul_f32_e32 v11, v7, v61
	v_fma_f32 v52, v6, v0, -v52
	v_fma_f32 v11, v6, v60, -v11
	v_mul_f32_e32 v6, v6, v61
	v_fmac_f32_e32 v6, v7, v60
	v_add_f32_e32 v7, v46, v11
	s_waitcnt lgkmcnt(0)
	v_mul_f32_e32 v11, v71, v1
	v_add_f32_e32 v6, v48, v6
	v_fma_f32 v11, v70, v0, -v11
	v_mul_f32_e32 v1, v70, v1
	v_mul_f32_e32 v48, v8, v3
	v_fmac_f32_e32 v1, v71, v0
	v_add_f32_e32 v0, v54, v11
	v_mul_f32_e32 v11, v71, v61
	v_mul_f32_e32 v46, v70, v61
	v_fmac_f32_e32 v48, v9, v2
	v_fma_f32 v11, v70, v60, -v11
	v_fmac_f32_e32 v46, v71, v60
	v_add_f32_e32 v60, v5, v48
	v_mul_f32_e32 v5, v9, v63
	v_fma_f32 v5, v8, v62, -v5
	v_add_f32_e32 v54, v7, v5
	v_mul_f32_e32 v5, v73, v3
	v_add_f32_e32 v50, v50, v58
	v_fma_f32 v5, v72, v2, -v5
	v_add_f32_e32 v11, v50, v11
	v_add_f32_e32 v50, v0, v5
	v_mul_f32_e32 v0, v73, v63
	v_fma_f32 v0, v72, v62, -v0
	v_add_f32_e32 v48, v11, v0
	v_mov_b32_e32 v0, s31
	v_add_co_u32_e64 v30, s[10:11], s30, v30
	v_add_f32_e32 v4, v4, v46
	v_mul_f32_e32 v46, v9, v3
	v_mul_f32_e32 v3, v72, v3
	v_addc_co_u32_e64 v31, s[10:11], v31, v0, s[10:11]
	v_add_f32_e32 v1, v56, v1
	v_fmac_f32_e32 v3, v73, v2
	v_add_co_u32_e64 v32, s[10:11], s30, v32
	v_add_f32_e32 v10, v10, v52
	v_fma_f32 v46, v8, v2, -v46
	v_mul_f32_e32 v8, v8, v63
	v_add_f32_e32 v52, v1, v3
	v_mul_f32_e32 v1, v72, v63
	s_add_u32 s42, s42, 32
	v_addc_co_u32_e64 v33, s[10:11], v33, v0, s[10:11]
	v_fmac_f32_e32 v8, v9, v62
	v_fmac_f32_e32 v1, v73, v62
	s_addc_u32 s43, s43, 0
	v_mov_b32_e32 v0, s35
	v_add_co_u32_e64 v44, s[10:11], s34, v44
	v_add_f32_e32 v58, v10, v46
	v_add_f32_e32 v56, v6, v8
	;; [unrolled: 1-line block ×3, first 2 shown]
	s_cmp_ge_i32 s42, s60
	v_addc_co_u32_e64 v45, s[10:11], v45, v0, s[10:11]
	s_barrier
	s_cbranch_scc1 .LBB95_55
.LBB95_7:                               ;   Parent Loop BB95_4 Depth=1
                                        ; =>  This Inner Loop Header: Depth=2
	v_mov_b32_e32 v0, s43
	v_add_co_u32_e64 v2, s[10:11], s42, v18
	v_addc_co_u32_e64 v3, s[10:11], v19, v0, s[10:11]
	v_add_co_u32_e64 v0, s[10:11], v32, v28
	v_addc_co_u32_e64 v1, s[10:11], v33, v29, s[10:11]
	v_cmp_eq_u64_e64 s[10:11], s[42:43], v[26:27]
	s_and_b64 s[50:51], s[22:23], s[10:11]
	v_cmp_lt_i64_e64 s[10:11], v[2:3], v[24:25]
	v_cmp_le_i64_e64 s[12:13], s[26:27], v[2:3]
	s_or_b64 s[14:15], vcc, s[10:11]
	s_or_b64 s[14:15], s[12:13], s[14:15]
	s_or_b64 s[14:15], s[14:15], s[50:51]
	s_xor_b64 s[14:15], s[14:15], -1
	s_and_saveexec_b64 s[18:19], s[14:15]
	s_xor_b64 s[14:15], exec, s[18:19]
	s_cbranch_execz .LBB95_9
; %bb.8:                                ;   in Loop: Header=BB95_7 Depth=2
	global_load_dwordx2 v[4:5], v[0:1], off
	s_waitcnt vmcnt(0)
	v_xor_b32_e32 v5, 0x80000000, v5
	ds_write_b64 v51, v[4:5]
.LBB95_9:                               ;   in Loop: Header=BB95_7 Depth=2
	s_or_saveexec_b64 s[14:15], s[14:15]
	s_xor_b64 s[46:47], s[50:51], -1
	s_xor_b64 exec, exec, s[14:15]
	s_cbranch_execz .LBB95_15
; %bb.10:                               ;   in Loop: Header=BB95_7 Depth=2
	s_and_saveexec_b64 s[18:19], s[46:47]
	s_xor_b64 s[18:19], exec, s[18:19]
	s_cbranch_execz .LBB95_12
; %bb.11:                               ;   in Loop: Header=BB95_7 Depth=2
	v_mov_b32_e32 v4, v23
	v_mov_b32_e32 v5, v23
	ds_write_b64 v51, v[4:5]
.LBB95_12:                              ;   in Loop: Header=BB95_7 Depth=2
	s_andn2_saveexec_b64 s[18:19], s[18:19]
	s_cbranch_execz .LBB95_14
; %bb.13:                               ;   in Loop: Header=BB95_7 Depth=2
	ds_write_b64 v51, v[22:23]
.LBB95_14:                              ;   in Loop: Header=BB95_7 Depth=2
	s_or_b64 exec, exec, s[18:19]
.LBB95_15:                              ;   in Loop: Header=BB95_7 Depth=2
	s_or_b64 exec, exec, s[14:15]
	v_add_co_u32_e64 v4, s[14:15], 16, v2
	v_addc_co_u32_e64 v5, s[14:15], 0, v3, s[14:15]
	v_cmp_eq_u64_e64 s[14:15], s[42:43], v[42:43]
	v_cmp_lt_i64_e64 s[18:19], v[4:5], v[24:25]
	s_and_b64 s[52:53], s[22:23], s[14:15]
	v_cmp_le_i64_e64 s[14:15], s[26:27], v[4:5]
	s_or_b64 s[18:19], vcc, s[18:19]
	s_or_b64 s[18:19], s[14:15], s[18:19]
	s_or_b64 s[18:19], s[18:19], s[52:53]
	s_xor_b64 s[18:19], s[18:19], -1
	s_and_saveexec_b64 s[54:55], s[18:19]
	s_xor_b64 s[54:55], exec, s[54:55]
	s_cbranch_execz .LBB95_17
; %bb.16:                               ;   in Loop: Header=BB95_7 Depth=2
	v_add_co_u32_e64 v4, s[18:19], v30, v28
	v_addc_co_u32_e64 v5, s[18:19], v31, v29, s[18:19]
	global_load_dwordx2 v[4:5], v[4:5], off
	s_waitcnt vmcnt(0)
	v_xor_b32_e32 v5, 0x80000000, v5
	ds_write_b64 v51, v[4:5] offset:128
.LBB95_17:                              ;   in Loop: Header=BB95_7 Depth=2
	s_andn2_saveexec_b64 s[18:19], s[54:55]
	s_cbranch_execz .LBB95_23
; %bb.18:                               ;   in Loop: Header=BB95_7 Depth=2
	s_xor_b64 s[52:53], s[52:53], -1
	s_and_saveexec_b64 s[54:55], s[52:53]
	s_xor_b64 s[52:53], exec, s[54:55]
	s_cbranch_execz .LBB95_20
; %bb.19:                               ;   in Loop: Header=BB95_7 Depth=2
	v_mov_b32_e32 v4, v23
	v_mov_b32_e32 v5, v23
	ds_write_b64 v51, v[4:5] offset:128
.LBB95_20:                              ;   in Loop: Header=BB95_7 Depth=2
	s_andn2_saveexec_b64 s[52:53], s[52:53]
	s_cbranch_execz .LBB95_22
; %bb.21:                               ;   in Loop: Header=BB95_7 Depth=2
	ds_write_b64 v51, v[22:23] offset:128
.LBB95_22:                              ;   in Loop: Header=BB95_7 Depth=2
	s_or_b64 exec, exec, s[52:53]
.LBB95_23:                              ;   in Loop: Header=BB95_7 Depth=2
	s_or_b64 exec, exec, s[18:19]
	v_cmp_eq_u64_e64 s[18:19], s[42:43], v[40:41]
	s_and_b64 s[52:53], s[22:23], s[18:19]
	v_cmp_lt_i64_e64 s[18:19], v[2:3], v[38:39]
	s_or_b64 s[18:19], s[8:9], s[18:19]
	s_or_b64 s[18:19], s[18:19], s[52:53]
	s_or_b64 s[12:13], s[12:13], s[18:19]
	s_xor_b64 s[12:13], s[12:13], -1
	s_and_saveexec_b64 s[18:19], s[12:13]
	s_xor_b64 s[12:13], exec, s[18:19]
	s_cbranch_execz .LBB95_25
; %bb.24:                               ;   in Loop: Header=BB95_7 Depth=2
	global_load_dwordx2 v[0:1], v[0:1], off offset:128
	s_waitcnt vmcnt(0)
	v_xor_b32_e32 v1, 0x80000000, v1
	ds_write_b64 v51, v[0:1] offset:4096
.LBB95_25:                              ;   in Loop: Header=BB95_7 Depth=2
	s_andn2_saveexec_b64 s[12:13], s[12:13]
	s_cbranch_execz .LBB95_31
; %bb.26:                               ;   in Loop: Header=BB95_7 Depth=2
	s_xor_b64 s[18:19], s[52:53], -1
	s_and_saveexec_b64 s[52:53], s[18:19]
	s_xor_b64 s[18:19], exec, s[52:53]
	s_cbranch_execz .LBB95_28
; %bb.27:                               ;   in Loop: Header=BB95_7 Depth=2
	v_mov_b32_e32 v0, v23
	v_mov_b32_e32 v1, v23
	ds_write_b64 v51, v[0:1] offset:4096
.LBB95_28:                              ;   in Loop: Header=BB95_7 Depth=2
	s_andn2_saveexec_b64 s[18:19], s[18:19]
	s_cbranch_execz .LBB95_30
; %bb.29:                               ;   in Loop: Header=BB95_7 Depth=2
	ds_write_b64 v51, v[22:23] offset:4096
.LBB95_30:                              ;   in Loop: Header=BB95_7 Depth=2
	s_or_b64 exec, exec, s[18:19]
.LBB95_31:                              ;   in Loop: Header=BB95_7 Depth=2
	s_or_b64 exec, exec, s[12:13]
	s_or_b64 s[10:11], s[8:9], s[10:11]
	s_or_b64 s[10:11], s[14:15], s[10:11]
	;; [unrolled: 1-line block ×3, first 2 shown]
	s_xor_b64 s[10:11], s[10:11], -1
	s_and_saveexec_b64 s[12:13], s[10:11]
	s_xor_b64 s[12:13], exec, s[12:13]
	s_cbranch_execz .LBB95_33
; %bb.32:                               ;   in Loop: Header=BB95_7 Depth=2
	v_add_co_u32_e64 v0, s[10:11], v30, v28
	v_addc_co_u32_e64 v1, s[10:11], v31, v29, s[10:11]
	global_load_dwordx2 v[0:1], v[0:1], off offset:128
	s_waitcnt vmcnt(0)
	v_xor_b32_e32 v1, 0x80000000, v1
	ds_write_b64 v51, v[0:1] offset:4224
.LBB95_33:                              ;   in Loop: Header=BB95_7 Depth=2
	s_andn2_saveexec_b64 s[10:11], s[12:13]
	s_cbranch_execz .LBB95_39
; %bb.34:                               ;   in Loop: Header=BB95_7 Depth=2
	s_and_saveexec_b64 s[12:13], s[46:47]
	s_xor_b64 s[12:13], exec, s[12:13]
	s_cbranch_execz .LBB95_36
; %bb.35:                               ;   in Loop: Header=BB95_7 Depth=2
	v_mov_b32_e32 v0, v23
	v_mov_b32_e32 v1, v23
	ds_write_b64 v51, v[0:1] offset:4224
.LBB95_36:                              ;   in Loop: Header=BB95_7 Depth=2
	s_andn2_saveexec_b64 s[12:13], s[12:13]
	s_cbranch_execz .LBB95_38
; %bb.37:                               ;   in Loop: Header=BB95_7 Depth=2
	ds_write_b64 v51, v[22:23] offset:4224
.LBB95_38:                              ;   in Loop: Header=BB95_7 Depth=2
	s_or_b64 exec, exec, s[12:13]
.LBB95_39:                              ;   in Loop: Header=BB95_7 Depth=2
	s_or_b64 exec, exec, s[10:11]
	v_mov_b32_e32 v1, s43
	v_add_co_u32_e64 v0, s[10:11], s42, v20
	v_addc_co_u32_e64 v1, s[10:11], v21, v1, s[10:11]
	v_add_co_u32_e64 v2, s[10:11], v44, v34
	v_addc_co_u32_e64 v3, s[10:11], v45, v35, s[10:11]
	v_cmp_le_i64_e64 s[10:11], s[26:27], v[0:1]
	s_or_b64 s[12:13], s[10:11], s[0:1]
	s_xor_b64 s[12:13], s[12:13], -1
	s_and_saveexec_b64 s[14:15], s[12:13]
	s_xor_b64 s[12:13], exec, s[14:15]
	s_cbranch_execz .LBB95_41
; %bb.40:                               ;   in Loop: Header=BB95_7 Depth=2
	global_load_dwordx2 v[4:5], v[2:3], off offset:-128
	s_waitcnt vmcnt(0)
	ds_write_b64 v55, v[4:5]
.LBB95_41:                              ;   in Loop: Header=BB95_7 Depth=2
	s_andn2_saveexec_b64 s[12:13], s[12:13]
	s_cbranch_execz .LBB95_43
; %bb.42:                               ;   in Loop: Header=BB95_7 Depth=2
	v_mov_b32_e32 v4, v23
	v_mov_b32_e32 v5, v23
	ds_write_b64 v55, v[4:5]
.LBB95_43:                              ;   in Loop: Header=BB95_7 Depth=2
	s_or_b64 exec, exec, s[12:13]
	s_or_b64 s[10:11], s[10:11], s[2:3]
	s_xor_b64 s[10:11], s[10:11], -1
	s_and_saveexec_b64 s[12:13], s[10:11]
	s_xor_b64 s[10:11], exec, s[12:13]
	s_cbranch_execz .LBB95_45
; %bb.44:                               ;   in Loop: Header=BB95_7 Depth=2
	global_load_dwordx2 v[2:3], v[2:3], off
	s_waitcnt vmcnt(0)
	ds_write_b64 v55, v[2:3] offset:128
.LBB95_45:                              ;   in Loop: Header=BB95_7 Depth=2
	s_andn2_saveexec_b64 s[10:11], s[10:11]
	s_cbranch_execz .LBB95_47
; %bb.46:                               ;   in Loop: Header=BB95_7 Depth=2
	v_mov_b32_e32 v2, v23
	v_mov_b32_e32 v3, v23
	ds_write_b64 v55, v[2:3] offset:128
.LBB95_47:                              ;   in Loop: Header=BB95_7 Depth=2
	s_or_b64 exec, exec, s[10:11]
	v_cmp_le_i64_e64 s[10:11], s[44:45], v[0:1]
	s_or_b64 s[12:13], s[10:11], s[0:1]
	s_xor_b64 s[12:13], s[12:13], -1
	s_and_saveexec_b64 s[14:15], s[12:13]
	s_xor_b64 s[14:15], exec, s[14:15]
	s_cbranch_execz .LBB95_49
; %bb.48:                               ;   in Loop: Header=BB95_7 Depth=2
	v_add_co_u32_e64 v0, s[12:13], v44, v36
	v_addc_co_u32_e64 v1, s[12:13], v45, v37, s[12:13]
	global_load_dwordx2 v[0:1], v[0:1], off offset:-128
	s_waitcnt vmcnt(0)
	ds_write_b64 v55, v[0:1] offset:4096
.LBB95_49:                              ;   in Loop: Header=BB95_7 Depth=2
	s_andn2_saveexec_b64 s[12:13], s[14:15]
	s_cbranch_execz .LBB95_51
; %bb.50:                               ;   in Loop: Header=BB95_7 Depth=2
	v_mov_b32_e32 v0, v23
	v_mov_b32_e32 v1, v23
	ds_write_b64 v55, v[0:1] offset:4096
.LBB95_51:                              ;   in Loop: Header=BB95_7 Depth=2
	s_or_b64 exec, exec, s[12:13]
	s_or_b64 s[10:11], s[10:11], s[2:3]
	s_xor_b64 s[10:11], s[10:11], -1
	s_and_saveexec_b64 s[12:13], s[10:11]
	s_xor_b64 s[12:13], exec, s[12:13]
	s_cbranch_execz .LBB95_53
; %bb.52:                               ;   in Loop: Header=BB95_7 Depth=2
	v_add_co_u32_e64 v0, s[10:11], v44, v36
	v_addc_co_u32_e64 v1, s[10:11], v45, v37, s[10:11]
	global_load_dwordx2 v[0:1], v[0:1], off
	s_waitcnt vmcnt(0)
	ds_write_b64 v55, v[0:1] offset:4224
.LBB95_53:                              ;   in Loop: Header=BB95_7 Depth=2
	s_andn2_saveexec_b64 s[10:11], s[12:13]
	s_cbranch_execz .LBB95_6
; %bb.54:                               ;   in Loop: Header=BB95_7 Depth=2
	v_mov_b32_e32 v0, v23
	v_mov_b32_e32 v1, v23
	ds_write_b64 v55, v[0:1] offset:4224
	s_branch .LBB95_6
.LBB95_55:                              ;   in Loop: Header=BB95_4 Depth=1
	v_mul_lo_u32 v2, v25, s20
	v_mul_lo_u32 v3, v24, s21
	v_mad_u64_u32 v[0:1], s[8:9], v24, s20, 0
	v_add3_u32 v1, v1, v3, v2
	v_lshlrev_b64 v[0:1], 3, v[0:1]
	v_mov_b32_e32 v2, s57
	v_add_co_u32_e64 v0, s[8:9], s56, v0
	v_cmp_gt_i32_e32 vcc, s26, v24
	v_addc_co_u32_e64 v1, s[8:9], v2, v1, s[8:9]
	s_and_b64 s[8:9], s[4:5], vcc
	s_and_saveexec_b64 s[10:11], s[8:9]
	s_cbranch_execz .LBB95_57
; %bb.56:                               ;   in Loop: Header=BB95_4 Depth=1
	v_add_co_u32_e64 v2, s[8:9], v0, v12
	v_addc_co_u32_e64 v3, s[8:9], v1, v13, s[8:9]
	global_load_dwordx2 v[4:5], v[2:3], off
	v_pk_mul_f32 v[6:7], v[60:61], s[28:29] op_sel_hi:[0,1]
	v_pk_fma_f32 v[8:9], v[58:59], s[28:29], v[6:7] op_sel:[0,0,1] op_sel_hi:[1,1,0] neg_lo:[0,0,1] neg_hi:[0,0,1]
	v_pk_fma_f32 v[6:7], v[58:59], s[28:29], v[6:7] op_sel:[0,0,1] op_sel_hi:[0,1,0]
	v_mov_b32_e32 v9, v7
	s_waitcnt vmcnt(0)
	v_pk_add_f32 v[4:5], v[4:5], v[8:9]
	global_store_dwordx2 v[2:3], v[4:5], off
.LBB95_57:                              ;   in Loop: Header=BB95_4 Depth=1
	s_or_b64 exec, exec, s[10:11]
	s_and_b64 s[10:11], s[16:17], vcc
	s_and_saveexec_b64 s[8:9], s[10:11]
	s_cbranch_execz .LBB95_59
; %bb.58:                               ;   in Loop: Header=BB95_4 Depth=1
	v_lshlrev_b64 v[2:3], 3, v[16:17]
	v_add_co_u32_e32 v0, vcc, v0, v2
	v_addc_co_u32_e32 v1, vcc, v1, v3, vcc
	global_load_dwordx2 v[2:3], v[0:1], off
	v_pk_mul_f32 v[4:5], v[56:57], s[28:29] op_sel_hi:[0,1]
	v_pk_fma_f32 v[6:7], v[54:55], s[28:29], v[4:5] op_sel:[0,0,1] op_sel_hi:[1,1,0] neg_lo:[0,0,1] neg_hi:[0,0,1]
	v_pk_fma_f32 v[4:5], v[54:55], s[28:29], v[4:5] op_sel:[0,0,1] op_sel_hi:[0,1,0]
	v_mov_b32_e32 v7, v5
	s_waitcnt vmcnt(0)
	v_pk_add_f32 v[2:3], v[2:3], v[6:7]
	global_store_dwordx2 v[0:1], v[2:3], off
.LBB95_59:                              ;   in Loop: Header=BB95_4 Depth=1
	s_or_b64 exec, exec, s[8:9]
	v_add_u32_e32 v0, 16, v24
	v_ashrrev_i32_e32 v1, 31, v0
	v_cmp_gt_i32_e32 vcc, s26, v0
	v_mul_lo_u32 v2, v1, s20
	v_mul_lo_u32 v3, v0, s21
	v_mad_u64_u32 v[0:1], s[8:9], v0, s20, 0
	v_add3_u32 v1, v1, v3, v2
	v_lshlrev_b64 v[0:1], 3, v[0:1]
	v_mov_b32_e32 v2, s57
	v_add_co_u32_e64 v0, s[8:9], s56, v0
	v_addc_co_u32_e64 v1, s[8:9], v2, v1, s[8:9]
	s_and_b64 s[8:9], s[4:5], vcc
	s_and_saveexec_b64 s[10:11], s[8:9]
	s_cbranch_execz .LBB95_61
; %bb.60:                               ;   in Loop: Header=BB95_4 Depth=1
	v_add_co_u32_e64 v2, s[8:9], v0, v12
	v_addc_co_u32_e64 v3, s[8:9], v1, v13, s[8:9]
	global_load_dwordx2 v[4:5], v[2:3], off
	v_pk_mul_f32 v[6:7], v[52:53], s[28:29] op_sel_hi:[0,1]
	v_pk_fma_f32 v[8:9], v[50:51], s[28:29], v[6:7] op_sel:[0,0,1] op_sel_hi:[1,1,0] neg_lo:[0,0,1] neg_hi:[0,0,1]
	v_pk_fma_f32 v[6:7], v[50:51], s[28:29], v[6:7] op_sel:[0,0,1] op_sel_hi:[0,1,0]
	v_mov_b32_e32 v9, v7
	s_waitcnt vmcnt(0)
	v_pk_add_f32 v[4:5], v[4:5], v[8:9]
	global_store_dwordx2 v[2:3], v[4:5], off
.LBB95_61:                              ;   in Loop: Header=BB95_4 Depth=1
	s_or_b64 exec, exec, s[10:11]
	s_and_b64 s[10:11], s[16:17], vcc
	s_and_saveexec_b64 s[8:9], s[10:11]
	s_cbranch_execz .LBB95_3
; %bb.62:                               ;   in Loop: Header=BB95_4 Depth=1
	v_lshlrev_b64 v[2:3], 3, v[16:17]
	v_add_co_u32_e32 v0, vcc, v0, v2
	v_addc_co_u32_e32 v1, vcc, v1, v3, vcc
	global_load_dwordx2 v[2:3], v[0:1], off
	v_pk_mul_f32 v[4:5], v[46:47], s[28:29] op_sel_hi:[0,1]
	v_pk_fma_f32 v[6:7], v[48:49], s[28:29], v[4:5] op_sel:[0,0,1] op_sel_hi:[1,1,0] neg_lo:[0,0,1] neg_hi:[0,0,1]
	v_pk_fma_f32 v[4:5], v[48:49], s[28:29], v[4:5] op_sel:[0,0,1] op_sel_hi:[0,1,0]
	v_mov_b32_e32 v7, v5
	s_waitcnt vmcnt(0)
	v_pk_add_f32 v[2:3], v[2:3], v[6:7]
	global_store_dwordx2 v[0:1], v[2:3], off
	s_branch .LBB95_3
.LBB95_63:
	s_endpgm
	.section	.rodata,"a",@progbits
	.p2align	6, 0x0
	.amdhsa_kernel _ZL30rocblas_trmm_outofplace_kernelI19rocblas_complex_numIfELi32ELi2ELb0ELb1ELb1ELb1ES1_KS1_S1_Ev17rocblas_diagonal_iiT6_lPT7_lllS6_lllPT8_llli
		.amdhsa_group_segment_fixed_size 16384
		.amdhsa_private_segment_fixed_size 0
		.amdhsa_kernarg_size 392
		.amdhsa_user_sgpr_count 6
		.amdhsa_user_sgpr_private_segment_buffer 1
		.amdhsa_user_sgpr_dispatch_ptr 0
		.amdhsa_user_sgpr_queue_ptr 0
		.amdhsa_user_sgpr_kernarg_segment_ptr 1
		.amdhsa_user_sgpr_dispatch_id 0
		.amdhsa_user_sgpr_flat_scratch_init 0
		.amdhsa_user_sgpr_kernarg_preload_length 0
		.amdhsa_user_sgpr_kernarg_preload_offset 0
		.amdhsa_user_sgpr_private_segment_size 0
		.amdhsa_uses_dynamic_stack 0
		.amdhsa_system_sgpr_private_segment_wavefront_offset 0
		.amdhsa_system_sgpr_workgroup_id_x 1
		.amdhsa_system_sgpr_workgroup_id_y 1
		.amdhsa_system_sgpr_workgroup_id_z 1
		.amdhsa_system_sgpr_workgroup_info 0
		.amdhsa_system_vgpr_workitem_id 1
		.amdhsa_next_free_vgpr 80
		.amdhsa_next_free_sgpr 61
		.amdhsa_accum_offset 80
		.amdhsa_reserve_vcc 1
		.amdhsa_reserve_flat_scratch 0
		.amdhsa_float_round_mode_32 0
		.amdhsa_float_round_mode_16_64 0
		.amdhsa_float_denorm_mode_32 3
		.amdhsa_float_denorm_mode_16_64 3
		.amdhsa_dx10_clamp 1
		.amdhsa_ieee_mode 1
		.amdhsa_fp16_overflow 0
		.amdhsa_tg_split 0
		.amdhsa_exception_fp_ieee_invalid_op 0
		.amdhsa_exception_fp_denorm_src 0
		.amdhsa_exception_fp_ieee_div_zero 0
		.amdhsa_exception_fp_ieee_overflow 0
		.amdhsa_exception_fp_ieee_underflow 0
		.amdhsa_exception_fp_ieee_inexact 0
		.amdhsa_exception_int_div_zero 0
	.end_amdhsa_kernel
	.section	.text._ZL30rocblas_trmm_outofplace_kernelI19rocblas_complex_numIfELi32ELi2ELb0ELb1ELb1ELb1ES1_KS1_S1_Ev17rocblas_diagonal_iiT6_lPT7_lllS6_lllPT8_llli,"axG",@progbits,_ZL30rocblas_trmm_outofplace_kernelI19rocblas_complex_numIfELi32ELi2ELb0ELb1ELb1ELb1ES1_KS1_S1_Ev17rocblas_diagonal_iiT6_lPT7_lllS6_lllPT8_llli,comdat
.Lfunc_end95:
	.size	_ZL30rocblas_trmm_outofplace_kernelI19rocblas_complex_numIfELi32ELi2ELb0ELb1ELb1ELb1ES1_KS1_S1_Ev17rocblas_diagonal_iiT6_lPT7_lllS6_lllPT8_llli, .Lfunc_end95-_ZL30rocblas_trmm_outofplace_kernelI19rocblas_complex_numIfELi32ELi2ELb0ELb1ELb1ELb1ES1_KS1_S1_Ev17rocblas_diagonal_iiT6_lPT7_lllS6_lllPT8_llli
                                        ; -- End function
	.section	.AMDGPU.csdata,"",@progbits
; Kernel info:
; codeLenInByte = 6716
; NumSgprs: 65
; NumVgprs: 80
; NumAgprs: 0
; TotalNumVgprs: 80
; ScratchSize: 0
; MemoryBound: 0
; FloatMode: 240
; IeeeMode: 1
; LDSByteSize: 16384 bytes/workgroup (compile time only)
; SGPRBlocks: 8
; VGPRBlocks: 9
; NumSGPRsForWavesPerEU: 65
; NumVGPRsForWavesPerEU: 80
; AccumOffset: 80
; Occupancy: 6
; WaveLimiterHint : 0
; COMPUTE_PGM_RSRC2:SCRATCH_EN: 0
; COMPUTE_PGM_RSRC2:USER_SGPR: 6
; COMPUTE_PGM_RSRC2:TRAP_HANDLER: 0
; COMPUTE_PGM_RSRC2:TGID_X_EN: 1
; COMPUTE_PGM_RSRC2:TGID_Y_EN: 1
; COMPUTE_PGM_RSRC2:TGID_Z_EN: 1
; COMPUTE_PGM_RSRC2:TIDIG_COMP_CNT: 1
; COMPUTE_PGM_RSRC3_GFX90A:ACCUM_OFFSET: 19
; COMPUTE_PGM_RSRC3_GFX90A:TG_SPLIT: 0
	.section	.text._ZL23rocblas_trmm_lNx_kernelILi16E19rocblas_complex_numIfEPKS1_S2_S1_Ev13rocblas_fill_17rocblas_diagonal_iiT1_lPT2_llS8_llPT3_lli,"axG",@progbits,_ZL23rocblas_trmm_lNx_kernelILi16E19rocblas_complex_numIfEPKS1_S2_S1_Ev13rocblas_fill_17rocblas_diagonal_iiT1_lPT2_llS8_llPT3_lli,comdat
	.globl	_ZL23rocblas_trmm_lNx_kernelILi16E19rocblas_complex_numIfEPKS1_S2_S1_Ev13rocblas_fill_17rocblas_diagonal_iiT1_lPT2_llS8_llPT3_lli ; -- Begin function _ZL23rocblas_trmm_lNx_kernelILi16E19rocblas_complex_numIfEPKS1_S2_S1_Ev13rocblas_fill_17rocblas_diagonal_iiT1_lPT2_llS8_llPT3_lli
	.p2align	8
	.type	_ZL23rocblas_trmm_lNx_kernelILi16E19rocblas_complex_numIfEPKS1_S2_S1_Ev13rocblas_fill_17rocblas_diagonal_iiT1_lPT2_llS8_llPT3_lli,@function
_ZL23rocblas_trmm_lNx_kernelILi16E19rocblas_complex_numIfEPKS1_S2_S1_Ev13rocblas_fill_17rocblas_diagonal_iiT1_lPT2_llS8_llPT3_lli: ; @_ZL23rocblas_trmm_lNx_kernelILi16E19rocblas_complex_numIfEPKS1_S2_S1_Ev13rocblas_fill_17rocblas_diagonal_iiT1_lPT2_llS8_llPT3_lli
; %bb.0:
	s_load_dwordx16 s[8:23], s[4:5], 0x10
	s_waitcnt lgkmcnt(0)
	s_mul_i32 s0, s7, s11
	s_mul_hi_u32 s1, s7, s10
	s_add_i32 s1, s1, s0
	s_mul_i32 s0, s7, s10
	s_lshl_b64 s[0:1], s[0:1], 3
	s_add_u32 s0, s8, s0
	s_addc_u32 s1, s9, s1
	s_load_dwordx2 s[24:25], s[0:1], 0x0
	s_waitcnt lgkmcnt(0)
	v_cmp_neq_f32_e64 s[0:1], s24, 0
	v_cmp_neq_f32_e64 s[2:3], s25, 0
	s_or_b64 s[0:1], s[0:1], s[2:3]
	s_andn2_b64 vcc, exec, s[0:1]
	s_mov_b32 s0, 0
	s_cbranch_vccnz .LBB96_15
; %bb.1:
	s_load_dwordx4 s[8:11], s[4:5], 0x0
	v_and_b32_e32 v4, 0x3ff, v0
	v_bfe_u32 v0, v0, 10, 10
	s_mov_b32 s1, s0
	v_lshlrev_b32_e32 v2, 4, v0
	v_pk_mov_b32 v[6:7], s[0:1], s[0:1] op_sel:[0,1]
	s_waitcnt lgkmcnt(0)
	v_cmp_gt_i32_e64 s[0:1], s10, v0
	v_cmp_gt_i32_e32 vcc, s10, v4
	v_add_lshl_u32 v3, v2, v4, 3
	s_and_b64 s[0:1], s[0:1], vcc
	v_lshlrev_b32_e32 v1, 3, v4
	ds_write2st64_b64 v3, v[6:7], v[6:7] offset1:4
	s_and_saveexec_b64 s[2:3], s[0:1]
	s_cbranch_execz .LBB96_3
; %bb.2:
	s_mul_i32 s0, s7, s17
	s_mul_hi_u32 s1, s7, s16
	s_add_i32 s1, s1, s0
	s_mul_i32 s0, s7, s16
	s_lshl_b64 s[0:1], s[0:1], 3
	s_add_u32 s10, s12, s0
	s_addc_u32 s12, s13, s1
	v_mad_u64_u32 v[6:7], s[0:1], v0, s14, 0
	v_mov_b32_e32 v8, v7
	v_mad_u64_u32 v[8:9], s[0:1], v0, s15, v[8:9]
	v_mov_b32_e32 v7, v8
	v_lshlrev_b64 v[6:7], 3, v[6:7]
	v_mov_b32_e32 v5, s12
	v_add_co_u32_e64 v6, s[0:1], s10, v6
	v_addc_co_u32_e64 v5, s[0:1], v5, v7, s[0:1]
	v_add_co_u32_e64 v6, s[0:1], v6, v1
	v_addc_co_u32_e64 v7, s[0:1], 0, v5, s[0:1]
	global_load_dwordx2 v[6:7], v[6:7], off
	s_waitcnt vmcnt(0)
	ds_write_b64 v3, v[6:7]
.LBB96_3:
	s_or_b64 exec, exec, s[2:3]
	s_add_i32 s0, s11, -1
	s_ashr_i32 s1, s0, 31
	s_lshr_b32 s1, s1, 28
	s_add_i32 s0, s0, s1
	s_ashr_i32 s1, s0, 4
	s_and_b32 s0, s0, -16
	s_sub_i32 s0, s11, s0
	s_cmp_ge_i32 s6, s1
	s_cselect_b32 s0, s0, 16
	s_lshl_b32 s6, s6, 4
	v_cmp_gt_i32_e64 s[0:1], s0, v0
	s_ashr_i32 s10, s6, 31
	s_and_b64 s[0:1], vcc, s[0:1]
	s_and_saveexec_b64 s[2:3], s[0:1]
	s_cbranch_execz .LBB96_5
; %bb.4:
	s_mul_i32 s11, s7, s23
	s_mul_hi_u32 s12, s7, s22
	s_add_i32 s13, s12, s11
	s_mul_i32 s12, s7, s22
	s_lshl_b64 s[12:13], s[12:13], 3
	s_add_u32 s11, s18, s12
	s_addc_u32 s14, s19, s13
	s_mul_i32 s12, s6, s21
	s_mul_hi_u32 s13, s6, s20
	s_add_i32 s12, s13, s12
	s_mul_i32 s13, s10, s20
	s_add_i32 s13, s12, s13
	s_mul_i32 s12, s6, s20
	s_lshl_b64 s[12:13], s[12:13], 3
	s_add_u32 s11, s11, s12
	s_addc_u32 s14, s14, s13
	v_mad_u64_u32 v[6:7], s[12:13], v0, s20, 0
	v_mov_b32_e32 v8, v7
	v_mad_u64_u32 v[8:9], s[12:13], v0, s21, v[8:9]
	v_mov_b32_e32 v7, v8
	v_lshlrev_b64 v[6:7], 3, v[6:7]
	v_mov_b32_e32 v5, s14
	v_add_co_u32_e32 v6, vcc, s11, v6
	v_addc_co_u32_e32 v5, vcc, v5, v7, vcc
	v_add_co_u32_e32 v6, vcc, v6, v1
	v_addc_co_u32_e32 v7, vcc, 0, v5, vcc
	global_load_dwordx2 v[6:7], v[6:7], off
	v_add_u32_e32 v5, 0x800, v3
	s_waitcnt vmcnt(0)
	ds_write_b64 v5, v[6:7]
.LBB96_5:
	s_or_b64 exec, exec, s[2:3]
	s_cmpk_eq_i32 s9, 0x84
	s_cselect_b64 s[2:3], -1, 0
	v_cmp_eq_u32_e32 vcc, v0, v4
	s_and_b64 s[12:13], vcc, s[2:3]
	s_and_saveexec_b64 s[2:3], s[12:13]
	s_cbranch_execz .LBB96_7
; %bb.6:
	v_mov_b32_e32 v6, 1.0
	v_mov_b32_e32 v7, 0
	ds_write_b64 v3, v[6:7]
.LBB96_7:
	s_or_b64 exec, exec, s[2:3]
	s_cmpk_lg_i32 s8, 0x79
	s_cbranch_scc0 .LBB96_9
; %bb.8:
	v_cmp_lt_u32_e32 vcc, v4, v0
	s_and_b64 s[2:3], vcc, exec
	s_cbranch_execz .LBB96_10
	s_branch .LBB96_11
.LBB96_9:
	s_mov_b64 s[2:3], 0
.LBB96_10:
	v_cmp_gt_u32_e32 vcc, v4, v0
	s_andn2_b64 s[2:3], s[2:3], exec
	s_and_b64 s[8:9], vcc, exec
	s_or_b64 s[2:3], s[2:3], s[8:9]
.LBB96_11:
	s_and_saveexec_b64 s[8:9], s[2:3]
	s_cbranch_execz .LBB96_13
; %bb.12:
	v_mov_b32_e32 v4, 0
	v_mov_b32_e32 v5, v4
	ds_write_b64 v3, v[4:5]
.LBB96_13:
	s_or_b64 exec, exec, s[8:9]
	s_waitcnt lgkmcnt(0)
	s_barrier
	s_and_saveexec_b64 s[2:3], s[0:1]
	s_cbranch_execz .LBB96_15
; %bb.14:
	s_load_dwordx2 s[8:9], s[4:5], 0x60
	s_load_dwordx4 s[0:3], s[4:5], 0x50
	v_lshlrev_b32_e32 v54, 3, v2
	ds_read2_b64 v[2:5], v1 offset1:16
	ds_read_b128 v[6:9], v54 offset:2048
	ds_read_b128 v[10:13], v54 offset:2064
	;; [unrolled: 1-line block ×4, first 2 shown]
	ds_read2_b64 v[22:25], v1 offset0:32 offset1:48
	s_waitcnt lgkmcnt(0)
	s_mul_i32 s5, s7, s9
	s_mul_hi_u32 s9, s7, s8
	v_mul_f32_e32 v26, v6, v3
	v_fmac_f32_e32 v26, v7, v2
	v_mul_f32_e32 v27, v8, v5
	v_add_f32_e32 v26, 0, v26
	v_fmac_f32_e32 v27, v9, v4
	v_add_f32_e32 v30, v26, v27
	v_mul_f32_e32 v31, v10, v23
	ds_read2_b64 v[26:29], v1 offset0:64 offset1:80
	v_fmac_f32_e32 v31, v11, v22
	v_add_f32_e32 v30, v30, v31
	v_mul_f32_e32 v31, v12, v25
	v_fmac_f32_e32 v31, v13, v24
	v_add_f32_e32 v34, v30, v31
	ds_read2_b64 v[30:33], v1 offset0:96 offset1:112
	s_waitcnt lgkmcnt(1)
	v_mul_f32_e32 v35, v14, v27
	v_fmac_f32_e32 v35, v15, v26
	v_add_f32_e32 v34, v34, v35
	v_mul_f32_e32 v35, v16, v29
	v_fmac_f32_e32 v35, v17, v28
	v_add_f32_e32 v34, v34, v35
	s_waitcnt lgkmcnt(0)
	v_mul_f32_e32 v35, v18, v31
	v_fmac_f32_e32 v35, v19, v30
	v_add_f32_e32 v42, v34, v35
	ds_read2_b64 v[34:37], v1 offset0:128 offset1:144
	ds_read_b128 v[38:41], v54 offset:2112
	v_mul_f32_e32 v43, v20, v33
	v_fmac_f32_e32 v43, v21, v32
	v_add_f32_e32 v50, v42, v43
	ds_read_b128 v[42:45], v54 offset:2128
	ds_read2_b64 v[46:49], v1 offset0:160 offset1:176
	s_waitcnt lgkmcnt(2)
	v_mul_f32_e32 v51, v38, v35
	v_fmac_f32_e32 v51, v39, v34
	v_add_f32_e32 v50, v50, v51
	v_mul_f32_e32 v51, v40, v37
	v_mul_f32_e32 v3, v7, v3
	v_fmac_f32_e32 v51, v41, v36
	v_fma_f32 v56, v6, v2, -v3
	v_mul_f32_e32 v2, v9, v5
	v_add_f32_e32 v50, v50, v51
	v_fma_f32 v57, v8, v4, -v2
	ds_read_b128 v[2:5], v54 offset:2144
	s_waitcnt lgkmcnt(1)
	v_mul_f32_e32 v51, v42, v47
	v_fmac_f32_e32 v51, v43, v46
	v_add_f32_e32 v55, v50, v51
	ds_read2_b64 v[50:53], v1 offset0:192 offset1:208
	v_mul_f32_e32 v6, v44, v49
	v_mul_f32_e32 v11, v11, v23
	v_fmac_f32_e32 v6, v45, v48
	v_fma_f32 v22, v10, v22, -v11
	v_mul_f32_e32 v10, v13, v25
	v_add_f32_e32 v55, v55, v6
	ds_read_b128 v[6:9], v54 offset:2160
	v_fma_f32 v23, v12, v24, -v10
	ds_read2_b64 v[10:13], v1 offset0:224 offset1:240
	s_waitcnt lgkmcnt(2)
	v_mul_f32_e32 v54, v2, v51
	v_fmac_f32_e32 v54, v3, v50
	v_mul_f32_e32 v25, v4, v53
	v_add_f32_e32 v24, v55, v54
	v_fmac_f32_e32 v25, v5, v52
	v_add_f32_e32 v24, v24, v25
	s_waitcnt lgkmcnt(0)
	v_mul_f32_e32 v25, v6, v11
	v_fmac_f32_e32 v25, v7, v10
	v_add_f32_e32 v24, v24, v25
	v_mul_f32_e32 v25, v8, v13
	v_fmac_f32_e32 v25, v9, v12
	v_add_f32_e32 v24, v24, v25
	v_add_f32_e32 v25, 0, v56
	;; [unrolled: 1-line block ×4, first 2 shown]
	v_mul_f32_e32 v15, v15, v27
	v_add_f32_e32 v22, v22, v23
	v_fma_f32 v14, v14, v26, -v15
	v_mul_f32_e32 v15, v17, v29
	v_add_f32_e32 v14, v22, v14
	v_fma_f32 v15, v16, v28, -v15
	v_add_f32_e32 v14, v14, v15
	v_mul_f32_e32 v15, v19, v31
	v_fma_f32 v15, v18, v30, -v15
	v_add_f32_e32 v14, v14, v15
	v_mul_f32_e32 v15, v21, v33
	;; [unrolled: 3-line block ×6, first 2 shown]
	v_fma_f32 v15, v44, v48, -v15
	v_mul_f32_e32 v3, v3, v51
	s_mul_i32 s4, s7, s8
	s_add_i32 s5, s9, s5
	v_add_f32_e32 v14, v14, v15
	v_fma_f32 v2, v2, v50, -v3
	v_mul_f32_e32 v3, v5, v53
	s_lshl_b64 s[4:5], s[4:5], 3
	v_add_f32_e32 v2, v14, v2
	v_fma_f32 v3, v4, v52, -v3
	s_mul_i32 s7, s6, s3
	s_add_u32 s4, s0, s4
	s_mul_hi_u32 s0, s6, s2
	v_add_f32_e32 v2, v2, v3
	v_mul_f32_e32 v3, v7, v11
	s_addc_u32 s5, s1, s5
	s_add_i32 s0, s0, s7
	s_mul_i32 s10, s10, s2
	v_fma_f32 v3, v6, v10, -v3
	s_add_i32 s1, s0, s10
	s_mul_i32 s0, s6, s2
	v_add_f32_e32 v2, v2, v3
	v_mul_f32_e32 v3, v9, v13
	s_lshl_b64 s[0:1], s[0:1], 3
	v_fma_f32 v3, v8, v12, -v3
	s_add_u32 s0, s4, s0
	v_add_f32_e32 v2, v2, v3
	v_mul_f32_e32 v3, s24, v24
	v_mul_f32_e32 v4, s25, v24
	s_addc_u32 s1, s5, s1
	v_fmac_f32_e32 v3, s25, v2
	v_fma_f32 v2, s24, v2, -v4
	v_mad_u64_u32 v[4:5], s[4:5], v0, s2, 0
	v_mov_b32_e32 v6, v5
	v_mad_u64_u32 v[6:7], s[2:3], v0, s3, v[6:7]
	v_mov_b32_e32 v5, v6
	v_lshlrev_b64 v[4:5], 3, v[4:5]
	v_mov_b32_e32 v0, s1
	v_add_co_u32_e32 v4, vcc, s0, v4
	v_addc_co_u32_e32 v5, vcc, v0, v5, vcc
	v_add_co_u32_e32 v0, vcc, v4, v1
	v_addc_co_u32_e32 v1, vcc, 0, v5, vcc
	global_store_dwordx2 v[0:1], v[2:3], off
.LBB96_15:
	s_endpgm
	.section	.rodata,"a",@progbits
	.p2align	6, 0x0
	.amdhsa_kernel _ZL23rocblas_trmm_lNx_kernelILi16E19rocblas_complex_numIfEPKS1_S2_S1_Ev13rocblas_fill_17rocblas_diagonal_iiT1_lPT2_llS8_llPT3_lli
		.amdhsa_group_segment_fixed_size 4096
		.amdhsa_private_segment_fixed_size 0
		.amdhsa_kernarg_size 108
		.amdhsa_user_sgpr_count 6
		.amdhsa_user_sgpr_private_segment_buffer 1
		.amdhsa_user_sgpr_dispatch_ptr 0
		.amdhsa_user_sgpr_queue_ptr 0
		.amdhsa_user_sgpr_kernarg_segment_ptr 1
		.amdhsa_user_sgpr_dispatch_id 0
		.amdhsa_user_sgpr_flat_scratch_init 0
		.amdhsa_user_sgpr_kernarg_preload_length 0
		.amdhsa_user_sgpr_kernarg_preload_offset 0
		.amdhsa_user_sgpr_private_segment_size 0
		.amdhsa_uses_dynamic_stack 0
		.amdhsa_system_sgpr_private_segment_wavefront_offset 0
		.amdhsa_system_sgpr_workgroup_id_x 1
		.amdhsa_system_sgpr_workgroup_id_y 0
		.amdhsa_system_sgpr_workgroup_id_z 1
		.amdhsa_system_sgpr_workgroup_info 0
		.amdhsa_system_vgpr_workitem_id 1
		.amdhsa_next_free_vgpr 58
		.amdhsa_next_free_sgpr 26
		.amdhsa_accum_offset 60
		.amdhsa_reserve_vcc 1
		.amdhsa_reserve_flat_scratch 0
		.amdhsa_float_round_mode_32 0
		.amdhsa_float_round_mode_16_64 0
		.amdhsa_float_denorm_mode_32 3
		.amdhsa_float_denorm_mode_16_64 3
		.amdhsa_dx10_clamp 1
		.amdhsa_ieee_mode 1
		.amdhsa_fp16_overflow 0
		.amdhsa_tg_split 0
		.amdhsa_exception_fp_ieee_invalid_op 0
		.amdhsa_exception_fp_denorm_src 0
		.amdhsa_exception_fp_ieee_div_zero 0
		.amdhsa_exception_fp_ieee_overflow 0
		.amdhsa_exception_fp_ieee_underflow 0
		.amdhsa_exception_fp_ieee_inexact 0
		.amdhsa_exception_int_div_zero 0
	.end_amdhsa_kernel
	.section	.text._ZL23rocblas_trmm_lNx_kernelILi16E19rocblas_complex_numIfEPKS1_S2_S1_Ev13rocblas_fill_17rocblas_diagonal_iiT1_lPT2_llS8_llPT3_lli,"axG",@progbits,_ZL23rocblas_trmm_lNx_kernelILi16E19rocblas_complex_numIfEPKS1_S2_S1_Ev13rocblas_fill_17rocblas_diagonal_iiT1_lPT2_llS8_llPT3_lli,comdat
.Lfunc_end96:
	.size	_ZL23rocblas_trmm_lNx_kernelILi16E19rocblas_complex_numIfEPKS1_S2_S1_Ev13rocblas_fill_17rocblas_diagonal_iiT1_lPT2_llS8_llPT3_lli, .Lfunc_end96-_ZL23rocblas_trmm_lNx_kernelILi16E19rocblas_complex_numIfEPKS1_S2_S1_Ev13rocblas_fill_17rocblas_diagonal_iiT1_lPT2_llS8_llPT3_lli
                                        ; -- End function
	.section	.AMDGPU.csdata,"",@progbits
; Kernel info:
; codeLenInByte = 1408
; NumSgprs: 30
; NumVgprs: 58
; NumAgprs: 0
; TotalNumVgprs: 58
; ScratchSize: 0
; MemoryBound: 0
; FloatMode: 240
; IeeeMode: 1
; LDSByteSize: 4096 bytes/workgroup (compile time only)
; SGPRBlocks: 3
; VGPRBlocks: 7
; NumSGPRsForWavesPerEU: 30
; NumVGPRsForWavesPerEU: 58
; AccumOffset: 60
; Occupancy: 8
; WaveLimiterHint : 0
; COMPUTE_PGM_RSRC2:SCRATCH_EN: 0
; COMPUTE_PGM_RSRC2:USER_SGPR: 6
; COMPUTE_PGM_RSRC2:TRAP_HANDLER: 0
; COMPUTE_PGM_RSRC2:TGID_X_EN: 1
; COMPUTE_PGM_RSRC2:TGID_Y_EN: 0
; COMPUTE_PGM_RSRC2:TGID_Z_EN: 1
; COMPUTE_PGM_RSRC2:TIDIG_COMP_CNT: 1
; COMPUTE_PGM_RSRC3_GFX90A:ACCUM_OFFSET: 14
; COMPUTE_PGM_RSRC3_GFX90A:TG_SPLIT: 0
	.section	.text._ZL23rocblas_trmm_lNx_kernelILi16E19rocblas_complex_numIfES1_KS1_S1_Ev13rocblas_fill_17rocblas_diagonal_iiT1_lPT2_llS7_llPT3_lli,"axG",@progbits,_ZL23rocblas_trmm_lNx_kernelILi16E19rocblas_complex_numIfES1_KS1_S1_Ev13rocblas_fill_17rocblas_diagonal_iiT1_lPT2_llS7_llPT3_lli,comdat
	.globl	_ZL23rocblas_trmm_lNx_kernelILi16E19rocblas_complex_numIfES1_KS1_S1_Ev13rocblas_fill_17rocblas_diagonal_iiT1_lPT2_llS7_llPT3_lli ; -- Begin function _ZL23rocblas_trmm_lNx_kernelILi16E19rocblas_complex_numIfES1_KS1_S1_Ev13rocblas_fill_17rocblas_diagonal_iiT1_lPT2_llS7_llPT3_lli
	.p2align	8
	.type	_ZL23rocblas_trmm_lNx_kernelILi16E19rocblas_complex_numIfES1_KS1_S1_Ev13rocblas_fill_17rocblas_diagonal_iiT1_lPT2_llS7_llPT3_lli,@function
_ZL23rocblas_trmm_lNx_kernelILi16E19rocblas_complex_numIfES1_KS1_S1_Ev13rocblas_fill_17rocblas_diagonal_iiT1_lPT2_llS7_llPT3_lli: ; @_ZL23rocblas_trmm_lNx_kernelILi16E19rocblas_complex_numIfES1_KS1_S1_Ev13rocblas_fill_17rocblas_diagonal_iiT1_lPT2_llS7_llPT3_lli
; %bb.0:
	s_load_dwordx2 s[2:3], s[4:5], 0x10
	s_waitcnt lgkmcnt(0)
	v_cmp_neq_f32_e64 s[0:1], s2, 0
	v_cmp_neq_f32_e64 s[8:9], s3, 0
	s_or_b64 s[0:1], s[0:1], s[8:9]
	s_andn2_b64 vcc, exec, s[0:1]
	s_mov_b32 s0, 0
	s_cbranch_vccnz .LBB97_15
; %bb.1:
	s_load_dwordx4 s[24:27], s[4:5], 0x0
	s_load_dwordx16 s[8:23], s[4:5], 0x20
	v_and_b32_e32 v4, 0x3ff, v0
	v_bfe_u32 v0, v0, 10, 10
	s_mov_b32 s1, s0
	v_lshlrev_b32_e32 v2, 4, v0
	v_pk_mov_b32 v[6:7], s[0:1], s[0:1] op_sel:[0,1]
	s_waitcnt lgkmcnt(0)
	v_cmp_gt_i32_e64 s[0:1], s26, v0
	v_cmp_gt_i32_e32 vcc, s26, v4
	v_add_lshl_u32 v3, v2, v4, 3
	s_and_b64 s[0:1], s[0:1], vcc
	v_lshlrev_b32_e32 v1, 3, v4
	ds_write2st64_b64 v3, v[6:7], v[6:7] offset1:4
	s_and_saveexec_b64 s[28:29], s[0:1]
	s_cbranch_execz .LBB97_3
; %bb.2:
	s_mul_i32 s0, s7, s13
	s_mul_hi_u32 s1, s7, s12
	s_add_i32 s1, s1, s0
	s_mul_i32 s0, s7, s12
	s_lshl_b64 s[0:1], s[0:1], 3
	s_add_u32 s8, s8, s0
	s_addc_u32 s9, s9, s1
	v_mad_u64_u32 v[6:7], s[0:1], v0, s10, 0
	v_mov_b32_e32 v8, v7
	v_mad_u64_u32 v[8:9], s[0:1], v0, s11, v[8:9]
	v_mov_b32_e32 v7, v8
	v_lshlrev_b64 v[6:7], 3, v[6:7]
	v_mov_b32_e32 v5, s9
	v_add_co_u32_e64 v6, s[0:1], s8, v6
	v_addc_co_u32_e64 v5, s[0:1], v5, v7, s[0:1]
	v_add_co_u32_e64 v6, s[0:1], v6, v1
	v_addc_co_u32_e64 v7, s[0:1], 0, v5, s[0:1]
	global_load_dwordx2 v[6:7], v[6:7], off
	s_waitcnt vmcnt(0)
	ds_write_b64 v3, v[6:7]
.LBB97_3:
	s_or_b64 exec, exec, s[28:29]
	s_add_i32 s0, s27, -1
	s_ashr_i32 s1, s0, 31
	s_lshr_b32 s1, s1, 28
	s_add_i32 s0, s0, s1
	s_ashr_i32 s1, s0, 4
	s_and_b32 s0, s0, -16
	s_sub_i32 s0, s27, s0
	s_cmp_ge_i32 s6, s1
	s_cselect_b32 s0, s0, 16
	s_lshl_b32 s6, s6, 4
	v_cmp_gt_i32_e64 s[0:1], s0, v0
	s_ashr_i32 s12, s6, 31
	s_and_b64 s[0:1], vcc, s[0:1]
	s_and_saveexec_b64 s[8:9], s[0:1]
	s_cbranch_execz .LBB97_5
; %bb.4:
	s_mul_i32 s10, s7, s19
	s_mul_hi_u32 s11, s7, s18
	s_add_i32 s11, s11, s10
	s_mul_i32 s10, s7, s18
	s_lshl_b64 s[10:11], s[10:11], 3
	s_add_u32 s13, s14, s10
	s_addc_u32 s14, s15, s11
	s_mul_i32 s10, s6, s17
	s_mul_hi_u32 s11, s6, s16
	s_add_i32 s10, s11, s10
	s_mul_i32 s11, s12, s16
	s_add_i32 s11, s10, s11
	s_mul_i32 s10, s6, s16
	s_lshl_b64 s[10:11], s[10:11], 3
	s_add_u32 s13, s13, s10
	s_addc_u32 s14, s14, s11
	v_mad_u64_u32 v[6:7], s[10:11], v0, s16, 0
	v_mov_b32_e32 v8, v7
	v_mad_u64_u32 v[8:9], s[10:11], v0, s17, v[8:9]
	v_mov_b32_e32 v7, v8
	v_lshlrev_b64 v[6:7], 3, v[6:7]
	v_mov_b32_e32 v5, s14
	v_add_co_u32_e32 v6, vcc, s13, v6
	v_addc_co_u32_e32 v5, vcc, v5, v7, vcc
	v_add_co_u32_e32 v6, vcc, v6, v1
	v_addc_co_u32_e32 v7, vcc, 0, v5, vcc
	global_load_dwordx2 v[6:7], v[6:7], off
	v_add_u32_e32 v5, 0x800, v3
	s_waitcnt vmcnt(0)
	ds_write_b64 v5, v[6:7]
.LBB97_5:
	s_or_b64 exec, exec, s[8:9]
	s_cmpk_eq_i32 s25, 0x84
	s_cselect_b64 s[8:9], -1, 0
	v_cmp_eq_u32_e32 vcc, v0, v4
	s_and_b64 s[10:11], vcc, s[8:9]
	s_and_saveexec_b64 s[8:9], s[10:11]
	s_cbranch_execz .LBB97_7
; %bb.6:
	v_mov_b32_e32 v6, 1.0
	v_mov_b32_e32 v7, 0
	ds_write_b64 v3, v[6:7]
.LBB97_7:
	s_or_b64 exec, exec, s[8:9]
	s_cmpk_lg_i32 s24, 0x79
	s_cbranch_scc0 .LBB97_9
; %bb.8:
	v_cmp_lt_u32_e32 vcc, v4, v0
	s_and_b64 s[8:9], vcc, exec
	s_cbranch_execz .LBB97_10
	s_branch .LBB97_11
.LBB97_9:
	s_mov_b64 s[8:9], 0
.LBB97_10:
	v_cmp_gt_u32_e32 vcc, v4, v0
	s_andn2_b64 s[8:9], s[8:9], exec
	s_and_b64 s[10:11], vcc, exec
	s_or_b64 s[8:9], s[8:9], s[10:11]
.LBB97_11:
	s_and_saveexec_b64 s[10:11], s[8:9]
	s_cbranch_execz .LBB97_13
; %bb.12:
	v_mov_b32_e32 v4, 0
	v_mov_b32_e32 v5, v4
	ds_write_b64 v3, v[4:5]
.LBB97_13:
	s_or_b64 exec, exec, s[10:11]
	s_waitcnt lgkmcnt(0)
	s_barrier
	s_and_saveexec_b64 s[8:9], s[0:1]
	s_cbranch_execz .LBB97_15
; %bb.14:
	v_lshlrev_b32_e32 v54, 3, v2
	ds_read2_b64 v[2:5], v1 offset1:16
	ds_read_b128 v[6:9], v54 offset:2048
	ds_read_b128 v[10:13], v54 offset:2064
	;; [unrolled: 1-line block ×4, first 2 shown]
	ds_read2_b64 v[22:25], v1 offset0:32 offset1:48
	s_load_dwordx2 s[0:1], s[4:5], 0x60
	s_mul_i32 s4, s6, s23
	s_waitcnt lgkmcnt(0)
	v_mul_f32_e32 v26, v6, v3
	v_fmac_f32_e32 v26, v7, v2
	v_mul_f32_e32 v27, v8, v5
	v_add_f32_e32 v26, 0, v26
	v_fmac_f32_e32 v27, v9, v4
	v_add_f32_e32 v30, v26, v27
	v_mul_f32_e32 v31, v10, v23
	ds_read2_b64 v[26:29], v1 offset0:64 offset1:80
	v_fmac_f32_e32 v31, v11, v22
	v_add_f32_e32 v30, v30, v31
	v_mul_f32_e32 v31, v12, v25
	v_fmac_f32_e32 v31, v13, v24
	v_add_f32_e32 v34, v30, v31
	ds_read2_b64 v[30:33], v1 offset0:96 offset1:112
	s_waitcnt lgkmcnt(1)
	v_mul_f32_e32 v35, v14, v27
	v_fmac_f32_e32 v35, v15, v26
	v_add_f32_e32 v34, v34, v35
	v_mul_f32_e32 v35, v16, v29
	v_fmac_f32_e32 v35, v17, v28
	v_add_f32_e32 v34, v34, v35
	s_waitcnt lgkmcnt(0)
	v_mul_f32_e32 v35, v18, v31
	v_fmac_f32_e32 v35, v19, v30
	v_add_f32_e32 v42, v34, v35
	ds_read2_b64 v[34:37], v1 offset0:128 offset1:144
	ds_read_b128 v[38:41], v54 offset:2112
	v_mul_f32_e32 v43, v20, v33
	v_fmac_f32_e32 v43, v21, v32
	v_add_f32_e32 v50, v42, v43
	ds_read_b128 v[42:45], v54 offset:2128
	ds_read2_b64 v[46:49], v1 offset0:160 offset1:176
	s_waitcnt lgkmcnt(2)
	v_mul_f32_e32 v51, v38, v35
	v_fmac_f32_e32 v51, v39, v34
	v_add_f32_e32 v50, v50, v51
	v_mul_f32_e32 v51, v40, v37
	v_mul_f32_e32 v3, v7, v3
	v_fmac_f32_e32 v51, v41, v36
	v_fma_f32 v56, v6, v2, -v3
	v_mul_f32_e32 v2, v9, v5
	v_add_f32_e32 v50, v50, v51
	v_fma_f32 v57, v8, v4, -v2
	ds_read_b128 v[2:5], v54 offset:2144
	s_waitcnt lgkmcnt(1)
	v_mul_f32_e32 v51, v42, v47
	v_fmac_f32_e32 v51, v43, v46
	v_add_f32_e32 v55, v50, v51
	ds_read2_b64 v[50:53], v1 offset0:192 offset1:208
	v_mul_f32_e32 v6, v44, v49
	v_mul_f32_e32 v11, v11, v23
	v_fmac_f32_e32 v6, v45, v48
	v_fma_f32 v22, v10, v22, -v11
	v_mul_f32_e32 v10, v13, v25
	v_add_f32_e32 v55, v55, v6
	ds_read_b128 v[6:9], v54 offset:2160
	v_fma_f32 v23, v12, v24, -v10
	ds_read2_b64 v[10:13], v1 offset0:224 offset1:240
	s_waitcnt lgkmcnt(2)
	v_mul_f32_e32 v54, v2, v51
	v_fmac_f32_e32 v54, v3, v50
	v_mul_f32_e32 v25, v4, v53
	v_add_f32_e32 v24, v55, v54
	v_fmac_f32_e32 v25, v5, v52
	v_add_f32_e32 v24, v24, v25
	s_waitcnt lgkmcnt(0)
	v_mul_f32_e32 v25, v6, v11
	v_fmac_f32_e32 v25, v7, v10
	v_add_f32_e32 v24, v24, v25
	v_mul_f32_e32 v25, v8, v13
	v_fmac_f32_e32 v25, v9, v12
	v_add_f32_e32 v24, v24, v25
	v_add_f32_e32 v25, 0, v56
	;; [unrolled: 1-line block ×4, first 2 shown]
	v_mul_f32_e32 v15, v15, v27
	v_add_f32_e32 v22, v22, v23
	v_fma_f32 v14, v14, v26, -v15
	v_mul_f32_e32 v15, v17, v29
	v_add_f32_e32 v14, v22, v14
	v_fma_f32 v15, v16, v28, -v15
	v_add_f32_e32 v14, v14, v15
	v_mul_f32_e32 v15, v19, v31
	v_fma_f32 v15, v18, v30, -v15
	v_add_f32_e32 v14, v14, v15
	v_mul_f32_e32 v15, v21, v33
	;; [unrolled: 3-line block ×6, first 2 shown]
	v_fma_f32 v15, v44, v48, -v15
	v_mul_f32_e32 v3, v3, v51
	v_add_f32_e32 v14, v14, v15
	v_fma_f32 v2, v2, v50, -v3
	v_mul_f32_e32 v3, v5, v53
	v_add_f32_e32 v2, v14, v2
	v_fma_f32 v3, v4, v52, -v3
	v_add_f32_e32 v2, v2, v3
	v_mul_f32_e32 v3, v7, v11
	s_mul_i32 s1, s7, s1
	s_mul_hi_u32 s8, s7, s0
	v_fma_f32 v3, v6, v10, -v3
	s_mul_i32 s0, s7, s0
	s_add_i32 s1, s8, s1
	v_add_f32_e32 v2, v2, v3
	v_mul_f32_e32 v3, v9, v13
	s_lshl_b64 s[0:1], s[0:1], 3
	v_fma_f32 v3, v8, v12, -v3
	s_mul_hi_u32 s5, s6, s22
	s_add_u32 s7, s20, s0
	v_add_f32_e32 v2, v2, v3
	v_mul_f32_e32 v3, s2, v24
	v_mul_f32_e32 v4, s3, v24
	s_addc_u32 s8, s21, s1
	s_add_i32 s0, s5, s4
	s_mul_i32 s12, s12, s22
	v_fmac_f32_e32 v3, s3, v2
	v_fma_f32 v2, s2, v2, -v4
	v_mad_u64_u32 v[4:5], s[2:3], v0, s22, 0
	s_add_i32 s1, s0, s12
	s_mul_i32 s0, s6, s22
	v_mov_b32_e32 v6, v5
	s_lshl_b64 s[0:1], s[0:1], 3
	v_mad_u64_u32 v[6:7], s[2:3], v0, s23, v[6:7]
	s_add_u32 s0, s7, s0
	v_mov_b32_e32 v5, v6
	s_addc_u32 s1, s8, s1
	v_lshlrev_b64 v[4:5], 3, v[4:5]
	v_mov_b32_e32 v0, s1
	v_add_co_u32_e32 v4, vcc, s0, v4
	v_addc_co_u32_e32 v5, vcc, v0, v5, vcc
	v_add_co_u32_e32 v0, vcc, v4, v1
	v_addc_co_u32_e32 v1, vcc, 0, v5, vcc
	global_store_dwordx2 v[0:1], v[2:3], off
.LBB97_15:
	s_endpgm
	.section	.rodata,"a",@progbits
	.p2align	6, 0x0
	.amdhsa_kernel _ZL23rocblas_trmm_lNx_kernelILi16E19rocblas_complex_numIfES1_KS1_S1_Ev13rocblas_fill_17rocblas_diagonal_iiT1_lPT2_llS7_llPT3_lli
		.amdhsa_group_segment_fixed_size 4096
		.amdhsa_private_segment_fixed_size 0
		.amdhsa_kernarg_size 108
		.amdhsa_user_sgpr_count 6
		.amdhsa_user_sgpr_private_segment_buffer 1
		.amdhsa_user_sgpr_dispatch_ptr 0
		.amdhsa_user_sgpr_queue_ptr 0
		.amdhsa_user_sgpr_kernarg_segment_ptr 1
		.amdhsa_user_sgpr_dispatch_id 0
		.amdhsa_user_sgpr_flat_scratch_init 0
		.amdhsa_user_sgpr_kernarg_preload_length 0
		.amdhsa_user_sgpr_kernarg_preload_offset 0
		.amdhsa_user_sgpr_private_segment_size 0
		.amdhsa_uses_dynamic_stack 0
		.amdhsa_system_sgpr_private_segment_wavefront_offset 0
		.amdhsa_system_sgpr_workgroup_id_x 1
		.amdhsa_system_sgpr_workgroup_id_y 0
		.amdhsa_system_sgpr_workgroup_id_z 1
		.amdhsa_system_sgpr_workgroup_info 0
		.amdhsa_system_vgpr_workitem_id 1
		.amdhsa_next_free_vgpr 58
		.amdhsa_next_free_sgpr 30
		.amdhsa_accum_offset 60
		.amdhsa_reserve_vcc 1
		.amdhsa_reserve_flat_scratch 0
		.amdhsa_float_round_mode_32 0
		.amdhsa_float_round_mode_16_64 0
		.amdhsa_float_denorm_mode_32 3
		.amdhsa_float_denorm_mode_16_64 3
		.amdhsa_dx10_clamp 1
		.amdhsa_ieee_mode 1
		.amdhsa_fp16_overflow 0
		.amdhsa_tg_split 0
		.amdhsa_exception_fp_ieee_invalid_op 0
		.amdhsa_exception_fp_denorm_src 0
		.amdhsa_exception_fp_ieee_div_zero 0
		.amdhsa_exception_fp_ieee_overflow 0
		.amdhsa_exception_fp_ieee_underflow 0
		.amdhsa_exception_fp_ieee_inexact 0
		.amdhsa_exception_int_div_zero 0
	.end_amdhsa_kernel
	.section	.text._ZL23rocblas_trmm_lNx_kernelILi16E19rocblas_complex_numIfES1_KS1_S1_Ev13rocblas_fill_17rocblas_diagonal_iiT1_lPT2_llS7_llPT3_lli,"axG",@progbits,_ZL23rocblas_trmm_lNx_kernelILi16E19rocblas_complex_numIfES1_KS1_S1_Ev13rocblas_fill_17rocblas_diagonal_iiT1_lPT2_llS7_llPT3_lli,comdat
.Lfunc_end97:
	.size	_ZL23rocblas_trmm_lNx_kernelILi16E19rocblas_complex_numIfES1_KS1_S1_Ev13rocblas_fill_17rocblas_diagonal_iiT1_lPT2_llS7_llPT3_lli, .Lfunc_end97-_ZL23rocblas_trmm_lNx_kernelILi16E19rocblas_complex_numIfES1_KS1_S1_Ev13rocblas_fill_17rocblas_diagonal_iiT1_lPT2_llS7_llPT3_lli
                                        ; -- End function
	.section	.AMDGPU.csdata,"",@progbits
; Kernel info:
; codeLenInByte = 1368
; NumSgprs: 34
; NumVgprs: 58
; NumAgprs: 0
; TotalNumVgprs: 58
; ScratchSize: 0
; MemoryBound: 0
; FloatMode: 240
; IeeeMode: 1
; LDSByteSize: 4096 bytes/workgroup (compile time only)
; SGPRBlocks: 4
; VGPRBlocks: 7
; NumSGPRsForWavesPerEU: 34
; NumVGPRsForWavesPerEU: 58
; AccumOffset: 60
; Occupancy: 8
; WaveLimiterHint : 0
; COMPUTE_PGM_RSRC2:SCRATCH_EN: 0
; COMPUTE_PGM_RSRC2:USER_SGPR: 6
; COMPUTE_PGM_RSRC2:TRAP_HANDLER: 0
; COMPUTE_PGM_RSRC2:TGID_X_EN: 1
; COMPUTE_PGM_RSRC2:TGID_Y_EN: 0
; COMPUTE_PGM_RSRC2:TGID_Z_EN: 1
; COMPUTE_PGM_RSRC2:TIDIG_COMP_CNT: 1
; COMPUTE_PGM_RSRC3_GFX90A:ACCUM_OFFSET: 14
; COMPUTE_PGM_RSRC3_GFX90A:TG_SPLIT: 0
	.section	.text._ZL23rocblas_trmm_lTx_kernelILi16ELb0E19rocblas_complex_numIfEPKS1_S2_S1_Ev13rocblas_fill_17rocblas_diagonal_iiT2_lPT3_llS8_llPT4_lli,"axG",@progbits,_ZL23rocblas_trmm_lTx_kernelILi16ELb0E19rocblas_complex_numIfEPKS1_S2_S1_Ev13rocblas_fill_17rocblas_diagonal_iiT2_lPT3_llS8_llPT4_lli,comdat
	.globl	_ZL23rocblas_trmm_lTx_kernelILi16ELb0E19rocblas_complex_numIfEPKS1_S2_S1_Ev13rocblas_fill_17rocblas_diagonal_iiT2_lPT3_llS8_llPT4_lli ; -- Begin function _ZL23rocblas_trmm_lTx_kernelILi16ELb0E19rocblas_complex_numIfEPKS1_S2_S1_Ev13rocblas_fill_17rocblas_diagonal_iiT2_lPT3_llS8_llPT4_lli
	.p2align	8
	.type	_ZL23rocblas_trmm_lTx_kernelILi16ELb0E19rocblas_complex_numIfEPKS1_S2_S1_Ev13rocblas_fill_17rocblas_diagonal_iiT2_lPT3_llS8_llPT4_lli,@function
_ZL23rocblas_trmm_lTx_kernelILi16ELb0E19rocblas_complex_numIfEPKS1_S2_S1_Ev13rocblas_fill_17rocblas_diagonal_iiT2_lPT3_llS8_llPT4_lli: ; @_ZL23rocblas_trmm_lTx_kernelILi16ELb0E19rocblas_complex_numIfEPKS1_S2_S1_Ev13rocblas_fill_17rocblas_diagonal_iiT2_lPT3_llS8_llPT4_lli
; %bb.0:
	s_load_dwordx16 s[8:23], s[4:5], 0x10
	s_waitcnt lgkmcnt(0)
	s_mul_i32 s0, s7, s11
	s_mul_hi_u32 s1, s7, s10
	s_add_i32 s1, s1, s0
	s_mul_i32 s0, s7, s10
	s_lshl_b64 s[0:1], s[0:1], 3
	s_add_u32 s0, s8, s0
	s_addc_u32 s1, s9, s1
	s_load_dwordx2 s[24:25], s[0:1], 0x0
	s_waitcnt lgkmcnt(0)
	v_cmp_neq_f32_e64 s[0:1], s24, 0
	v_cmp_neq_f32_e64 s[2:3], s25, 0
	s_or_b64 s[0:1], s[0:1], s[2:3]
	s_andn2_b64 vcc, exec, s[0:1]
	s_mov_b32 s0, 0
	s_cbranch_vccnz .LBB98_15
; %bb.1:
	s_load_dwordx4 s[8:11], s[4:5], 0x0
	v_and_b32_e32 v4, 0x3ff, v0
	v_bfe_u32 v0, v0, 10, 10
	s_mov_b32 s1, s0
	v_lshlrev_b32_e32 v2, 4, v0
	v_pk_mov_b32 v[6:7], s[0:1], s[0:1] op_sel:[0,1]
	s_waitcnt lgkmcnt(0)
	v_cmp_gt_i32_e64 s[0:1], s10, v0
	v_cmp_gt_i32_e32 vcc, s10, v4
	v_add_lshl_u32 v3, v2, v4, 3
	s_and_b64 s[0:1], s[0:1], vcc
	v_lshlrev_b32_e32 v1, 3, v4
	ds_write2st64_b64 v3, v[6:7], v[6:7] offset1:4
	s_waitcnt lgkmcnt(0)
	s_barrier
	s_and_saveexec_b64 s[2:3], s[0:1]
	s_cbranch_execz .LBB98_3
; %bb.2:
	s_mul_i32 s0, s7, s17
	s_mul_hi_u32 s1, s7, s16
	s_add_i32 s1, s1, s0
	s_mul_i32 s0, s7, s16
	s_lshl_b64 s[0:1], s[0:1], 3
	s_add_u32 s10, s12, s0
	s_addc_u32 s12, s13, s1
	v_mad_u64_u32 v[6:7], s[0:1], v0, s14, 0
	v_mov_b32_e32 v8, v7
	v_mad_u64_u32 v[8:9], s[0:1], v0, s15, v[8:9]
	v_mov_b32_e32 v7, v8
	v_lshlrev_b64 v[6:7], 3, v[6:7]
	v_mov_b32_e32 v5, s12
	v_add_co_u32_e64 v6, s[0:1], s10, v6
	v_addc_co_u32_e64 v5, s[0:1], v5, v7, s[0:1]
	v_add_co_u32_e64 v6, s[0:1], v6, v1
	v_addc_co_u32_e64 v7, s[0:1], 0, v5, s[0:1]
	global_load_dwordx2 v[6:7], v[6:7], off
	v_lshlrev_b32_e32 v5, 4, v4
	v_add_lshl_u32 v5, v5, v0, 3
	s_waitcnt vmcnt(0)
	ds_write_b64 v5, v[6:7]
.LBB98_3:
	s_or_b64 exec, exec, s[2:3]
	s_add_i32 s0, s11, -1
	s_ashr_i32 s1, s0, 31
	s_lshr_b32 s1, s1, 28
	s_add_i32 s0, s0, s1
	s_ashr_i32 s1, s0, 4
	s_and_b32 s0, s0, -16
	s_sub_i32 s0, s11, s0
	s_cmp_ge_i32 s6, s1
	s_cselect_b32 s0, s0, 16
	s_lshl_b32 s6, s6, 4
	v_cmp_gt_i32_e64 s[0:1], s0, v0
	s_ashr_i32 s10, s6, 31
	s_and_b64 s[0:1], vcc, s[0:1]
	s_and_saveexec_b64 s[2:3], s[0:1]
	s_cbranch_execz .LBB98_5
; %bb.4:
	s_mul_i32 s11, s7, s23
	s_mul_hi_u32 s12, s7, s22
	s_add_i32 s13, s12, s11
	s_mul_i32 s12, s7, s22
	s_lshl_b64 s[12:13], s[12:13], 3
	s_add_u32 s11, s18, s12
	s_addc_u32 s14, s19, s13
	s_mul_i32 s12, s6, s21
	s_mul_hi_u32 s13, s6, s20
	s_add_i32 s12, s13, s12
	s_mul_i32 s13, s10, s20
	s_add_i32 s13, s12, s13
	s_mul_i32 s12, s6, s20
	s_lshl_b64 s[12:13], s[12:13], 3
	s_add_u32 s11, s11, s12
	s_addc_u32 s14, s14, s13
	v_mad_u64_u32 v[6:7], s[12:13], v0, s20, 0
	v_mov_b32_e32 v8, v7
	v_mad_u64_u32 v[8:9], s[12:13], v0, s21, v[8:9]
	v_mov_b32_e32 v7, v8
	v_lshlrev_b64 v[6:7], 3, v[6:7]
	v_mov_b32_e32 v5, s14
	v_add_co_u32_e32 v6, vcc, s11, v6
	v_addc_co_u32_e32 v5, vcc, v5, v7, vcc
	v_add_co_u32_e32 v6, vcc, v6, v1
	v_addc_co_u32_e32 v7, vcc, 0, v5, vcc
	global_load_dwordx2 v[6:7], v[6:7], off
	v_add_u32_e32 v5, 0x800, v3
	s_waitcnt vmcnt(0)
	ds_write_b64 v5, v[6:7]
.LBB98_5:
	s_or_b64 exec, exec, s[2:3]
	s_cmpk_eq_i32 s9, 0x84
	s_cselect_b64 s[2:3], -1, 0
	v_cmp_eq_u32_e32 vcc, v0, v4
	s_and_b64 s[12:13], vcc, s[2:3]
	s_and_saveexec_b64 s[2:3], s[12:13]
	s_cbranch_execz .LBB98_7
; %bb.6:
	v_mov_b32_e32 v6, 1.0
	v_mov_b32_e32 v7, 0
	ds_write_b64 v3, v[6:7]
.LBB98_7:
	s_or_b64 exec, exec, s[2:3]
	s_cmpk_lg_i32 s8, 0x7a
	s_waitcnt lgkmcnt(0)
	s_barrier
	s_cbranch_scc0 .LBB98_9
; %bb.8:
	v_cmp_lt_u32_e32 vcc, v4, v0
	s_and_b64 s[2:3], vcc, exec
	s_cbranch_execz .LBB98_10
	s_branch .LBB98_11
.LBB98_9:
	s_mov_b64 s[2:3], 0
.LBB98_10:
	v_cmp_gt_u32_e32 vcc, v4, v0
	s_andn2_b64 s[2:3], s[2:3], exec
	s_and_b64 s[8:9], vcc, exec
	s_or_b64 s[2:3], s[2:3], s[8:9]
.LBB98_11:
	s_and_saveexec_b64 s[8:9], s[2:3]
	s_cbranch_execz .LBB98_13
; %bb.12:
	v_mov_b32_e32 v4, 0
	v_mov_b32_e32 v5, v4
	ds_write_b64 v3, v[4:5]
.LBB98_13:
	s_or_b64 exec, exec, s[8:9]
	s_waitcnt lgkmcnt(0)
	s_barrier
	s_and_saveexec_b64 s[2:3], s[0:1]
	s_cbranch_execz .LBB98_15
; %bb.14:
	s_load_dwordx2 s[8:9], s[4:5], 0x60
	s_load_dwordx4 s[0:3], s[4:5], 0x50
	v_lshlrev_b32_e32 v54, 3, v2
	ds_read2_b64 v[2:5], v1 offset1:16
	ds_read_b128 v[6:9], v54 offset:2048
	ds_read_b128 v[10:13], v54 offset:2064
	;; [unrolled: 1-line block ×4, first 2 shown]
	ds_read2_b64 v[22:25], v1 offset0:32 offset1:48
	s_waitcnt lgkmcnt(0)
	s_mul_i32 s5, s7, s9
	s_mul_hi_u32 s9, s7, s8
	v_mul_f32_e32 v26, v6, v3
	v_fmac_f32_e32 v26, v7, v2
	v_mul_f32_e32 v27, v8, v5
	v_add_f32_e32 v26, 0, v26
	v_fmac_f32_e32 v27, v9, v4
	v_add_f32_e32 v30, v26, v27
	v_mul_f32_e32 v31, v10, v23
	ds_read2_b64 v[26:29], v1 offset0:64 offset1:80
	v_fmac_f32_e32 v31, v11, v22
	v_add_f32_e32 v30, v30, v31
	v_mul_f32_e32 v31, v12, v25
	v_fmac_f32_e32 v31, v13, v24
	v_add_f32_e32 v34, v30, v31
	ds_read2_b64 v[30:33], v1 offset0:96 offset1:112
	s_waitcnt lgkmcnt(1)
	v_mul_f32_e32 v35, v14, v27
	v_fmac_f32_e32 v35, v15, v26
	v_add_f32_e32 v34, v34, v35
	v_mul_f32_e32 v35, v16, v29
	v_fmac_f32_e32 v35, v17, v28
	v_add_f32_e32 v34, v34, v35
	s_waitcnt lgkmcnt(0)
	v_mul_f32_e32 v35, v18, v31
	v_fmac_f32_e32 v35, v19, v30
	v_add_f32_e32 v42, v34, v35
	ds_read2_b64 v[34:37], v1 offset0:128 offset1:144
	ds_read_b128 v[38:41], v54 offset:2112
	v_mul_f32_e32 v43, v20, v33
	v_fmac_f32_e32 v43, v21, v32
	v_add_f32_e32 v50, v42, v43
	ds_read_b128 v[42:45], v54 offset:2128
	ds_read2_b64 v[46:49], v1 offset0:160 offset1:176
	s_waitcnt lgkmcnt(2)
	v_mul_f32_e32 v51, v38, v35
	v_fmac_f32_e32 v51, v39, v34
	v_add_f32_e32 v50, v50, v51
	v_mul_f32_e32 v51, v40, v37
	v_mul_f32_e32 v3, v7, v3
	v_fmac_f32_e32 v51, v41, v36
	v_fma_f32 v56, v6, v2, -v3
	v_mul_f32_e32 v2, v9, v5
	v_add_f32_e32 v50, v50, v51
	v_fma_f32 v57, v8, v4, -v2
	ds_read_b128 v[2:5], v54 offset:2144
	s_waitcnt lgkmcnt(1)
	v_mul_f32_e32 v51, v42, v47
	v_fmac_f32_e32 v51, v43, v46
	v_add_f32_e32 v55, v50, v51
	ds_read2_b64 v[50:53], v1 offset0:192 offset1:208
	v_mul_f32_e32 v6, v44, v49
	v_mul_f32_e32 v11, v11, v23
	v_fmac_f32_e32 v6, v45, v48
	v_fma_f32 v22, v10, v22, -v11
	v_mul_f32_e32 v10, v13, v25
	v_add_f32_e32 v55, v55, v6
	ds_read_b128 v[6:9], v54 offset:2160
	v_fma_f32 v23, v12, v24, -v10
	ds_read2_b64 v[10:13], v1 offset0:224 offset1:240
	s_waitcnt lgkmcnt(2)
	v_mul_f32_e32 v54, v2, v51
	v_fmac_f32_e32 v54, v3, v50
	v_mul_f32_e32 v25, v4, v53
	v_add_f32_e32 v24, v55, v54
	v_fmac_f32_e32 v25, v5, v52
	v_add_f32_e32 v24, v24, v25
	s_waitcnt lgkmcnt(0)
	v_mul_f32_e32 v25, v6, v11
	v_fmac_f32_e32 v25, v7, v10
	v_add_f32_e32 v24, v24, v25
	v_mul_f32_e32 v25, v8, v13
	v_fmac_f32_e32 v25, v9, v12
	v_add_f32_e32 v24, v24, v25
	v_add_f32_e32 v25, 0, v56
	;; [unrolled: 1-line block ×4, first 2 shown]
	v_mul_f32_e32 v15, v15, v27
	v_add_f32_e32 v22, v22, v23
	v_fma_f32 v14, v14, v26, -v15
	v_mul_f32_e32 v15, v17, v29
	v_add_f32_e32 v14, v22, v14
	v_fma_f32 v15, v16, v28, -v15
	v_add_f32_e32 v14, v14, v15
	v_mul_f32_e32 v15, v19, v31
	v_fma_f32 v15, v18, v30, -v15
	v_add_f32_e32 v14, v14, v15
	v_mul_f32_e32 v15, v21, v33
	;; [unrolled: 3-line block ×6, first 2 shown]
	v_fma_f32 v15, v44, v48, -v15
	v_mul_f32_e32 v3, v3, v51
	s_mul_i32 s4, s7, s8
	s_add_i32 s5, s9, s5
	v_add_f32_e32 v14, v14, v15
	v_fma_f32 v2, v2, v50, -v3
	v_mul_f32_e32 v3, v5, v53
	s_lshl_b64 s[4:5], s[4:5], 3
	v_add_f32_e32 v2, v14, v2
	v_fma_f32 v3, v4, v52, -v3
	s_mul_i32 s7, s6, s3
	s_add_u32 s4, s0, s4
	s_mul_hi_u32 s0, s6, s2
	v_add_f32_e32 v2, v2, v3
	v_mul_f32_e32 v3, v7, v11
	s_addc_u32 s5, s1, s5
	s_add_i32 s0, s0, s7
	s_mul_i32 s10, s10, s2
	v_fma_f32 v3, v6, v10, -v3
	s_add_i32 s1, s0, s10
	s_mul_i32 s0, s6, s2
	v_add_f32_e32 v2, v2, v3
	v_mul_f32_e32 v3, v9, v13
	s_lshl_b64 s[0:1], s[0:1], 3
	v_fma_f32 v3, v8, v12, -v3
	s_add_u32 s0, s4, s0
	v_add_f32_e32 v2, v2, v3
	v_mul_f32_e32 v3, s24, v24
	v_mul_f32_e32 v4, s25, v24
	s_addc_u32 s1, s5, s1
	v_fmac_f32_e32 v3, s25, v2
	v_fma_f32 v2, s24, v2, -v4
	v_mad_u64_u32 v[4:5], s[4:5], v0, s2, 0
	v_mov_b32_e32 v6, v5
	v_mad_u64_u32 v[6:7], s[2:3], v0, s3, v[6:7]
	v_mov_b32_e32 v5, v6
	v_lshlrev_b64 v[4:5], 3, v[4:5]
	v_mov_b32_e32 v0, s1
	v_add_co_u32_e32 v4, vcc, s0, v4
	v_addc_co_u32_e32 v5, vcc, v0, v5, vcc
	v_add_co_u32_e32 v0, vcc, v4, v1
	v_addc_co_u32_e32 v1, vcc, 0, v5, vcc
	global_store_dwordx2 v[0:1], v[2:3], off
.LBB98_15:
	s_endpgm
	.section	.rodata,"a",@progbits
	.p2align	6, 0x0
	.amdhsa_kernel _ZL23rocblas_trmm_lTx_kernelILi16ELb0E19rocblas_complex_numIfEPKS1_S2_S1_Ev13rocblas_fill_17rocblas_diagonal_iiT2_lPT3_llS8_llPT4_lli
		.amdhsa_group_segment_fixed_size 4096
		.amdhsa_private_segment_fixed_size 0
		.amdhsa_kernarg_size 108
		.amdhsa_user_sgpr_count 6
		.amdhsa_user_sgpr_private_segment_buffer 1
		.amdhsa_user_sgpr_dispatch_ptr 0
		.amdhsa_user_sgpr_queue_ptr 0
		.amdhsa_user_sgpr_kernarg_segment_ptr 1
		.amdhsa_user_sgpr_dispatch_id 0
		.amdhsa_user_sgpr_flat_scratch_init 0
		.amdhsa_user_sgpr_kernarg_preload_length 0
		.amdhsa_user_sgpr_kernarg_preload_offset 0
		.amdhsa_user_sgpr_private_segment_size 0
		.amdhsa_uses_dynamic_stack 0
		.amdhsa_system_sgpr_private_segment_wavefront_offset 0
		.amdhsa_system_sgpr_workgroup_id_x 1
		.amdhsa_system_sgpr_workgroup_id_y 0
		.amdhsa_system_sgpr_workgroup_id_z 1
		.amdhsa_system_sgpr_workgroup_info 0
		.amdhsa_system_vgpr_workitem_id 1
		.amdhsa_next_free_vgpr 58
		.amdhsa_next_free_sgpr 26
		.amdhsa_accum_offset 60
		.amdhsa_reserve_vcc 1
		.amdhsa_reserve_flat_scratch 0
		.amdhsa_float_round_mode_32 0
		.amdhsa_float_round_mode_16_64 0
		.amdhsa_float_denorm_mode_32 3
		.amdhsa_float_denorm_mode_16_64 3
		.amdhsa_dx10_clamp 1
		.amdhsa_ieee_mode 1
		.amdhsa_fp16_overflow 0
		.amdhsa_tg_split 0
		.amdhsa_exception_fp_ieee_invalid_op 0
		.amdhsa_exception_fp_denorm_src 0
		.amdhsa_exception_fp_ieee_div_zero 0
		.amdhsa_exception_fp_ieee_overflow 0
		.amdhsa_exception_fp_ieee_underflow 0
		.amdhsa_exception_fp_ieee_inexact 0
		.amdhsa_exception_int_div_zero 0
	.end_amdhsa_kernel
	.section	.text._ZL23rocblas_trmm_lTx_kernelILi16ELb0E19rocblas_complex_numIfEPKS1_S2_S1_Ev13rocblas_fill_17rocblas_diagonal_iiT2_lPT3_llS8_llPT4_lli,"axG",@progbits,_ZL23rocblas_trmm_lTx_kernelILi16ELb0E19rocblas_complex_numIfEPKS1_S2_S1_Ev13rocblas_fill_17rocblas_diagonal_iiT2_lPT3_llS8_llPT4_lli,comdat
.Lfunc_end98:
	.size	_ZL23rocblas_trmm_lTx_kernelILi16ELb0E19rocblas_complex_numIfEPKS1_S2_S1_Ev13rocblas_fill_17rocblas_diagonal_iiT2_lPT3_llS8_llPT4_lli, .Lfunc_end98-_ZL23rocblas_trmm_lTx_kernelILi16ELb0E19rocblas_complex_numIfEPKS1_S2_S1_Ev13rocblas_fill_17rocblas_diagonal_iiT2_lPT3_llS8_llPT4_lli
                                        ; -- End function
	.section	.AMDGPU.csdata,"",@progbits
; Kernel info:
; codeLenInByte = 1436
; NumSgprs: 30
; NumVgprs: 58
; NumAgprs: 0
; TotalNumVgprs: 58
; ScratchSize: 0
; MemoryBound: 0
; FloatMode: 240
; IeeeMode: 1
; LDSByteSize: 4096 bytes/workgroup (compile time only)
; SGPRBlocks: 3
; VGPRBlocks: 7
; NumSGPRsForWavesPerEU: 30
; NumVGPRsForWavesPerEU: 58
; AccumOffset: 60
; Occupancy: 8
; WaveLimiterHint : 0
; COMPUTE_PGM_RSRC2:SCRATCH_EN: 0
; COMPUTE_PGM_RSRC2:USER_SGPR: 6
; COMPUTE_PGM_RSRC2:TRAP_HANDLER: 0
; COMPUTE_PGM_RSRC2:TGID_X_EN: 1
; COMPUTE_PGM_RSRC2:TGID_Y_EN: 0
; COMPUTE_PGM_RSRC2:TGID_Z_EN: 1
; COMPUTE_PGM_RSRC2:TIDIG_COMP_CNT: 1
; COMPUTE_PGM_RSRC3_GFX90A:ACCUM_OFFSET: 14
; COMPUTE_PGM_RSRC3_GFX90A:TG_SPLIT: 0
	.section	.text._ZL23rocblas_trmm_lTx_kernelILi16ELb0E19rocblas_complex_numIfES1_KS1_S1_Ev13rocblas_fill_17rocblas_diagonal_iiT2_lPT3_llS7_llPT4_lli,"axG",@progbits,_ZL23rocblas_trmm_lTx_kernelILi16ELb0E19rocblas_complex_numIfES1_KS1_S1_Ev13rocblas_fill_17rocblas_diagonal_iiT2_lPT3_llS7_llPT4_lli,comdat
	.globl	_ZL23rocblas_trmm_lTx_kernelILi16ELb0E19rocblas_complex_numIfES1_KS1_S1_Ev13rocblas_fill_17rocblas_diagonal_iiT2_lPT3_llS7_llPT4_lli ; -- Begin function _ZL23rocblas_trmm_lTx_kernelILi16ELb0E19rocblas_complex_numIfES1_KS1_S1_Ev13rocblas_fill_17rocblas_diagonal_iiT2_lPT3_llS7_llPT4_lli
	.p2align	8
	.type	_ZL23rocblas_trmm_lTx_kernelILi16ELb0E19rocblas_complex_numIfES1_KS1_S1_Ev13rocblas_fill_17rocblas_diagonal_iiT2_lPT3_llS7_llPT4_lli,@function
_ZL23rocblas_trmm_lTx_kernelILi16ELb0E19rocblas_complex_numIfES1_KS1_S1_Ev13rocblas_fill_17rocblas_diagonal_iiT2_lPT3_llS7_llPT4_lli: ; @_ZL23rocblas_trmm_lTx_kernelILi16ELb0E19rocblas_complex_numIfES1_KS1_S1_Ev13rocblas_fill_17rocblas_diagonal_iiT2_lPT3_llS7_llPT4_lli
; %bb.0:
	s_load_dwordx2 s[2:3], s[4:5], 0x10
	s_waitcnt lgkmcnt(0)
	v_cmp_neq_f32_e64 s[0:1], s2, 0
	v_cmp_neq_f32_e64 s[8:9], s3, 0
	s_or_b64 s[0:1], s[0:1], s[8:9]
	s_andn2_b64 vcc, exec, s[0:1]
	s_mov_b32 s0, 0
	s_cbranch_vccnz .LBB99_15
; %bb.1:
	s_load_dwordx4 s[24:27], s[4:5], 0x0
	s_load_dwordx16 s[8:23], s[4:5], 0x20
	v_and_b32_e32 v4, 0x3ff, v0
	v_bfe_u32 v0, v0, 10, 10
	s_mov_b32 s1, s0
	v_lshlrev_b32_e32 v2, 4, v0
	v_pk_mov_b32 v[6:7], s[0:1], s[0:1] op_sel:[0,1]
	s_waitcnt lgkmcnt(0)
	v_cmp_gt_i32_e64 s[0:1], s26, v0
	v_cmp_gt_i32_e32 vcc, s26, v4
	v_add_lshl_u32 v3, v2, v4, 3
	s_and_b64 s[0:1], s[0:1], vcc
	v_lshlrev_b32_e32 v1, 3, v4
	ds_write2st64_b64 v3, v[6:7], v[6:7] offset1:4
	s_waitcnt lgkmcnt(0)
	s_barrier
	s_and_saveexec_b64 s[28:29], s[0:1]
	s_cbranch_execz .LBB99_3
; %bb.2:
	s_mul_i32 s0, s7, s13
	s_mul_hi_u32 s1, s7, s12
	s_add_i32 s1, s1, s0
	s_mul_i32 s0, s7, s12
	s_lshl_b64 s[0:1], s[0:1], 3
	s_add_u32 s8, s8, s0
	s_addc_u32 s9, s9, s1
	v_mad_u64_u32 v[6:7], s[0:1], v0, s10, 0
	v_mov_b32_e32 v8, v7
	v_mad_u64_u32 v[8:9], s[0:1], v0, s11, v[8:9]
	v_mov_b32_e32 v7, v8
	v_lshlrev_b64 v[6:7], 3, v[6:7]
	v_mov_b32_e32 v5, s9
	v_add_co_u32_e64 v6, s[0:1], s8, v6
	v_addc_co_u32_e64 v5, s[0:1], v5, v7, s[0:1]
	v_add_co_u32_e64 v6, s[0:1], v6, v1
	v_addc_co_u32_e64 v7, s[0:1], 0, v5, s[0:1]
	global_load_dwordx2 v[6:7], v[6:7], off
	v_lshlrev_b32_e32 v5, 4, v4
	v_add_lshl_u32 v5, v5, v0, 3
	s_waitcnt vmcnt(0)
	ds_write_b64 v5, v[6:7]
.LBB99_3:
	s_or_b64 exec, exec, s[28:29]
	s_add_i32 s0, s27, -1
	s_ashr_i32 s1, s0, 31
	s_lshr_b32 s1, s1, 28
	s_add_i32 s0, s0, s1
	s_ashr_i32 s1, s0, 4
	s_and_b32 s0, s0, -16
	s_sub_i32 s0, s27, s0
	s_cmp_ge_i32 s6, s1
	s_cselect_b32 s0, s0, 16
	s_lshl_b32 s6, s6, 4
	v_cmp_gt_i32_e64 s[0:1], s0, v0
	s_ashr_i32 s12, s6, 31
	s_and_b64 s[0:1], vcc, s[0:1]
	s_and_saveexec_b64 s[8:9], s[0:1]
	s_cbranch_execz .LBB99_5
; %bb.4:
	s_mul_i32 s10, s7, s19
	s_mul_hi_u32 s11, s7, s18
	s_add_i32 s11, s11, s10
	s_mul_i32 s10, s7, s18
	s_lshl_b64 s[10:11], s[10:11], 3
	s_add_u32 s13, s14, s10
	s_addc_u32 s14, s15, s11
	s_mul_i32 s10, s6, s17
	s_mul_hi_u32 s11, s6, s16
	s_add_i32 s10, s11, s10
	s_mul_i32 s11, s12, s16
	s_add_i32 s11, s10, s11
	s_mul_i32 s10, s6, s16
	s_lshl_b64 s[10:11], s[10:11], 3
	s_add_u32 s13, s13, s10
	s_addc_u32 s14, s14, s11
	v_mad_u64_u32 v[6:7], s[10:11], v0, s16, 0
	v_mov_b32_e32 v8, v7
	v_mad_u64_u32 v[8:9], s[10:11], v0, s17, v[8:9]
	v_mov_b32_e32 v7, v8
	v_lshlrev_b64 v[6:7], 3, v[6:7]
	v_mov_b32_e32 v5, s14
	v_add_co_u32_e32 v6, vcc, s13, v6
	v_addc_co_u32_e32 v5, vcc, v5, v7, vcc
	v_add_co_u32_e32 v6, vcc, v6, v1
	v_addc_co_u32_e32 v7, vcc, 0, v5, vcc
	global_load_dwordx2 v[6:7], v[6:7], off
	v_add_u32_e32 v5, 0x800, v3
	s_waitcnt vmcnt(0)
	ds_write_b64 v5, v[6:7]
.LBB99_5:
	s_or_b64 exec, exec, s[8:9]
	s_cmpk_eq_i32 s25, 0x84
	s_cselect_b64 s[8:9], -1, 0
	v_cmp_eq_u32_e32 vcc, v0, v4
	s_and_b64 s[10:11], vcc, s[8:9]
	s_and_saveexec_b64 s[8:9], s[10:11]
	s_cbranch_execz .LBB99_7
; %bb.6:
	v_mov_b32_e32 v6, 1.0
	v_mov_b32_e32 v7, 0
	ds_write_b64 v3, v[6:7]
.LBB99_7:
	s_or_b64 exec, exec, s[8:9]
	s_cmpk_lg_i32 s24, 0x7a
	s_waitcnt lgkmcnt(0)
	s_barrier
	s_cbranch_scc0 .LBB99_9
; %bb.8:
	v_cmp_lt_u32_e32 vcc, v4, v0
	s_and_b64 s[8:9], vcc, exec
	s_cbranch_execz .LBB99_10
	s_branch .LBB99_11
.LBB99_9:
	s_mov_b64 s[8:9], 0
.LBB99_10:
	v_cmp_gt_u32_e32 vcc, v4, v0
	s_andn2_b64 s[8:9], s[8:9], exec
	s_and_b64 s[10:11], vcc, exec
	s_or_b64 s[8:9], s[8:9], s[10:11]
.LBB99_11:
	s_and_saveexec_b64 s[10:11], s[8:9]
	s_cbranch_execz .LBB99_13
; %bb.12:
	v_mov_b32_e32 v4, 0
	v_mov_b32_e32 v5, v4
	ds_write_b64 v3, v[4:5]
.LBB99_13:
	s_or_b64 exec, exec, s[10:11]
	s_waitcnt lgkmcnt(0)
	s_barrier
	s_and_saveexec_b64 s[8:9], s[0:1]
	s_cbranch_execz .LBB99_15
; %bb.14:
	v_lshlrev_b32_e32 v54, 3, v2
	ds_read2_b64 v[2:5], v1 offset1:16
	ds_read_b128 v[6:9], v54 offset:2048
	ds_read_b128 v[10:13], v54 offset:2064
	;; [unrolled: 1-line block ×4, first 2 shown]
	ds_read2_b64 v[22:25], v1 offset0:32 offset1:48
	s_load_dwordx2 s[0:1], s[4:5], 0x60
	s_mul_i32 s4, s6, s23
	s_waitcnt lgkmcnt(0)
	v_mul_f32_e32 v26, v6, v3
	v_fmac_f32_e32 v26, v7, v2
	v_mul_f32_e32 v27, v8, v5
	v_add_f32_e32 v26, 0, v26
	v_fmac_f32_e32 v27, v9, v4
	v_add_f32_e32 v30, v26, v27
	v_mul_f32_e32 v31, v10, v23
	ds_read2_b64 v[26:29], v1 offset0:64 offset1:80
	v_fmac_f32_e32 v31, v11, v22
	v_add_f32_e32 v30, v30, v31
	v_mul_f32_e32 v31, v12, v25
	v_fmac_f32_e32 v31, v13, v24
	v_add_f32_e32 v34, v30, v31
	ds_read2_b64 v[30:33], v1 offset0:96 offset1:112
	s_waitcnt lgkmcnt(1)
	v_mul_f32_e32 v35, v14, v27
	v_fmac_f32_e32 v35, v15, v26
	v_add_f32_e32 v34, v34, v35
	v_mul_f32_e32 v35, v16, v29
	v_fmac_f32_e32 v35, v17, v28
	v_add_f32_e32 v34, v34, v35
	s_waitcnt lgkmcnt(0)
	v_mul_f32_e32 v35, v18, v31
	v_fmac_f32_e32 v35, v19, v30
	v_add_f32_e32 v42, v34, v35
	ds_read2_b64 v[34:37], v1 offset0:128 offset1:144
	ds_read_b128 v[38:41], v54 offset:2112
	v_mul_f32_e32 v43, v20, v33
	v_fmac_f32_e32 v43, v21, v32
	v_add_f32_e32 v50, v42, v43
	ds_read_b128 v[42:45], v54 offset:2128
	ds_read2_b64 v[46:49], v1 offset0:160 offset1:176
	s_waitcnt lgkmcnt(2)
	v_mul_f32_e32 v51, v38, v35
	v_fmac_f32_e32 v51, v39, v34
	v_add_f32_e32 v50, v50, v51
	v_mul_f32_e32 v51, v40, v37
	v_mul_f32_e32 v3, v7, v3
	v_fmac_f32_e32 v51, v41, v36
	v_fma_f32 v56, v6, v2, -v3
	v_mul_f32_e32 v2, v9, v5
	v_add_f32_e32 v50, v50, v51
	v_fma_f32 v57, v8, v4, -v2
	ds_read_b128 v[2:5], v54 offset:2144
	s_waitcnt lgkmcnt(1)
	v_mul_f32_e32 v51, v42, v47
	v_fmac_f32_e32 v51, v43, v46
	v_add_f32_e32 v55, v50, v51
	ds_read2_b64 v[50:53], v1 offset0:192 offset1:208
	v_mul_f32_e32 v6, v44, v49
	v_mul_f32_e32 v11, v11, v23
	v_fmac_f32_e32 v6, v45, v48
	v_fma_f32 v22, v10, v22, -v11
	v_mul_f32_e32 v10, v13, v25
	v_add_f32_e32 v55, v55, v6
	ds_read_b128 v[6:9], v54 offset:2160
	v_fma_f32 v23, v12, v24, -v10
	ds_read2_b64 v[10:13], v1 offset0:224 offset1:240
	s_waitcnt lgkmcnt(2)
	v_mul_f32_e32 v54, v2, v51
	v_fmac_f32_e32 v54, v3, v50
	v_mul_f32_e32 v25, v4, v53
	v_add_f32_e32 v24, v55, v54
	v_fmac_f32_e32 v25, v5, v52
	v_add_f32_e32 v24, v24, v25
	s_waitcnt lgkmcnt(0)
	v_mul_f32_e32 v25, v6, v11
	v_fmac_f32_e32 v25, v7, v10
	v_add_f32_e32 v24, v24, v25
	v_mul_f32_e32 v25, v8, v13
	v_fmac_f32_e32 v25, v9, v12
	v_add_f32_e32 v24, v24, v25
	v_add_f32_e32 v25, 0, v56
	;; [unrolled: 1-line block ×4, first 2 shown]
	v_mul_f32_e32 v15, v15, v27
	v_add_f32_e32 v22, v22, v23
	v_fma_f32 v14, v14, v26, -v15
	v_mul_f32_e32 v15, v17, v29
	v_add_f32_e32 v14, v22, v14
	v_fma_f32 v15, v16, v28, -v15
	v_add_f32_e32 v14, v14, v15
	v_mul_f32_e32 v15, v19, v31
	v_fma_f32 v15, v18, v30, -v15
	v_add_f32_e32 v14, v14, v15
	v_mul_f32_e32 v15, v21, v33
	v_fma_f32 v15, v20, v32, -v15
	v_add_f32_e32 v14, v14, v15
	v_mul_f32_e32 v15, v39, v35
	v_fma_f32 v15, v38, v34, -v15
	v_add_f32_e32 v14, v14, v15
	v_mul_f32_e32 v15, v41, v37
	v_fma_f32 v15, v40, v36, -v15
	v_add_f32_e32 v14, v14, v15
	v_mul_f32_e32 v15, v43, v47
	v_fma_f32 v15, v42, v46, -v15
	v_add_f32_e32 v14, v14, v15
	v_mul_f32_e32 v15, v45, v49
	v_fma_f32 v15, v44, v48, -v15
	v_mul_f32_e32 v3, v3, v51
	v_add_f32_e32 v14, v14, v15
	v_fma_f32 v2, v2, v50, -v3
	v_mul_f32_e32 v3, v5, v53
	v_add_f32_e32 v2, v14, v2
	v_fma_f32 v3, v4, v52, -v3
	v_add_f32_e32 v2, v2, v3
	v_mul_f32_e32 v3, v7, v11
	s_mul_i32 s1, s7, s1
	s_mul_hi_u32 s8, s7, s0
	v_fma_f32 v3, v6, v10, -v3
	s_mul_i32 s0, s7, s0
	s_add_i32 s1, s8, s1
	v_add_f32_e32 v2, v2, v3
	v_mul_f32_e32 v3, v9, v13
	s_lshl_b64 s[0:1], s[0:1], 3
	v_fma_f32 v3, v8, v12, -v3
	s_mul_hi_u32 s5, s6, s22
	s_add_u32 s7, s20, s0
	v_add_f32_e32 v2, v2, v3
	v_mul_f32_e32 v3, s2, v24
	v_mul_f32_e32 v4, s3, v24
	s_addc_u32 s8, s21, s1
	s_add_i32 s0, s5, s4
	s_mul_i32 s12, s12, s22
	v_fmac_f32_e32 v3, s3, v2
	v_fma_f32 v2, s2, v2, -v4
	v_mad_u64_u32 v[4:5], s[2:3], v0, s22, 0
	s_add_i32 s1, s0, s12
	s_mul_i32 s0, s6, s22
	v_mov_b32_e32 v6, v5
	s_lshl_b64 s[0:1], s[0:1], 3
	v_mad_u64_u32 v[6:7], s[2:3], v0, s23, v[6:7]
	s_add_u32 s0, s7, s0
	v_mov_b32_e32 v5, v6
	s_addc_u32 s1, s8, s1
	v_lshlrev_b64 v[4:5], 3, v[4:5]
	v_mov_b32_e32 v0, s1
	v_add_co_u32_e32 v4, vcc, s0, v4
	v_addc_co_u32_e32 v5, vcc, v0, v5, vcc
	v_add_co_u32_e32 v0, vcc, v4, v1
	v_addc_co_u32_e32 v1, vcc, 0, v5, vcc
	global_store_dwordx2 v[0:1], v[2:3], off
.LBB99_15:
	s_endpgm
	.section	.rodata,"a",@progbits
	.p2align	6, 0x0
	.amdhsa_kernel _ZL23rocblas_trmm_lTx_kernelILi16ELb0E19rocblas_complex_numIfES1_KS1_S1_Ev13rocblas_fill_17rocblas_diagonal_iiT2_lPT3_llS7_llPT4_lli
		.amdhsa_group_segment_fixed_size 4096
		.amdhsa_private_segment_fixed_size 0
		.amdhsa_kernarg_size 108
		.amdhsa_user_sgpr_count 6
		.amdhsa_user_sgpr_private_segment_buffer 1
		.amdhsa_user_sgpr_dispatch_ptr 0
		.amdhsa_user_sgpr_queue_ptr 0
		.amdhsa_user_sgpr_kernarg_segment_ptr 1
		.amdhsa_user_sgpr_dispatch_id 0
		.amdhsa_user_sgpr_flat_scratch_init 0
		.amdhsa_user_sgpr_kernarg_preload_length 0
		.amdhsa_user_sgpr_kernarg_preload_offset 0
		.amdhsa_user_sgpr_private_segment_size 0
		.amdhsa_uses_dynamic_stack 0
		.amdhsa_system_sgpr_private_segment_wavefront_offset 0
		.amdhsa_system_sgpr_workgroup_id_x 1
		.amdhsa_system_sgpr_workgroup_id_y 0
		.amdhsa_system_sgpr_workgroup_id_z 1
		.amdhsa_system_sgpr_workgroup_info 0
		.amdhsa_system_vgpr_workitem_id 1
		.amdhsa_next_free_vgpr 58
		.amdhsa_next_free_sgpr 30
		.amdhsa_accum_offset 60
		.amdhsa_reserve_vcc 1
		.amdhsa_reserve_flat_scratch 0
		.amdhsa_float_round_mode_32 0
		.amdhsa_float_round_mode_16_64 0
		.amdhsa_float_denorm_mode_32 3
		.amdhsa_float_denorm_mode_16_64 3
		.amdhsa_dx10_clamp 1
		.amdhsa_ieee_mode 1
		.amdhsa_fp16_overflow 0
		.amdhsa_tg_split 0
		.amdhsa_exception_fp_ieee_invalid_op 0
		.amdhsa_exception_fp_denorm_src 0
		.amdhsa_exception_fp_ieee_div_zero 0
		.amdhsa_exception_fp_ieee_overflow 0
		.amdhsa_exception_fp_ieee_underflow 0
		.amdhsa_exception_fp_ieee_inexact 0
		.amdhsa_exception_int_div_zero 0
	.end_amdhsa_kernel
	.section	.text._ZL23rocblas_trmm_lTx_kernelILi16ELb0E19rocblas_complex_numIfES1_KS1_S1_Ev13rocblas_fill_17rocblas_diagonal_iiT2_lPT3_llS7_llPT4_lli,"axG",@progbits,_ZL23rocblas_trmm_lTx_kernelILi16ELb0E19rocblas_complex_numIfES1_KS1_S1_Ev13rocblas_fill_17rocblas_diagonal_iiT2_lPT3_llS7_llPT4_lli,comdat
.Lfunc_end99:
	.size	_ZL23rocblas_trmm_lTx_kernelILi16ELb0E19rocblas_complex_numIfES1_KS1_S1_Ev13rocblas_fill_17rocblas_diagonal_iiT2_lPT3_llS7_llPT4_lli, .Lfunc_end99-_ZL23rocblas_trmm_lTx_kernelILi16ELb0E19rocblas_complex_numIfES1_KS1_S1_Ev13rocblas_fill_17rocblas_diagonal_iiT2_lPT3_llS7_llPT4_lli
                                        ; -- End function
	.section	.AMDGPU.csdata,"",@progbits
; Kernel info:
; codeLenInByte = 1396
; NumSgprs: 34
; NumVgprs: 58
; NumAgprs: 0
; TotalNumVgprs: 58
; ScratchSize: 0
; MemoryBound: 0
; FloatMode: 240
; IeeeMode: 1
; LDSByteSize: 4096 bytes/workgroup (compile time only)
; SGPRBlocks: 4
; VGPRBlocks: 7
; NumSGPRsForWavesPerEU: 34
; NumVGPRsForWavesPerEU: 58
; AccumOffset: 60
; Occupancy: 8
; WaveLimiterHint : 0
; COMPUTE_PGM_RSRC2:SCRATCH_EN: 0
; COMPUTE_PGM_RSRC2:USER_SGPR: 6
; COMPUTE_PGM_RSRC2:TRAP_HANDLER: 0
; COMPUTE_PGM_RSRC2:TGID_X_EN: 1
; COMPUTE_PGM_RSRC2:TGID_Y_EN: 0
; COMPUTE_PGM_RSRC2:TGID_Z_EN: 1
; COMPUTE_PGM_RSRC2:TIDIG_COMP_CNT: 1
; COMPUTE_PGM_RSRC3_GFX90A:ACCUM_OFFSET: 14
; COMPUTE_PGM_RSRC3_GFX90A:TG_SPLIT: 0
	.section	.text._ZL23rocblas_trmm_lTx_kernelILi16ELb1E19rocblas_complex_numIfEPKS1_S2_S1_Ev13rocblas_fill_17rocblas_diagonal_iiT2_lPT3_llS8_llPT4_lli,"axG",@progbits,_ZL23rocblas_trmm_lTx_kernelILi16ELb1E19rocblas_complex_numIfEPKS1_S2_S1_Ev13rocblas_fill_17rocblas_diagonal_iiT2_lPT3_llS8_llPT4_lli,comdat
	.globl	_ZL23rocblas_trmm_lTx_kernelILi16ELb1E19rocblas_complex_numIfEPKS1_S2_S1_Ev13rocblas_fill_17rocblas_diagonal_iiT2_lPT3_llS8_llPT4_lli ; -- Begin function _ZL23rocblas_trmm_lTx_kernelILi16ELb1E19rocblas_complex_numIfEPKS1_S2_S1_Ev13rocblas_fill_17rocblas_diagonal_iiT2_lPT3_llS8_llPT4_lli
	.p2align	8
	.type	_ZL23rocblas_trmm_lTx_kernelILi16ELb1E19rocblas_complex_numIfEPKS1_S2_S1_Ev13rocblas_fill_17rocblas_diagonal_iiT2_lPT3_llS8_llPT4_lli,@function
_ZL23rocblas_trmm_lTx_kernelILi16ELb1E19rocblas_complex_numIfEPKS1_S2_S1_Ev13rocblas_fill_17rocblas_diagonal_iiT2_lPT3_llS8_llPT4_lli: ; @_ZL23rocblas_trmm_lTx_kernelILi16ELb1E19rocblas_complex_numIfEPKS1_S2_S1_Ev13rocblas_fill_17rocblas_diagonal_iiT2_lPT3_llS8_llPT4_lli
; %bb.0:
	s_load_dwordx16 s[8:23], s[4:5], 0x10
	s_waitcnt lgkmcnt(0)
	s_mul_i32 s0, s7, s11
	s_mul_hi_u32 s1, s7, s10
	s_add_i32 s1, s1, s0
	s_mul_i32 s0, s7, s10
	s_lshl_b64 s[0:1], s[0:1], 3
	s_add_u32 s0, s8, s0
	s_addc_u32 s1, s9, s1
	s_load_dwordx2 s[24:25], s[0:1], 0x0
	s_waitcnt lgkmcnt(0)
	v_cmp_neq_f32_e64 s[0:1], s24, 0
	v_cmp_neq_f32_e64 s[2:3], s25, 0
	s_or_b64 s[0:1], s[0:1], s[2:3]
	s_andn2_b64 vcc, exec, s[0:1]
	s_mov_b32 s0, 0
	s_cbranch_vccnz .LBB100_15
; %bb.1:
	s_load_dwordx4 s[8:11], s[4:5], 0x0
	v_and_b32_e32 v4, 0x3ff, v0
	v_bfe_u32 v0, v0, 10, 10
	s_mov_b32 s1, s0
	v_lshlrev_b32_e32 v2, 4, v0
	v_pk_mov_b32 v[6:7], s[0:1], s[0:1] op_sel:[0,1]
	s_waitcnt lgkmcnt(0)
	v_cmp_gt_i32_e64 s[0:1], s10, v0
	v_cmp_gt_i32_e32 vcc, s10, v4
	v_add_lshl_u32 v3, v2, v4, 3
	s_and_b64 s[0:1], s[0:1], vcc
	v_lshlrev_b32_e32 v1, 3, v4
	ds_write2st64_b64 v3, v[6:7], v[6:7] offset1:4
	s_waitcnt lgkmcnt(0)
	s_barrier
	s_and_saveexec_b64 s[2:3], s[0:1]
	s_cbranch_execz .LBB100_3
; %bb.2:
	s_mul_i32 s0, s7, s17
	s_mul_hi_u32 s1, s7, s16
	s_add_i32 s1, s1, s0
	s_mul_i32 s0, s7, s16
	s_lshl_b64 s[0:1], s[0:1], 3
	s_add_u32 s10, s12, s0
	s_addc_u32 s12, s13, s1
	v_mad_u64_u32 v[6:7], s[0:1], v0, s14, 0
	v_mov_b32_e32 v8, v7
	v_mad_u64_u32 v[8:9], s[0:1], v0, s15, v[8:9]
	v_mov_b32_e32 v7, v8
	v_lshlrev_b64 v[6:7], 3, v[6:7]
	v_mov_b32_e32 v5, s12
	v_add_co_u32_e64 v6, s[0:1], s10, v6
	v_addc_co_u32_e64 v5, s[0:1], v5, v7, s[0:1]
	v_add_co_u32_e64 v6, s[0:1], v6, v1
	v_addc_co_u32_e64 v7, s[0:1], 0, v5, s[0:1]
	global_load_dwordx2 v[6:7], v[6:7], off
	v_lshlrev_b32_e32 v5, 4, v4
	v_add_lshl_u32 v5, v5, v0, 3
	s_waitcnt vmcnt(0)
	v_xor_b32_e32 v7, 0x80000000, v7
	ds_write_b64 v5, v[6:7]
.LBB100_3:
	s_or_b64 exec, exec, s[2:3]
	s_add_i32 s0, s11, -1
	s_ashr_i32 s1, s0, 31
	s_lshr_b32 s1, s1, 28
	s_add_i32 s0, s0, s1
	s_ashr_i32 s1, s0, 4
	s_and_b32 s0, s0, -16
	s_sub_i32 s0, s11, s0
	s_cmp_ge_i32 s6, s1
	s_cselect_b32 s0, s0, 16
	s_lshl_b32 s6, s6, 4
	v_cmp_gt_i32_e64 s[0:1], s0, v0
	s_ashr_i32 s10, s6, 31
	s_and_b64 s[0:1], vcc, s[0:1]
	s_and_saveexec_b64 s[2:3], s[0:1]
	s_cbranch_execz .LBB100_5
; %bb.4:
	s_mul_i32 s11, s7, s23
	s_mul_hi_u32 s12, s7, s22
	s_add_i32 s13, s12, s11
	s_mul_i32 s12, s7, s22
	s_lshl_b64 s[12:13], s[12:13], 3
	s_add_u32 s11, s18, s12
	s_addc_u32 s14, s19, s13
	s_mul_i32 s12, s6, s21
	s_mul_hi_u32 s13, s6, s20
	s_add_i32 s12, s13, s12
	s_mul_i32 s13, s10, s20
	s_add_i32 s13, s12, s13
	s_mul_i32 s12, s6, s20
	s_lshl_b64 s[12:13], s[12:13], 3
	s_add_u32 s11, s11, s12
	s_addc_u32 s14, s14, s13
	v_mad_u64_u32 v[6:7], s[12:13], v0, s20, 0
	v_mov_b32_e32 v8, v7
	v_mad_u64_u32 v[8:9], s[12:13], v0, s21, v[8:9]
	v_mov_b32_e32 v7, v8
	v_lshlrev_b64 v[6:7], 3, v[6:7]
	v_mov_b32_e32 v5, s14
	v_add_co_u32_e32 v6, vcc, s11, v6
	v_addc_co_u32_e32 v5, vcc, v5, v7, vcc
	v_add_co_u32_e32 v6, vcc, v6, v1
	v_addc_co_u32_e32 v7, vcc, 0, v5, vcc
	global_load_dwordx2 v[6:7], v[6:7], off
	v_add_u32_e32 v5, 0x800, v3
	s_waitcnt vmcnt(0)
	ds_write_b64 v5, v[6:7]
.LBB100_5:
	s_or_b64 exec, exec, s[2:3]
	s_cmpk_eq_i32 s9, 0x84
	s_cselect_b64 s[2:3], -1, 0
	v_cmp_eq_u32_e32 vcc, v0, v4
	s_and_b64 s[12:13], vcc, s[2:3]
	s_and_saveexec_b64 s[2:3], s[12:13]
	s_cbranch_execz .LBB100_7
; %bb.6:
	v_mov_b32_e32 v6, 1.0
	v_mov_b32_e32 v7, 0
	ds_write_b64 v3, v[6:7]
.LBB100_7:
	s_or_b64 exec, exec, s[2:3]
	s_cmpk_lg_i32 s8, 0x7a
	s_waitcnt lgkmcnt(0)
	s_barrier
	s_cbranch_scc0 .LBB100_9
; %bb.8:
	v_cmp_lt_u32_e32 vcc, v4, v0
	s_and_b64 s[2:3], vcc, exec
	s_cbranch_execz .LBB100_10
	s_branch .LBB100_11
.LBB100_9:
	s_mov_b64 s[2:3], 0
.LBB100_10:
	v_cmp_gt_u32_e32 vcc, v4, v0
	s_andn2_b64 s[2:3], s[2:3], exec
	s_and_b64 s[8:9], vcc, exec
	s_or_b64 s[2:3], s[2:3], s[8:9]
.LBB100_11:
	s_and_saveexec_b64 s[8:9], s[2:3]
	s_cbranch_execz .LBB100_13
; %bb.12:
	v_mov_b32_e32 v4, 0
	v_mov_b32_e32 v5, v4
	ds_write_b64 v3, v[4:5]
.LBB100_13:
	s_or_b64 exec, exec, s[8:9]
	s_waitcnt lgkmcnt(0)
	s_barrier
	s_and_saveexec_b64 s[2:3], s[0:1]
	s_cbranch_execz .LBB100_15
; %bb.14:
	s_load_dwordx2 s[8:9], s[4:5], 0x60
	s_load_dwordx4 s[0:3], s[4:5], 0x50
	v_lshlrev_b32_e32 v54, 3, v2
	ds_read2_b64 v[2:5], v1 offset1:16
	ds_read_b128 v[6:9], v54 offset:2048
	ds_read_b128 v[10:13], v54 offset:2064
	;; [unrolled: 1-line block ×4, first 2 shown]
	ds_read2_b64 v[22:25], v1 offset0:32 offset1:48
	s_waitcnt lgkmcnt(0)
	s_mul_i32 s5, s7, s9
	s_mul_hi_u32 s9, s7, s8
	v_mul_f32_e32 v26, v6, v3
	v_fmac_f32_e32 v26, v7, v2
	v_mul_f32_e32 v27, v8, v5
	v_add_f32_e32 v26, 0, v26
	v_fmac_f32_e32 v27, v9, v4
	v_add_f32_e32 v30, v26, v27
	v_mul_f32_e32 v31, v10, v23
	ds_read2_b64 v[26:29], v1 offset0:64 offset1:80
	v_fmac_f32_e32 v31, v11, v22
	v_add_f32_e32 v30, v30, v31
	v_mul_f32_e32 v31, v12, v25
	v_fmac_f32_e32 v31, v13, v24
	v_add_f32_e32 v34, v30, v31
	ds_read2_b64 v[30:33], v1 offset0:96 offset1:112
	s_waitcnt lgkmcnt(1)
	v_mul_f32_e32 v35, v14, v27
	v_fmac_f32_e32 v35, v15, v26
	v_add_f32_e32 v34, v34, v35
	v_mul_f32_e32 v35, v16, v29
	v_fmac_f32_e32 v35, v17, v28
	v_add_f32_e32 v34, v34, v35
	s_waitcnt lgkmcnt(0)
	v_mul_f32_e32 v35, v18, v31
	v_fmac_f32_e32 v35, v19, v30
	v_add_f32_e32 v42, v34, v35
	ds_read2_b64 v[34:37], v1 offset0:128 offset1:144
	ds_read_b128 v[38:41], v54 offset:2112
	v_mul_f32_e32 v43, v20, v33
	v_fmac_f32_e32 v43, v21, v32
	v_add_f32_e32 v50, v42, v43
	ds_read_b128 v[42:45], v54 offset:2128
	ds_read2_b64 v[46:49], v1 offset0:160 offset1:176
	s_waitcnt lgkmcnt(2)
	v_mul_f32_e32 v51, v38, v35
	v_fmac_f32_e32 v51, v39, v34
	v_add_f32_e32 v50, v50, v51
	v_mul_f32_e32 v51, v40, v37
	v_mul_f32_e32 v3, v7, v3
	v_fmac_f32_e32 v51, v41, v36
	v_fma_f32 v56, v6, v2, -v3
	v_mul_f32_e32 v2, v9, v5
	v_add_f32_e32 v50, v50, v51
	v_fma_f32 v57, v8, v4, -v2
	ds_read_b128 v[2:5], v54 offset:2144
	s_waitcnt lgkmcnt(1)
	v_mul_f32_e32 v51, v42, v47
	v_fmac_f32_e32 v51, v43, v46
	v_add_f32_e32 v55, v50, v51
	ds_read2_b64 v[50:53], v1 offset0:192 offset1:208
	v_mul_f32_e32 v6, v44, v49
	v_mul_f32_e32 v11, v11, v23
	v_fmac_f32_e32 v6, v45, v48
	v_fma_f32 v22, v10, v22, -v11
	v_mul_f32_e32 v10, v13, v25
	v_add_f32_e32 v55, v55, v6
	ds_read_b128 v[6:9], v54 offset:2160
	v_fma_f32 v23, v12, v24, -v10
	ds_read2_b64 v[10:13], v1 offset0:224 offset1:240
	s_waitcnt lgkmcnt(2)
	v_mul_f32_e32 v54, v2, v51
	v_fmac_f32_e32 v54, v3, v50
	v_mul_f32_e32 v25, v4, v53
	v_add_f32_e32 v24, v55, v54
	v_fmac_f32_e32 v25, v5, v52
	v_add_f32_e32 v24, v24, v25
	s_waitcnt lgkmcnt(0)
	v_mul_f32_e32 v25, v6, v11
	v_fmac_f32_e32 v25, v7, v10
	v_add_f32_e32 v24, v24, v25
	v_mul_f32_e32 v25, v8, v13
	v_fmac_f32_e32 v25, v9, v12
	v_add_f32_e32 v24, v24, v25
	v_add_f32_e32 v25, 0, v56
	;; [unrolled: 1-line block ×4, first 2 shown]
	v_mul_f32_e32 v15, v15, v27
	v_add_f32_e32 v22, v22, v23
	v_fma_f32 v14, v14, v26, -v15
	v_mul_f32_e32 v15, v17, v29
	v_add_f32_e32 v14, v22, v14
	v_fma_f32 v15, v16, v28, -v15
	v_add_f32_e32 v14, v14, v15
	v_mul_f32_e32 v15, v19, v31
	v_fma_f32 v15, v18, v30, -v15
	v_add_f32_e32 v14, v14, v15
	v_mul_f32_e32 v15, v21, v33
	;; [unrolled: 3-line block ×6, first 2 shown]
	v_fma_f32 v15, v44, v48, -v15
	v_mul_f32_e32 v3, v3, v51
	s_mul_i32 s4, s7, s8
	s_add_i32 s5, s9, s5
	v_add_f32_e32 v14, v14, v15
	v_fma_f32 v2, v2, v50, -v3
	v_mul_f32_e32 v3, v5, v53
	s_lshl_b64 s[4:5], s[4:5], 3
	v_add_f32_e32 v2, v14, v2
	v_fma_f32 v3, v4, v52, -v3
	s_mul_i32 s7, s6, s3
	s_add_u32 s4, s0, s4
	s_mul_hi_u32 s0, s6, s2
	v_add_f32_e32 v2, v2, v3
	v_mul_f32_e32 v3, v7, v11
	s_addc_u32 s5, s1, s5
	s_add_i32 s0, s0, s7
	s_mul_i32 s10, s10, s2
	v_fma_f32 v3, v6, v10, -v3
	s_add_i32 s1, s0, s10
	s_mul_i32 s0, s6, s2
	v_add_f32_e32 v2, v2, v3
	v_mul_f32_e32 v3, v9, v13
	s_lshl_b64 s[0:1], s[0:1], 3
	v_fma_f32 v3, v8, v12, -v3
	s_add_u32 s0, s4, s0
	v_add_f32_e32 v2, v2, v3
	v_mul_f32_e32 v3, s24, v24
	v_mul_f32_e32 v4, s25, v24
	s_addc_u32 s1, s5, s1
	v_fmac_f32_e32 v3, s25, v2
	v_fma_f32 v2, s24, v2, -v4
	v_mad_u64_u32 v[4:5], s[4:5], v0, s2, 0
	v_mov_b32_e32 v6, v5
	v_mad_u64_u32 v[6:7], s[2:3], v0, s3, v[6:7]
	v_mov_b32_e32 v5, v6
	v_lshlrev_b64 v[4:5], 3, v[4:5]
	v_mov_b32_e32 v0, s1
	v_add_co_u32_e32 v4, vcc, s0, v4
	v_addc_co_u32_e32 v5, vcc, v0, v5, vcc
	v_add_co_u32_e32 v0, vcc, v4, v1
	v_addc_co_u32_e32 v1, vcc, 0, v5, vcc
	global_store_dwordx2 v[0:1], v[2:3], off
.LBB100_15:
	s_endpgm
	.section	.rodata,"a",@progbits
	.p2align	6, 0x0
	.amdhsa_kernel _ZL23rocblas_trmm_lTx_kernelILi16ELb1E19rocblas_complex_numIfEPKS1_S2_S1_Ev13rocblas_fill_17rocblas_diagonal_iiT2_lPT3_llS8_llPT4_lli
		.amdhsa_group_segment_fixed_size 4096
		.amdhsa_private_segment_fixed_size 0
		.amdhsa_kernarg_size 108
		.amdhsa_user_sgpr_count 6
		.amdhsa_user_sgpr_private_segment_buffer 1
		.amdhsa_user_sgpr_dispatch_ptr 0
		.amdhsa_user_sgpr_queue_ptr 0
		.amdhsa_user_sgpr_kernarg_segment_ptr 1
		.amdhsa_user_sgpr_dispatch_id 0
		.amdhsa_user_sgpr_flat_scratch_init 0
		.amdhsa_user_sgpr_kernarg_preload_length 0
		.amdhsa_user_sgpr_kernarg_preload_offset 0
		.amdhsa_user_sgpr_private_segment_size 0
		.amdhsa_uses_dynamic_stack 0
		.amdhsa_system_sgpr_private_segment_wavefront_offset 0
		.amdhsa_system_sgpr_workgroup_id_x 1
		.amdhsa_system_sgpr_workgroup_id_y 0
		.amdhsa_system_sgpr_workgroup_id_z 1
		.amdhsa_system_sgpr_workgroup_info 0
		.amdhsa_system_vgpr_workitem_id 1
		.amdhsa_next_free_vgpr 58
		.amdhsa_next_free_sgpr 26
		.amdhsa_accum_offset 60
		.amdhsa_reserve_vcc 1
		.amdhsa_reserve_flat_scratch 0
		.amdhsa_float_round_mode_32 0
		.amdhsa_float_round_mode_16_64 0
		.amdhsa_float_denorm_mode_32 3
		.amdhsa_float_denorm_mode_16_64 3
		.amdhsa_dx10_clamp 1
		.amdhsa_ieee_mode 1
		.amdhsa_fp16_overflow 0
		.amdhsa_tg_split 0
		.amdhsa_exception_fp_ieee_invalid_op 0
		.amdhsa_exception_fp_denorm_src 0
		.amdhsa_exception_fp_ieee_div_zero 0
		.amdhsa_exception_fp_ieee_overflow 0
		.amdhsa_exception_fp_ieee_underflow 0
		.amdhsa_exception_fp_ieee_inexact 0
		.amdhsa_exception_int_div_zero 0
	.end_amdhsa_kernel
	.section	.text._ZL23rocblas_trmm_lTx_kernelILi16ELb1E19rocblas_complex_numIfEPKS1_S2_S1_Ev13rocblas_fill_17rocblas_diagonal_iiT2_lPT3_llS8_llPT4_lli,"axG",@progbits,_ZL23rocblas_trmm_lTx_kernelILi16ELb1E19rocblas_complex_numIfEPKS1_S2_S1_Ev13rocblas_fill_17rocblas_diagonal_iiT2_lPT3_llS8_llPT4_lli,comdat
.Lfunc_end100:
	.size	_ZL23rocblas_trmm_lTx_kernelILi16ELb1E19rocblas_complex_numIfEPKS1_S2_S1_Ev13rocblas_fill_17rocblas_diagonal_iiT2_lPT3_llS8_llPT4_lli, .Lfunc_end100-_ZL23rocblas_trmm_lTx_kernelILi16ELb1E19rocblas_complex_numIfEPKS1_S2_S1_Ev13rocblas_fill_17rocblas_diagonal_iiT2_lPT3_llS8_llPT4_lli
                                        ; -- End function
	.section	.AMDGPU.csdata,"",@progbits
; Kernel info:
; codeLenInByte = 1444
; NumSgprs: 30
; NumVgprs: 58
; NumAgprs: 0
; TotalNumVgprs: 58
; ScratchSize: 0
; MemoryBound: 0
; FloatMode: 240
; IeeeMode: 1
; LDSByteSize: 4096 bytes/workgroup (compile time only)
; SGPRBlocks: 3
; VGPRBlocks: 7
; NumSGPRsForWavesPerEU: 30
; NumVGPRsForWavesPerEU: 58
; AccumOffset: 60
; Occupancy: 8
; WaveLimiterHint : 0
; COMPUTE_PGM_RSRC2:SCRATCH_EN: 0
; COMPUTE_PGM_RSRC2:USER_SGPR: 6
; COMPUTE_PGM_RSRC2:TRAP_HANDLER: 0
; COMPUTE_PGM_RSRC2:TGID_X_EN: 1
; COMPUTE_PGM_RSRC2:TGID_Y_EN: 0
; COMPUTE_PGM_RSRC2:TGID_Z_EN: 1
; COMPUTE_PGM_RSRC2:TIDIG_COMP_CNT: 1
; COMPUTE_PGM_RSRC3_GFX90A:ACCUM_OFFSET: 14
; COMPUTE_PGM_RSRC3_GFX90A:TG_SPLIT: 0
	.section	.text._ZL23rocblas_trmm_lTx_kernelILi16ELb1E19rocblas_complex_numIfES1_KS1_S1_Ev13rocblas_fill_17rocblas_diagonal_iiT2_lPT3_llS7_llPT4_lli,"axG",@progbits,_ZL23rocblas_trmm_lTx_kernelILi16ELb1E19rocblas_complex_numIfES1_KS1_S1_Ev13rocblas_fill_17rocblas_diagonal_iiT2_lPT3_llS7_llPT4_lli,comdat
	.globl	_ZL23rocblas_trmm_lTx_kernelILi16ELb1E19rocblas_complex_numIfES1_KS1_S1_Ev13rocblas_fill_17rocblas_diagonal_iiT2_lPT3_llS7_llPT4_lli ; -- Begin function _ZL23rocblas_trmm_lTx_kernelILi16ELb1E19rocblas_complex_numIfES1_KS1_S1_Ev13rocblas_fill_17rocblas_diagonal_iiT2_lPT3_llS7_llPT4_lli
	.p2align	8
	.type	_ZL23rocblas_trmm_lTx_kernelILi16ELb1E19rocblas_complex_numIfES1_KS1_S1_Ev13rocblas_fill_17rocblas_diagonal_iiT2_lPT3_llS7_llPT4_lli,@function
_ZL23rocblas_trmm_lTx_kernelILi16ELb1E19rocblas_complex_numIfES1_KS1_S1_Ev13rocblas_fill_17rocblas_diagonal_iiT2_lPT3_llS7_llPT4_lli: ; @_ZL23rocblas_trmm_lTx_kernelILi16ELb1E19rocblas_complex_numIfES1_KS1_S1_Ev13rocblas_fill_17rocblas_diagonal_iiT2_lPT3_llS7_llPT4_lli
; %bb.0:
	s_load_dwordx2 s[2:3], s[4:5], 0x10
	s_waitcnt lgkmcnt(0)
	v_cmp_neq_f32_e64 s[0:1], s2, 0
	v_cmp_neq_f32_e64 s[8:9], s3, 0
	s_or_b64 s[0:1], s[0:1], s[8:9]
	s_andn2_b64 vcc, exec, s[0:1]
	s_mov_b32 s0, 0
	s_cbranch_vccnz .LBB101_15
; %bb.1:
	s_load_dwordx4 s[24:27], s[4:5], 0x0
	s_load_dwordx16 s[8:23], s[4:5], 0x20
	v_and_b32_e32 v4, 0x3ff, v0
	v_bfe_u32 v0, v0, 10, 10
	s_mov_b32 s1, s0
	v_lshlrev_b32_e32 v2, 4, v0
	v_pk_mov_b32 v[6:7], s[0:1], s[0:1] op_sel:[0,1]
	s_waitcnt lgkmcnt(0)
	v_cmp_gt_i32_e64 s[0:1], s26, v0
	v_cmp_gt_i32_e32 vcc, s26, v4
	v_add_lshl_u32 v3, v2, v4, 3
	s_and_b64 s[0:1], s[0:1], vcc
	v_lshlrev_b32_e32 v1, 3, v4
	ds_write2st64_b64 v3, v[6:7], v[6:7] offset1:4
	s_waitcnt lgkmcnt(0)
	s_barrier
	s_and_saveexec_b64 s[28:29], s[0:1]
	s_cbranch_execz .LBB101_3
; %bb.2:
	s_mul_i32 s0, s7, s13
	s_mul_hi_u32 s1, s7, s12
	s_add_i32 s1, s1, s0
	s_mul_i32 s0, s7, s12
	s_lshl_b64 s[0:1], s[0:1], 3
	s_add_u32 s8, s8, s0
	s_addc_u32 s9, s9, s1
	v_mad_u64_u32 v[6:7], s[0:1], v0, s10, 0
	v_mov_b32_e32 v8, v7
	v_mad_u64_u32 v[8:9], s[0:1], v0, s11, v[8:9]
	v_mov_b32_e32 v7, v8
	v_lshlrev_b64 v[6:7], 3, v[6:7]
	v_mov_b32_e32 v5, s9
	v_add_co_u32_e64 v6, s[0:1], s8, v6
	v_addc_co_u32_e64 v5, s[0:1], v5, v7, s[0:1]
	v_add_co_u32_e64 v6, s[0:1], v6, v1
	v_addc_co_u32_e64 v7, s[0:1], 0, v5, s[0:1]
	global_load_dwordx2 v[6:7], v[6:7], off
	v_lshlrev_b32_e32 v5, 4, v4
	v_add_lshl_u32 v5, v5, v0, 3
	s_waitcnt vmcnt(0)
	v_xor_b32_e32 v7, 0x80000000, v7
	ds_write_b64 v5, v[6:7]
.LBB101_3:
	s_or_b64 exec, exec, s[28:29]
	s_add_i32 s0, s27, -1
	s_ashr_i32 s1, s0, 31
	s_lshr_b32 s1, s1, 28
	s_add_i32 s0, s0, s1
	s_ashr_i32 s1, s0, 4
	s_and_b32 s0, s0, -16
	s_sub_i32 s0, s27, s0
	s_cmp_ge_i32 s6, s1
	s_cselect_b32 s0, s0, 16
	s_lshl_b32 s6, s6, 4
	v_cmp_gt_i32_e64 s[0:1], s0, v0
	s_ashr_i32 s12, s6, 31
	s_and_b64 s[0:1], vcc, s[0:1]
	s_and_saveexec_b64 s[8:9], s[0:1]
	s_cbranch_execz .LBB101_5
; %bb.4:
	s_mul_i32 s10, s7, s19
	s_mul_hi_u32 s11, s7, s18
	s_add_i32 s11, s11, s10
	s_mul_i32 s10, s7, s18
	s_lshl_b64 s[10:11], s[10:11], 3
	s_add_u32 s13, s14, s10
	s_addc_u32 s14, s15, s11
	s_mul_i32 s10, s6, s17
	s_mul_hi_u32 s11, s6, s16
	s_add_i32 s10, s11, s10
	s_mul_i32 s11, s12, s16
	s_add_i32 s11, s10, s11
	s_mul_i32 s10, s6, s16
	s_lshl_b64 s[10:11], s[10:11], 3
	s_add_u32 s13, s13, s10
	s_addc_u32 s14, s14, s11
	v_mad_u64_u32 v[6:7], s[10:11], v0, s16, 0
	v_mov_b32_e32 v8, v7
	v_mad_u64_u32 v[8:9], s[10:11], v0, s17, v[8:9]
	v_mov_b32_e32 v7, v8
	v_lshlrev_b64 v[6:7], 3, v[6:7]
	v_mov_b32_e32 v5, s14
	v_add_co_u32_e32 v6, vcc, s13, v6
	v_addc_co_u32_e32 v5, vcc, v5, v7, vcc
	v_add_co_u32_e32 v6, vcc, v6, v1
	v_addc_co_u32_e32 v7, vcc, 0, v5, vcc
	global_load_dwordx2 v[6:7], v[6:7], off
	v_add_u32_e32 v5, 0x800, v3
	s_waitcnt vmcnt(0)
	ds_write_b64 v5, v[6:7]
.LBB101_5:
	s_or_b64 exec, exec, s[8:9]
	s_cmpk_eq_i32 s25, 0x84
	s_cselect_b64 s[8:9], -1, 0
	v_cmp_eq_u32_e32 vcc, v0, v4
	s_and_b64 s[10:11], vcc, s[8:9]
	s_and_saveexec_b64 s[8:9], s[10:11]
	s_cbranch_execz .LBB101_7
; %bb.6:
	v_mov_b32_e32 v6, 1.0
	v_mov_b32_e32 v7, 0
	ds_write_b64 v3, v[6:7]
.LBB101_7:
	s_or_b64 exec, exec, s[8:9]
	s_cmpk_lg_i32 s24, 0x7a
	s_waitcnt lgkmcnt(0)
	s_barrier
	s_cbranch_scc0 .LBB101_9
; %bb.8:
	v_cmp_lt_u32_e32 vcc, v4, v0
	s_and_b64 s[8:9], vcc, exec
	s_cbranch_execz .LBB101_10
	s_branch .LBB101_11
.LBB101_9:
	s_mov_b64 s[8:9], 0
.LBB101_10:
	v_cmp_gt_u32_e32 vcc, v4, v0
	s_andn2_b64 s[8:9], s[8:9], exec
	s_and_b64 s[10:11], vcc, exec
	s_or_b64 s[8:9], s[8:9], s[10:11]
.LBB101_11:
	s_and_saveexec_b64 s[10:11], s[8:9]
	s_cbranch_execz .LBB101_13
; %bb.12:
	v_mov_b32_e32 v4, 0
	v_mov_b32_e32 v5, v4
	ds_write_b64 v3, v[4:5]
.LBB101_13:
	s_or_b64 exec, exec, s[10:11]
	s_waitcnt lgkmcnt(0)
	s_barrier
	s_and_saveexec_b64 s[8:9], s[0:1]
	s_cbranch_execz .LBB101_15
; %bb.14:
	v_lshlrev_b32_e32 v54, 3, v2
	ds_read2_b64 v[2:5], v1 offset1:16
	ds_read_b128 v[6:9], v54 offset:2048
	ds_read_b128 v[10:13], v54 offset:2064
	;; [unrolled: 1-line block ×4, first 2 shown]
	ds_read2_b64 v[22:25], v1 offset0:32 offset1:48
	s_load_dwordx2 s[0:1], s[4:5], 0x60
	s_mul_i32 s4, s6, s23
	s_waitcnt lgkmcnt(0)
	v_mul_f32_e32 v26, v6, v3
	v_fmac_f32_e32 v26, v7, v2
	v_mul_f32_e32 v27, v8, v5
	v_add_f32_e32 v26, 0, v26
	v_fmac_f32_e32 v27, v9, v4
	v_add_f32_e32 v30, v26, v27
	v_mul_f32_e32 v31, v10, v23
	ds_read2_b64 v[26:29], v1 offset0:64 offset1:80
	v_fmac_f32_e32 v31, v11, v22
	v_add_f32_e32 v30, v30, v31
	v_mul_f32_e32 v31, v12, v25
	v_fmac_f32_e32 v31, v13, v24
	v_add_f32_e32 v34, v30, v31
	ds_read2_b64 v[30:33], v1 offset0:96 offset1:112
	s_waitcnt lgkmcnt(1)
	v_mul_f32_e32 v35, v14, v27
	v_fmac_f32_e32 v35, v15, v26
	v_add_f32_e32 v34, v34, v35
	v_mul_f32_e32 v35, v16, v29
	v_fmac_f32_e32 v35, v17, v28
	v_add_f32_e32 v34, v34, v35
	s_waitcnt lgkmcnt(0)
	v_mul_f32_e32 v35, v18, v31
	v_fmac_f32_e32 v35, v19, v30
	v_add_f32_e32 v42, v34, v35
	ds_read2_b64 v[34:37], v1 offset0:128 offset1:144
	ds_read_b128 v[38:41], v54 offset:2112
	v_mul_f32_e32 v43, v20, v33
	v_fmac_f32_e32 v43, v21, v32
	v_add_f32_e32 v50, v42, v43
	ds_read_b128 v[42:45], v54 offset:2128
	ds_read2_b64 v[46:49], v1 offset0:160 offset1:176
	s_waitcnt lgkmcnt(2)
	v_mul_f32_e32 v51, v38, v35
	v_fmac_f32_e32 v51, v39, v34
	v_add_f32_e32 v50, v50, v51
	v_mul_f32_e32 v51, v40, v37
	v_mul_f32_e32 v3, v7, v3
	v_fmac_f32_e32 v51, v41, v36
	v_fma_f32 v56, v6, v2, -v3
	v_mul_f32_e32 v2, v9, v5
	v_add_f32_e32 v50, v50, v51
	v_fma_f32 v57, v8, v4, -v2
	ds_read_b128 v[2:5], v54 offset:2144
	s_waitcnt lgkmcnt(1)
	v_mul_f32_e32 v51, v42, v47
	v_fmac_f32_e32 v51, v43, v46
	v_add_f32_e32 v55, v50, v51
	ds_read2_b64 v[50:53], v1 offset0:192 offset1:208
	v_mul_f32_e32 v6, v44, v49
	v_mul_f32_e32 v11, v11, v23
	v_fmac_f32_e32 v6, v45, v48
	v_fma_f32 v22, v10, v22, -v11
	v_mul_f32_e32 v10, v13, v25
	v_add_f32_e32 v55, v55, v6
	ds_read_b128 v[6:9], v54 offset:2160
	v_fma_f32 v23, v12, v24, -v10
	ds_read2_b64 v[10:13], v1 offset0:224 offset1:240
	s_waitcnt lgkmcnt(2)
	v_mul_f32_e32 v54, v2, v51
	v_fmac_f32_e32 v54, v3, v50
	v_mul_f32_e32 v25, v4, v53
	v_add_f32_e32 v24, v55, v54
	v_fmac_f32_e32 v25, v5, v52
	v_add_f32_e32 v24, v24, v25
	s_waitcnt lgkmcnt(0)
	v_mul_f32_e32 v25, v6, v11
	v_fmac_f32_e32 v25, v7, v10
	v_add_f32_e32 v24, v24, v25
	v_mul_f32_e32 v25, v8, v13
	v_fmac_f32_e32 v25, v9, v12
	v_add_f32_e32 v24, v24, v25
	v_add_f32_e32 v25, 0, v56
	;; [unrolled: 1-line block ×4, first 2 shown]
	v_mul_f32_e32 v15, v15, v27
	v_add_f32_e32 v22, v22, v23
	v_fma_f32 v14, v14, v26, -v15
	v_mul_f32_e32 v15, v17, v29
	v_add_f32_e32 v14, v22, v14
	v_fma_f32 v15, v16, v28, -v15
	v_add_f32_e32 v14, v14, v15
	v_mul_f32_e32 v15, v19, v31
	v_fma_f32 v15, v18, v30, -v15
	v_add_f32_e32 v14, v14, v15
	v_mul_f32_e32 v15, v21, v33
	;; [unrolled: 3-line block ×6, first 2 shown]
	v_fma_f32 v15, v44, v48, -v15
	v_mul_f32_e32 v3, v3, v51
	v_add_f32_e32 v14, v14, v15
	v_fma_f32 v2, v2, v50, -v3
	v_mul_f32_e32 v3, v5, v53
	v_add_f32_e32 v2, v14, v2
	v_fma_f32 v3, v4, v52, -v3
	v_add_f32_e32 v2, v2, v3
	v_mul_f32_e32 v3, v7, v11
	s_mul_i32 s1, s7, s1
	s_mul_hi_u32 s8, s7, s0
	v_fma_f32 v3, v6, v10, -v3
	s_mul_i32 s0, s7, s0
	s_add_i32 s1, s8, s1
	v_add_f32_e32 v2, v2, v3
	v_mul_f32_e32 v3, v9, v13
	s_lshl_b64 s[0:1], s[0:1], 3
	v_fma_f32 v3, v8, v12, -v3
	s_mul_hi_u32 s5, s6, s22
	s_add_u32 s7, s20, s0
	v_add_f32_e32 v2, v2, v3
	v_mul_f32_e32 v3, s2, v24
	v_mul_f32_e32 v4, s3, v24
	s_addc_u32 s8, s21, s1
	s_add_i32 s0, s5, s4
	s_mul_i32 s12, s12, s22
	v_fmac_f32_e32 v3, s3, v2
	v_fma_f32 v2, s2, v2, -v4
	v_mad_u64_u32 v[4:5], s[2:3], v0, s22, 0
	s_add_i32 s1, s0, s12
	s_mul_i32 s0, s6, s22
	v_mov_b32_e32 v6, v5
	s_lshl_b64 s[0:1], s[0:1], 3
	v_mad_u64_u32 v[6:7], s[2:3], v0, s23, v[6:7]
	s_add_u32 s0, s7, s0
	v_mov_b32_e32 v5, v6
	s_addc_u32 s1, s8, s1
	v_lshlrev_b64 v[4:5], 3, v[4:5]
	v_mov_b32_e32 v0, s1
	v_add_co_u32_e32 v4, vcc, s0, v4
	v_addc_co_u32_e32 v5, vcc, v0, v5, vcc
	v_add_co_u32_e32 v0, vcc, v4, v1
	v_addc_co_u32_e32 v1, vcc, 0, v5, vcc
	global_store_dwordx2 v[0:1], v[2:3], off
.LBB101_15:
	s_endpgm
	.section	.rodata,"a",@progbits
	.p2align	6, 0x0
	.amdhsa_kernel _ZL23rocblas_trmm_lTx_kernelILi16ELb1E19rocblas_complex_numIfES1_KS1_S1_Ev13rocblas_fill_17rocblas_diagonal_iiT2_lPT3_llS7_llPT4_lli
		.amdhsa_group_segment_fixed_size 4096
		.amdhsa_private_segment_fixed_size 0
		.amdhsa_kernarg_size 108
		.amdhsa_user_sgpr_count 6
		.amdhsa_user_sgpr_private_segment_buffer 1
		.amdhsa_user_sgpr_dispatch_ptr 0
		.amdhsa_user_sgpr_queue_ptr 0
		.amdhsa_user_sgpr_kernarg_segment_ptr 1
		.amdhsa_user_sgpr_dispatch_id 0
		.amdhsa_user_sgpr_flat_scratch_init 0
		.amdhsa_user_sgpr_kernarg_preload_length 0
		.amdhsa_user_sgpr_kernarg_preload_offset 0
		.amdhsa_user_sgpr_private_segment_size 0
		.amdhsa_uses_dynamic_stack 0
		.amdhsa_system_sgpr_private_segment_wavefront_offset 0
		.amdhsa_system_sgpr_workgroup_id_x 1
		.amdhsa_system_sgpr_workgroup_id_y 0
		.amdhsa_system_sgpr_workgroup_id_z 1
		.amdhsa_system_sgpr_workgroup_info 0
		.amdhsa_system_vgpr_workitem_id 1
		.amdhsa_next_free_vgpr 58
		.amdhsa_next_free_sgpr 30
		.amdhsa_accum_offset 60
		.amdhsa_reserve_vcc 1
		.amdhsa_reserve_flat_scratch 0
		.amdhsa_float_round_mode_32 0
		.amdhsa_float_round_mode_16_64 0
		.amdhsa_float_denorm_mode_32 3
		.amdhsa_float_denorm_mode_16_64 3
		.amdhsa_dx10_clamp 1
		.amdhsa_ieee_mode 1
		.amdhsa_fp16_overflow 0
		.amdhsa_tg_split 0
		.amdhsa_exception_fp_ieee_invalid_op 0
		.amdhsa_exception_fp_denorm_src 0
		.amdhsa_exception_fp_ieee_div_zero 0
		.amdhsa_exception_fp_ieee_overflow 0
		.amdhsa_exception_fp_ieee_underflow 0
		.amdhsa_exception_fp_ieee_inexact 0
		.amdhsa_exception_int_div_zero 0
	.end_amdhsa_kernel
	.section	.text._ZL23rocblas_trmm_lTx_kernelILi16ELb1E19rocblas_complex_numIfES1_KS1_S1_Ev13rocblas_fill_17rocblas_diagonal_iiT2_lPT3_llS7_llPT4_lli,"axG",@progbits,_ZL23rocblas_trmm_lTx_kernelILi16ELb1E19rocblas_complex_numIfES1_KS1_S1_Ev13rocblas_fill_17rocblas_diagonal_iiT2_lPT3_llS7_llPT4_lli,comdat
.Lfunc_end101:
	.size	_ZL23rocblas_trmm_lTx_kernelILi16ELb1E19rocblas_complex_numIfES1_KS1_S1_Ev13rocblas_fill_17rocblas_diagonal_iiT2_lPT3_llS7_llPT4_lli, .Lfunc_end101-_ZL23rocblas_trmm_lTx_kernelILi16ELb1E19rocblas_complex_numIfES1_KS1_S1_Ev13rocblas_fill_17rocblas_diagonal_iiT2_lPT3_llS7_llPT4_lli
                                        ; -- End function
	.section	.AMDGPU.csdata,"",@progbits
; Kernel info:
; codeLenInByte = 1404
; NumSgprs: 34
; NumVgprs: 58
; NumAgprs: 0
; TotalNumVgprs: 58
; ScratchSize: 0
; MemoryBound: 0
; FloatMode: 240
; IeeeMode: 1
; LDSByteSize: 4096 bytes/workgroup (compile time only)
; SGPRBlocks: 4
; VGPRBlocks: 7
; NumSGPRsForWavesPerEU: 34
; NumVGPRsForWavesPerEU: 58
; AccumOffset: 60
; Occupancy: 8
; WaveLimiterHint : 0
; COMPUTE_PGM_RSRC2:SCRATCH_EN: 0
; COMPUTE_PGM_RSRC2:USER_SGPR: 6
; COMPUTE_PGM_RSRC2:TRAP_HANDLER: 0
; COMPUTE_PGM_RSRC2:TGID_X_EN: 1
; COMPUTE_PGM_RSRC2:TGID_Y_EN: 0
; COMPUTE_PGM_RSRC2:TGID_Z_EN: 1
; COMPUTE_PGM_RSRC2:TIDIG_COMP_CNT: 1
; COMPUTE_PGM_RSRC3_GFX90A:ACCUM_OFFSET: 14
; COMPUTE_PGM_RSRC3_GFX90A:TG_SPLIT: 0
	.section	.text._ZL23rocblas_trmm_rNx_kernelILi16E19rocblas_complex_numIfEPKS1_S2_S1_Ev13rocblas_fill_17rocblas_diagonal_iiT1_lPT2_llS8_llPT3_lli,"axG",@progbits,_ZL23rocblas_trmm_rNx_kernelILi16E19rocblas_complex_numIfEPKS1_S2_S1_Ev13rocblas_fill_17rocblas_diagonal_iiT1_lPT2_llS8_llPT3_lli,comdat
	.globl	_ZL23rocblas_trmm_rNx_kernelILi16E19rocblas_complex_numIfEPKS1_S2_S1_Ev13rocblas_fill_17rocblas_diagonal_iiT1_lPT2_llS8_llPT3_lli ; -- Begin function _ZL23rocblas_trmm_rNx_kernelILi16E19rocblas_complex_numIfEPKS1_S2_S1_Ev13rocblas_fill_17rocblas_diagonal_iiT1_lPT2_llS8_llPT3_lli
	.p2align	8
	.type	_ZL23rocblas_trmm_rNx_kernelILi16E19rocblas_complex_numIfEPKS1_S2_S1_Ev13rocblas_fill_17rocblas_diagonal_iiT1_lPT2_llS8_llPT3_lli,@function
_ZL23rocblas_trmm_rNx_kernelILi16E19rocblas_complex_numIfEPKS1_S2_S1_Ev13rocblas_fill_17rocblas_diagonal_iiT1_lPT2_llS8_llPT3_lli: ; @_ZL23rocblas_trmm_rNx_kernelILi16E19rocblas_complex_numIfEPKS1_S2_S1_Ev13rocblas_fill_17rocblas_diagonal_iiT1_lPT2_llS8_llPT3_lli
; %bb.0:
	s_load_dwordx16 s[8:23], s[4:5], 0x10
	s_waitcnt lgkmcnt(0)
	s_mul_i32 s0, s7, s11
	s_mul_hi_u32 s1, s7, s10
	s_add_i32 s1, s1, s0
	s_mul_i32 s0, s7, s10
	s_lshl_b64 s[0:1], s[0:1], 3
	s_add_u32 s0, s8, s0
	s_addc_u32 s1, s9, s1
	s_load_dwordx2 s[24:25], s[0:1], 0x0
	s_waitcnt lgkmcnt(0)
	v_cmp_neq_f32_e64 s[0:1], s24, 0
	v_cmp_neq_f32_e64 s[2:3], s25, 0
	s_or_b64 s[0:1], s[0:1], s[2:3]
	s_andn2_b64 vcc, exec, s[0:1]
	s_mov_b32 s0, 0
	s_cbranch_vccnz .LBB102_15
; %bb.1:
	s_load_dwordx4 s[8:11], s[4:5], 0x0
	v_and_b32_e32 v4, 0x3ff, v0
	v_bfe_u32 v0, v0, 10, 10
	s_mov_b32 s1, s0
	v_lshlrev_b32_e32 v2, 4, v0
	v_pk_mov_b32 v[6:7], s[0:1], s[0:1] op_sel:[0,1]
	s_waitcnt lgkmcnt(0)
	v_cmp_gt_i32_e32 vcc, s11, v0
	v_cmp_gt_i32_e64 s[0:1], s11, v4
	v_add_lshl_u32 v3, v2, v4, 3
	s_and_b64 s[0:1], vcc, s[0:1]
	v_lshlrev_b32_e32 v1, 3, v4
	ds_write2st64_b64 v3, v[6:7], v[6:7] offset1:4
	s_and_saveexec_b64 s[2:3], s[0:1]
	s_cbranch_execz .LBB102_3
; %bb.2:
	s_mul_i32 s0, s7, s17
	s_mul_hi_u32 s1, s7, s16
	s_add_i32 s1, s1, s0
	s_mul_i32 s0, s7, s16
	s_lshl_b64 s[0:1], s[0:1], 3
	s_add_u32 s11, s12, s0
	s_addc_u32 s12, s13, s1
	v_mad_u64_u32 v[6:7], s[0:1], v0, s14, 0
	v_mov_b32_e32 v8, v7
	v_mad_u64_u32 v[8:9], s[0:1], v0, s15, v[8:9]
	v_mov_b32_e32 v7, v8
	v_lshlrev_b64 v[6:7], 3, v[6:7]
	v_mov_b32_e32 v5, s12
	v_add_co_u32_e64 v6, s[0:1], s11, v6
	v_addc_co_u32_e64 v5, s[0:1], v5, v7, s[0:1]
	v_add_co_u32_e64 v6, s[0:1], v6, v1
	v_addc_co_u32_e64 v7, s[0:1], 0, v5, s[0:1]
	global_load_dwordx2 v[6:7], v[6:7], off
	s_waitcnt vmcnt(0)
	ds_write_b64 v3, v[6:7]
.LBB102_3:
	s_or_b64 exec, exec, s[2:3]
	s_add_i32 s0, s10, -1
	s_ashr_i32 s1, s0, 31
	s_lshr_b32 s1, s1, 28
	s_add_i32 s0, s0, s1
	s_ashr_i32 s1, s0, 4
	s_and_b32 s0, s0, -16
	s_sub_i32 s0, s10, s0
	s_cmp_ge_i32 s6, s1
	s_cselect_b32 s0, s0, 16
	s_lshl_b32 s10, s6, 4
	v_cmp_gt_i32_e64 s[0:1], s0, v4
	s_ashr_i32 s11, s10, 31
	s_and_b64 s[0:1], vcc, s[0:1]
	s_and_saveexec_b64 s[2:3], s[0:1]
	s_cbranch_execz .LBB102_5
; %bb.4:
	s_mul_i32 s6, s7, s23
	s_mul_hi_u32 s12, s7, s22
	s_add_i32 s13, s12, s6
	s_mul_i32 s12, s7, s22
	s_lshl_b64 s[12:13], s[12:13], 3
	s_add_u32 s6, s18, s12
	s_addc_u32 s14, s19, s13
	s_lshl_b64 s[12:13], s[10:11], 3
	s_add_u32 s6, s6, s12
	s_addc_u32 s14, s14, s13
	v_mad_u64_u32 v[6:7], s[12:13], v0, s20, 0
	v_mov_b32_e32 v8, v7
	v_mad_u64_u32 v[8:9], s[12:13], v0, s21, v[8:9]
	v_mov_b32_e32 v7, v8
	v_lshlrev_b64 v[6:7], 3, v[6:7]
	v_mov_b32_e32 v5, s14
	v_add_co_u32_e32 v6, vcc, s6, v6
	v_addc_co_u32_e32 v5, vcc, v5, v7, vcc
	v_add_co_u32_e32 v6, vcc, v6, v1
	v_addc_co_u32_e32 v7, vcc, 0, v5, vcc
	global_load_dwordx2 v[6:7], v[6:7], off
	v_add_u32_e32 v5, 0x800, v3
	s_waitcnt vmcnt(0)
	ds_write_b64 v5, v[6:7]
.LBB102_5:
	s_or_b64 exec, exec, s[2:3]
	s_cmpk_eq_i32 s9, 0x84
	s_cselect_b64 s[2:3], -1, 0
	v_cmp_eq_u32_e32 vcc, v0, v4
	s_and_b64 s[12:13], vcc, s[2:3]
	s_and_saveexec_b64 s[2:3], s[12:13]
	s_cbranch_execz .LBB102_7
; %bb.6:
	v_mov_b32_e32 v6, 1.0
	v_mov_b32_e32 v7, 0
	ds_write_b64 v3, v[6:7]
.LBB102_7:
	s_or_b64 exec, exec, s[2:3]
	s_cmpk_lg_i32 s8, 0x79
	s_cbranch_scc0 .LBB102_9
; %bb.8:
	v_cmp_lt_u32_e32 vcc, v4, v0
	s_and_b64 s[2:3], vcc, exec
	s_cbranch_execz .LBB102_10
	s_branch .LBB102_11
.LBB102_9:
	s_mov_b64 s[2:3], 0
.LBB102_10:
	v_cmp_gt_u32_e32 vcc, v4, v0
	s_andn2_b64 s[2:3], s[2:3], exec
	s_and_b64 s[8:9], vcc, exec
	s_or_b64 s[2:3], s[2:3], s[8:9]
.LBB102_11:
	s_and_saveexec_b64 s[8:9], s[2:3]
	s_cbranch_execz .LBB102_13
; %bb.12:
	v_mov_b32_e32 v4, 0
	v_mov_b32_e32 v5, v4
	ds_write_b64 v3, v[4:5]
.LBB102_13:
	s_or_b64 exec, exec, s[8:9]
	s_waitcnt lgkmcnt(0)
	s_barrier
	s_and_saveexec_b64 s[2:3], s[0:1]
	s_cbranch_execz .LBB102_15
; %bb.14:
	v_add_u32_e32 v55, 0x800, v1
	s_load_dwordx2 s[8:9], s[4:5], 0x60
	s_load_dwordx4 s[0:3], s[4:5], 0x50
	v_lshlrev_b32_e32 v54, 3, v2
	ds_read2_b64 v[2:5], v55 offset1:16
	ds_read_b128 v[6:9], v54
	ds_read_b128 v[10:13], v54 offset:16
	ds_read_b128 v[14:17], v54 offset:32
	ds_read_b128 v[18:21], v54 offset:48
	ds_read2_b64 v[22:25], v55 offset0:32 offset1:48
	s_waitcnt lgkmcnt(0)
	s_mul_i32 s5, s7, s9
	s_mul_hi_u32 s6, s7, s8
	v_mul_f32_e32 v26, v6, v3
	v_fmac_f32_e32 v26, v7, v2
	v_mul_f32_e32 v27, v8, v5
	v_add_f32_e32 v26, 0, v26
	v_fmac_f32_e32 v27, v9, v4
	v_add_f32_e32 v30, v26, v27
	v_mul_f32_e32 v31, v10, v23
	ds_read2_b64 v[26:29], v55 offset0:64 offset1:80
	v_fmac_f32_e32 v31, v11, v22
	v_add_f32_e32 v30, v30, v31
	v_mul_f32_e32 v31, v12, v25
	v_fmac_f32_e32 v31, v13, v24
	v_add_f32_e32 v34, v30, v31
	ds_read2_b64 v[30:33], v55 offset0:96 offset1:112
	s_waitcnt lgkmcnt(1)
	v_mul_f32_e32 v35, v14, v27
	v_fmac_f32_e32 v35, v15, v26
	v_add_f32_e32 v34, v34, v35
	v_mul_f32_e32 v35, v16, v29
	v_fmac_f32_e32 v35, v17, v28
	v_add_f32_e32 v34, v34, v35
	s_waitcnt lgkmcnt(0)
	v_mul_f32_e32 v35, v18, v31
	v_fmac_f32_e32 v35, v19, v30
	v_add_f32_e32 v42, v34, v35
	ds_read2_b64 v[34:37], v55 offset0:128 offset1:144
	ds_read_b128 v[38:41], v54 offset:64
	v_mul_f32_e32 v43, v20, v33
	v_fmac_f32_e32 v43, v21, v32
	v_add_f32_e32 v50, v42, v43
	ds_read_b128 v[42:45], v54 offset:80
	ds_read2_b64 v[46:49], v55 offset0:160 offset1:176
	s_waitcnt lgkmcnt(2)
	v_mul_f32_e32 v51, v38, v35
	v_fmac_f32_e32 v51, v39, v34
	v_add_f32_e32 v50, v50, v51
	v_mul_f32_e32 v51, v40, v37
	v_fmac_f32_e32 v51, v41, v36
	v_add_f32_e32 v50, v50, v51
	s_waitcnt lgkmcnt(0)
	v_mul_f32_e32 v51, v42, v47
	v_fmac_f32_e32 v51, v43, v46
	v_add_f32_e32 v50, v50, v51
	v_mul_f32_e32 v51, v44, v49
	v_fmac_f32_e32 v51, v45, v48
	v_mul_f32_e32 v3, v7, v3
	v_add_f32_e32 v56, v50, v51
	ds_read2_b64 v[50:53], v55 offset0:192 offset1:208
	v_fma_f32 v57, v6, v2, -v3
	v_mul_f32_e32 v2, v9, v5
	v_fma_f32 v58, v8, v4, -v2
	ds_read_b128 v[2:5], v54 offset:96
	ds_read_b128 v[6:9], v54 offset:112
	v_mul_f32_e32 v11, v11, v23
	v_fma_f32 v22, v10, v22, -v11
	v_mul_f32_e32 v10, v13, v25
	v_fma_f32 v23, v12, v24, -v10
	ds_read2_b64 v[10:13], v55 offset0:224 offset1:240
	s_waitcnt lgkmcnt(2)
	v_mul_f32_e32 v24, v2, v51
	v_fmac_f32_e32 v24, v3, v50
	v_mul_f32_e32 v25, v4, v53
	v_add_f32_e32 v24, v56, v24
	v_fmac_f32_e32 v25, v5, v52
	v_add_f32_e32 v24, v24, v25
	s_waitcnt lgkmcnt(0)
	v_mul_f32_e32 v25, v6, v11
	v_fmac_f32_e32 v25, v7, v10
	v_add_f32_e32 v24, v24, v25
	v_mul_f32_e32 v25, v8, v13
	v_fmac_f32_e32 v25, v9, v12
	v_add_f32_e32 v24, v24, v25
	v_add_f32_e32 v25, 0, v57
	;; [unrolled: 1-line block ×4, first 2 shown]
	v_mul_f32_e32 v15, v15, v27
	v_add_f32_e32 v22, v22, v23
	v_fma_f32 v14, v14, v26, -v15
	v_mul_f32_e32 v15, v17, v29
	v_add_f32_e32 v14, v22, v14
	v_fma_f32 v15, v16, v28, -v15
	v_add_f32_e32 v14, v14, v15
	v_mul_f32_e32 v15, v19, v31
	v_fma_f32 v15, v18, v30, -v15
	v_add_f32_e32 v14, v14, v15
	v_mul_f32_e32 v15, v21, v33
	;; [unrolled: 3-line block ×6, first 2 shown]
	v_fma_f32 v15, v44, v48, -v15
	v_mul_f32_e32 v3, v3, v51
	v_add_f32_e32 v14, v14, v15
	v_fma_f32 v2, v2, v50, -v3
	v_mul_f32_e32 v3, v5, v53
	v_add_f32_e32 v2, v14, v2
	v_fma_f32 v3, v4, v52, -v3
	s_mul_i32 s4, s7, s8
	s_add_i32 s5, s6, s5
	v_add_f32_e32 v2, v2, v3
	v_mul_f32_e32 v3, v7, v11
	s_lshl_b64 s[4:5], s[4:5], 3
	v_fma_f32 v3, v6, v10, -v3
	s_add_u32 s4, s0, s4
	v_add_f32_e32 v2, v2, v3
	v_mul_f32_e32 v3, v9, v13
	s_addc_u32 s5, s1, s5
	s_lshl_b64 s[0:1], s[10:11], 3
	v_fma_f32 v3, v8, v12, -v3
	s_add_u32 s0, s4, s0
	v_add_f32_e32 v2, v2, v3
	v_mul_f32_e32 v3, s24, v24
	v_mul_f32_e32 v4, s25, v24
	s_addc_u32 s1, s5, s1
	v_fmac_f32_e32 v3, s25, v2
	v_fma_f32 v2, s24, v2, -v4
	v_mad_u64_u32 v[4:5], s[4:5], v0, s2, 0
	v_mov_b32_e32 v6, v5
	v_mad_u64_u32 v[6:7], s[2:3], v0, s3, v[6:7]
	v_mov_b32_e32 v5, v6
	v_lshlrev_b64 v[4:5], 3, v[4:5]
	v_mov_b32_e32 v0, s1
	v_add_co_u32_e32 v4, vcc, s0, v4
	v_addc_co_u32_e32 v5, vcc, v0, v5, vcc
	v_add_co_u32_e32 v0, vcc, v4, v1
	v_addc_co_u32_e32 v1, vcc, 0, v5, vcc
	global_store_dwordx2 v[0:1], v[2:3], off
.LBB102_15:
	s_endpgm
	.section	.rodata,"a",@progbits
	.p2align	6, 0x0
	.amdhsa_kernel _ZL23rocblas_trmm_rNx_kernelILi16E19rocblas_complex_numIfEPKS1_S2_S1_Ev13rocblas_fill_17rocblas_diagonal_iiT1_lPT2_llS8_llPT3_lli
		.amdhsa_group_segment_fixed_size 4096
		.amdhsa_private_segment_fixed_size 0
		.amdhsa_kernarg_size 108
		.amdhsa_user_sgpr_count 6
		.amdhsa_user_sgpr_private_segment_buffer 1
		.amdhsa_user_sgpr_dispatch_ptr 0
		.amdhsa_user_sgpr_queue_ptr 0
		.amdhsa_user_sgpr_kernarg_segment_ptr 1
		.amdhsa_user_sgpr_dispatch_id 0
		.amdhsa_user_sgpr_flat_scratch_init 0
		.amdhsa_user_sgpr_kernarg_preload_length 0
		.amdhsa_user_sgpr_kernarg_preload_offset 0
		.amdhsa_user_sgpr_private_segment_size 0
		.amdhsa_uses_dynamic_stack 0
		.amdhsa_system_sgpr_private_segment_wavefront_offset 0
		.amdhsa_system_sgpr_workgroup_id_x 1
		.amdhsa_system_sgpr_workgroup_id_y 0
		.amdhsa_system_sgpr_workgroup_id_z 1
		.amdhsa_system_sgpr_workgroup_info 0
		.amdhsa_system_vgpr_workitem_id 1
		.amdhsa_next_free_vgpr 59
		.amdhsa_next_free_sgpr 26
		.amdhsa_accum_offset 60
		.amdhsa_reserve_vcc 1
		.amdhsa_reserve_flat_scratch 0
		.amdhsa_float_round_mode_32 0
		.amdhsa_float_round_mode_16_64 0
		.amdhsa_float_denorm_mode_32 3
		.amdhsa_float_denorm_mode_16_64 3
		.amdhsa_dx10_clamp 1
		.amdhsa_ieee_mode 1
		.amdhsa_fp16_overflow 0
		.amdhsa_tg_split 0
		.amdhsa_exception_fp_ieee_invalid_op 0
		.amdhsa_exception_fp_denorm_src 0
		.amdhsa_exception_fp_ieee_div_zero 0
		.amdhsa_exception_fp_ieee_overflow 0
		.amdhsa_exception_fp_ieee_underflow 0
		.amdhsa_exception_fp_ieee_inexact 0
		.amdhsa_exception_int_div_zero 0
	.end_amdhsa_kernel
	.section	.text._ZL23rocblas_trmm_rNx_kernelILi16E19rocblas_complex_numIfEPKS1_S2_S1_Ev13rocblas_fill_17rocblas_diagonal_iiT1_lPT2_llS8_llPT3_lli,"axG",@progbits,_ZL23rocblas_trmm_rNx_kernelILi16E19rocblas_complex_numIfEPKS1_S2_S1_Ev13rocblas_fill_17rocblas_diagonal_iiT1_lPT2_llS8_llPT3_lli,comdat
.Lfunc_end102:
	.size	_ZL23rocblas_trmm_rNx_kernelILi16E19rocblas_complex_numIfEPKS1_S2_S1_Ev13rocblas_fill_17rocblas_diagonal_iiT1_lPT2_llS8_llPT3_lli, .Lfunc_end102-_ZL23rocblas_trmm_rNx_kernelILi16E19rocblas_complex_numIfEPKS1_S2_S1_Ev13rocblas_fill_17rocblas_diagonal_iiT1_lPT2_llS8_llPT3_lli
                                        ; -- End function
	.section	.AMDGPU.csdata,"",@progbits
; Kernel info:
; codeLenInByte = 1368
; NumSgprs: 30
; NumVgprs: 59
; NumAgprs: 0
; TotalNumVgprs: 59
; ScratchSize: 0
; MemoryBound: 0
; FloatMode: 240
; IeeeMode: 1
; LDSByteSize: 4096 bytes/workgroup (compile time only)
; SGPRBlocks: 3
; VGPRBlocks: 7
; NumSGPRsForWavesPerEU: 30
; NumVGPRsForWavesPerEU: 59
; AccumOffset: 60
; Occupancy: 8
; WaveLimiterHint : 0
; COMPUTE_PGM_RSRC2:SCRATCH_EN: 0
; COMPUTE_PGM_RSRC2:USER_SGPR: 6
; COMPUTE_PGM_RSRC2:TRAP_HANDLER: 0
; COMPUTE_PGM_RSRC2:TGID_X_EN: 1
; COMPUTE_PGM_RSRC2:TGID_Y_EN: 0
; COMPUTE_PGM_RSRC2:TGID_Z_EN: 1
; COMPUTE_PGM_RSRC2:TIDIG_COMP_CNT: 1
; COMPUTE_PGM_RSRC3_GFX90A:ACCUM_OFFSET: 14
; COMPUTE_PGM_RSRC3_GFX90A:TG_SPLIT: 0
	.section	.text._ZL23rocblas_trmm_rNx_kernelILi16E19rocblas_complex_numIfES1_KS1_S1_Ev13rocblas_fill_17rocblas_diagonal_iiT1_lPT2_llS7_llPT3_lli,"axG",@progbits,_ZL23rocblas_trmm_rNx_kernelILi16E19rocblas_complex_numIfES1_KS1_S1_Ev13rocblas_fill_17rocblas_diagonal_iiT1_lPT2_llS7_llPT3_lli,comdat
	.globl	_ZL23rocblas_trmm_rNx_kernelILi16E19rocblas_complex_numIfES1_KS1_S1_Ev13rocblas_fill_17rocblas_diagonal_iiT1_lPT2_llS7_llPT3_lli ; -- Begin function _ZL23rocblas_trmm_rNx_kernelILi16E19rocblas_complex_numIfES1_KS1_S1_Ev13rocblas_fill_17rocblas_diagonal_iiT1_lPT2_llS7_llPT3_lli
	.p2align	8
	.type	_ZL23rocblas_trmm_rNx_kernelILi16E19rocblas_complex_numIfES1_KS1_S1_Ev13rocblas_fill_17rocblas_diagonal_iiT1_lPT2_llS7_llPT3_lli,@function
_ZL23rocblas_trmm_rNx_kernelILi16E19rocblas_complex_numIfES1_KS1_S1_Ev13rocblas_fill_17rocblas_diagonal_iiT1_lPT2_llS7_llPT3_lli: ; @_ZL23rocblas_trmm_rNx_kernelILi16E19rocblas_complex_numIfES1_KS1_S1_Ev13rocblas_fill_17rocblas_diagonal_iiT1_lPT2_llS7_llPT3_lli
; %bb.0:
	s_load_dwordx2 s[2:3], s[4:5], 0x10
	s_waitcnt lgkmcnt(0)
	v_cmp_neq_f32_e64 s[0:1], s2, 0
	v_cmp_neq_f32_e64 s[8:9], s3, 0
	s_or_b64 s[0:1], s[0:1], s[8:9]
	s_andn2_b64 vcc, exec, s[0:1]
	s_mov_b32 s0, 0
	s_cbranch_vccnz .LBB103_15
; %bb.1:
	s_load_dwordx4 s[24:27], s[4:5], 0x0
	s_load_dwordx16 s[8:23], s[4:5], 0x20
	v_and_b32_e32 v4, 0x3ff, v0
	v_bfe_u32 v0, v0, 10, 10
	s_mov_b32 s1, s0
	v_lshlrev_b32_e32 v2, 4, v0
	v_pk_mov_b32 v[6:7], s[0:1], s[0:1] op_sel:[0,1]
	s_waitcnt lgkmcnt(0)
	v_cmp_gt_i32_e32 vcc, s27, v0
	v_cmp_gt_i32_e64 s[0:1], s27, v4
	v_add_lshl_u32 v3, v2, v4, 3
	s_and_b64 s[0:1], vcc, s[0:1]
	v_lshlrev_b32_e32 v1, 3, v4
	ds_write2st64_b64 v3, v[6:7], v[6:7] offset1:4
	s_and_saveexec_b64 s[28:29], s[0:1]
	s_cbranch_execz .LBB103_3
; %bb.2:
	s_mul_i32 s0, s7, s13
	s_mul_hi_u32 s1, s7, s12
	s_add_i32 s1, s1, s0
	s_mul_i32 s0, s7, s12
	s_lshl_b64 s[0:1], s[0:1], 3
	s_add_u32 s8, s8, s0
	s_addc_u32 s9, s9, s1
	v_mad_u64_u32 v[6:7], s[0:1], v0, s10, 0
	v_mov_b32_e32 v8, v7
	v_mad_u64_u32 v[8:9], s[0:1], v0, s11, v[8:9]
	v_mov_b32_e32 v7, v8
	v_lshlrev_b64 v[6:7], 3, v[6:7]
	v_mov_b32_e32 v5, s9
	v_add_co_u32_e64 v6, s[0:1], s8, v6
	v_addc_co_u32_e64 v5, s[0:1], v5, v7, s[0:1]
	v_add_co_u32_e64 v6, s[0:1], v6, v1
	v_addc_co_u32_e64 v7, s[0:1], 0, v5, s[0:1]
	global_load_dwordx2 v[6:7], v[6:7], off
	s_waitcnt vmcnt(0)
	ds_write_b64 v3, v[6:7]
.LBB103_3:
	s_or_b64 exec, exec, s[28:29]
	s_add_i32 s0, s26, -1
	s_ashr_i32 s1, s0, 31
	s_lshr_b32 s1, s1, 28
	s_add_i32 s0, s0, s1
	s_ashr_i32 s1, s0, 4
	s_and_b32 s0, s0, -16
	s_sub_i32 s0, s26, s0
	s_cmp_ge_i32 s6, s1
	s_cselect_b32 s0, s0, 16
	s_lshl_b32 s8, s6, 4
	v_cmp_gt_i32_e64 s[0:1], s0, v4
	s_ashr_i32 s9, s8, 31
	s_and_b64 s[0:1], vcc, s[0:1]
	s_and_saveexec_b64 s[10:11], s[0:1]
	s_cbranch_execz .LBB103_5
; %bb.4:
	s_mul_i32 s6, s7, s19
	s_mul_hi_u32 s12, s7, s18
	s_add_i32 s13, s12, s6
	s_mul_i32 s12, s7, s18
	s_lshl_b64 s[12:13], s[12:13], 3
	s_add_u32 s6, s14, s12
	s_addc_u32 s14, s15, s13
	s_lshl_b64 s[12:13], s[8:9], 3
	s_add_u32 s6, s6, s12
	s_addc_u32 s14, s14, s13
	v_mad_u64_u32 v[6:7], s[12:13], v0, s16, 0
	v_mov_b32_e32 v8, v7
	v_mad_u64_u32 v[8:9], s[12:13], v0, s17, v[8:9]
	v_mov_b32_e32 v7, v8
	v_lshlrev_b64 v[6:7], 3, v[6:7]
	v_mov_b32_e32 v5, s14
	v_add_co_u32_e32 v6, vcc, s6, v6
	v_addc_co_u32_e32 v5, vcc, v5, v7, vcc
	v_add_co_u32_e32 v6, vcc, v6, v1
	v_addc_co_u32_e32 v7, vcc, 0, v5, vcc
	global_load_dwordx2 v[6:7], v[6:7], off
	v_add_u32_e32 v5, 0x800, v3
	s_waitcnt vmcnt(0)
	ds_write_b64 v5, v[6:7]
.LBB103_5:
	s_or_b64 exec, exec, s[10:11]
	s_cmpk_eq_i32 s25, 0x84
	s_cselect_b64 s[10:11], -1, 0
	v_cmp_eq_u32_e32 vcc, v0, v4
	s_and_b64 s[12:13], vcc, s[10:11]
	s_and_saveexec_b64 s[10:11], s[12:13]
	s_cbranch_execz .LBB103_7
; %bb.6:
	v_mov_b32_e32 v6, 1.0
	v_mov_b32_e32 v7, 0
	ds_write_b64 v3, v[6:7]
.LBB103_7:
	s_or_b64 exec, exec, s[10:11]
	s_cmpk_lg_i32 s24, 0x79
	s_cbranch_scc0 .LBB103_9
; %bb.8:
	v_cmp_lt_u32_e32 vcc, v4, v0
	s_and_b64 s[10:11], vcc, exec
	s_cbranch_execz .LBB103_10
	s_branch .LBB103_11
.LBB103_9:
	s_mov_b64 s[10:11], 0
.LBB103_10:
	v_cmp_gt_u32_e32 vcc, v4, v0
	s_andn2_b64 s[10:11], s[10:11], exec
	s_and_b64 s[12:13], vcc, exec
	s_or_b64 s[10:11], s[10:11], s[12:13]
.LBB103_11:
	s_and_saveexec_b64 s[12:13], s[10:11]
	s_cbranch_execz .LBB103_13
; %bb.12:
	v_mov_b32_e32 v4, 0
	v_mov_b32_e32 v5, v4
	ds_write_b64 v3, v[4:5]
.LBB103_13:
	s_or_b64 exec, exec, s[12:13]
	s_waitcnt lgkmcnt(0)
	s_barrier
	s_and_saveexec_b64 s[10:11], s[0:1]
	s_cbranch_execz .LBB103_15
; %bb.14:
	v_add_u32_e32 v55, 0x800, v1
	v_lshlrev_b32_e32 v54, 3, v2
	ds_read2_b64 v[2:5], v55 offset1:16
	ds_read_b128 v[6:9], v54
	ds_read_b128 v[10:13], v54 offset:16
	ds_read_b128 v[14:17], v54 offset:32
	;; [unrolled: 1-line block ×3, first 2 shown]
	ds_read2_b64 v[22:25], v55 offset0:32 offset1:48
	s_load_dwordx2 s[0:1], s[4:5], 0x60
	s_waitcnt lgkmcnt(0)
	v_mul_f32_e32 v26, v6, v3
	v_fmac_f32_e32 v26, v7, v2
	v_mul_f32_e32 v27, v8, v5
	v_add_f32_e32 v26, 0, v26
	v_fmac_f32_e32 v27, v9, v4
	v_add_f32_e32 v30, v26, v27
	v_mul_f32_e32 v31, v10, v23
	ds_read2_b64 v[26:29], v55 offset0:64 offset1:80
	v_fmac_f32_e32 v31, v11, v22
	v_add_f32_e32 v30, v30, v31
	v_mul_f32_e32 v31, v12, v25
	v_fmac_f32_e32 v31, v13, v24
	v_add_f32_e32 v34, v30, v31
	ds_read2_b64 v[30:33], v55 offset0:96 offset1:112
	s_waitcnt lgkmcnt(1)
	v_mul_f32_e32 v35, v14, v27
	v_fmac_f32_e32 v35, v15, v26
	v_add_f32_e32 v34, v34, v35
	v_mul_f32_e32 v35, v16, v29
	v_fmac_f32_e32 v35, v17, v28
	v_add_f32_e32 v34, v34, v35
	s_waitcnt lgkmcnt(0)
	v_mul_f32_e32 v35, v18, v31
	v_fmac_f32_e32 v35, v19, v30
	v_add_f32_e32 v42, v34, v35
	ds_read2_b64 v[34:37], v55 offset0:128 offset1:144
	ds_read_b128 v[38:41], v54 offset:64
	v_mul_f32_e32 v43, v20, v33
	v_fmac_f32_e32 v43, v21, v32
	v_add_f32_e32 v50, v42, v43
	ds_read_b128 v[42:45], v54 offset:80
	ds_read2_b64 v[46:49], v55 offset0:160 offset1:176
	s_waitcnt lgkmcnt(2)
	v_mul_f32_e32 v51, v38, v35
	v_fmac_f32_e32 v51, v39, v34
	v_add_f32_e32 v50, v50, v51
	v_mul_f32_e32 v51, v40, v37
	v_fmac_f32_e32 v51, v41, v36
	v_add_f32_e32 v50, v50, v51
	s_waitcnt lgkmcnt(0)
	v_mul_f32_e32 v51, v42, v47
	v_fmac_f32_e32 v51, v43, v46
	v_add_f32_e32 v50, v50, v51
	v_mul_f32_e32 v51, v44, v49
	v_fmac_f32_e32 v51, v45, v48
	v_mul_f32_e32 v3, v7, v3
	v_add_f32_e32 v56, v50, v51
	ds_read2_b64 v[50:53], v55 offset0:192 offset1:208
	v_fma_f32 v57, v6, v2, -v3
	v_mul_f32_e32 v2, v9, v5
	v_fma_f32 v58, v8, v4, -v2
	ds_read_b128 v[2:5], v54 offset:96
	ds_read_b128 v[6:9], v54 offset:112
	v_mul_f32_e32 v11, v11, v23
	v_fma_f32 v22, v10, v22, -v11
	v_mul_f32_e32 v10, v13, v25
	v_fma_f32 v23, v12, v24, -v10
	ds_read2_b64 v[10:13], v55 offset0:224 offset1:240
	s_waitcnt lgkmcnt(2)
	v_mul_f32_e32 v24, v2, v51
	v_fmac_f32_e32 v24, v3, v50
	v_mul_f32_e32 v25, v4, v53
	v_add_f32_e32 v24, v56, v24
	v_fmac_f32_e32 v25, v5, v52
	v_add_f32_e32 v24, v24, v25
	s_waitcnt lgkmcnt(0)
	v_mul_f32_e32 v25, v6, v11
	v_fmac_f32_e32 v25, v7, v10
	v_add_f32_e32 v24, v24, v25
	v_mul_f32_e32 v25, v8, v13
	v_fmac_f32_e32 v25, v9, v12
	v_add_f32_e32 v24, v24, v25
	v_add_f32_e32 v25, 0, v57
	;; [unrolled: 1-line block ×4, first 2 shown]
	v_mul_f32_e32 v15, v15, v27
	v_add_f32_e32 v22, v22, v23
	v_fma_f32 v14, v14, v26, -v15
	v_mul_f32_e32 v15, v17, v29
	v_add_f32_e32 v14, v22, v14
	v_fma_f32 v15, v16, v28, -v15
	v_add_f32_e32 v14, v14, v15
	v_mul_f32_e32 v15, v19, v31
	v_fma_f32 v15, v18, v30, -v15
	v_add_f32_e32 v14, v14, v15
	v_mul_f32_e32 v15, v21, v33
	;; [unrolled: 3-line block ×6, first 2 shown]
	v_fma_f32 v15, v44, v48, -v15
	v_mul_f32_e32 v3, v3, v51
	v_add_f32_e32 v14, v14, v15
	v_fma_f32 v2, v2, v50, -v3
	v_mul_f32_e32 v3, v5, v53
	v_add_f32_e32 v2, v14, v2
	v_fma_f32 v3, v4, v52, -v3
	v_add_f32_e32 v2, v2, v3
	v_mul_f32_e32 v3, v7, v11
	v_fma_f32 v3, v6, v10, -v3
	v_add_f32_e32 v2, v2, v3
	v_mul_f32_e32 v3, v9, v13
	s_mul_i32 s1, s7, s1
	s_mul_hi_u32 s4, s7, s0
	v_fma_f32 v3, v8, v12, -v3
	s_mul_i32 s0, s7, s0
	s_add_i32 s1, s4, s1
	v_add_f32_e32 v2, v2, v3
	v_mul_f32_e32 v3, s2, v24
	v_mul_f32_e32 v4, s3, v24
	s_lshl_b64 s[0:1], s[0:1], 3
	v_fmac_f32_e32 v3, s3, v2
	v_fma_f32 v2, s2, v2, -v4
	v_mad_u64_u32 v[4:5], s[2:3], v0, s22, 0
	s_add_u32 s4, s20, s0
	v_mov_b32_e32 v6, v5
	s_addc_u32 s5, s21, s1
	s_lshl_b64 s[0:1], s[8:9], 3
	v_mad_u64_u32 v[6:7], s[2:3], v0, s23, v[6:7]
	s_add_u32 s0, s4, s0
	v_mov_b32_e32 v5, v6
	s_addc_u32 s1, s5, s1
	v_lshlrev_b64 v[4:5], 3, v[4:5]
	v_mov_b32_e32 v0, s1
	v_add_co_u32_e32 v4, vcc, s0, v4
	v_addc_co_u32_e32 v5, vcc, v0, v5, vcc
	v_add_co_u32_e32 v0, vcc, v4, v1
	v_addc_co_u32_e32 v1, vcc, 0, v5, vcc
	global_store_dwordx2 v[0:1], v[2:3], off
.LBB103_15:
	s_endpgm
	.section	.rodata,"a",@progbits
	.p2align	6, 0x0
	.amdhsa_kernel _ZL23rocblas_trmm_rNx_kernelILi16E19rocblas_complex_numIfES1_KS1_S1_Ev13rocblas_fill_17rocblas_diagonal_iiT1_lPT2_llS7_llPT3_lli
		.amdhsa_group_segment_fixed_size 4096
		.amdhsa_private_segment_fixed_size 0
		.amdhsa_kernarg_size 108
		.amdhsa_user_sgpr_count 6
		.amdhsa_user_sgpr_private_segment_buffer 1
		.amdhsa_user_sgpr_dispatch_ptr 0
		.amdhsa_user_sgpr_queue_ptr 0
		.amdhsa_user_sgpr_kernarg_segment_ptr 1
		.amdhsa_user_sgpr_dispatch_id 0
		.amdhsa_user_sgpr_flat_scratch_init 0
		.amdhsa_user_sgpr_kernarg_preload_length 0
		.amdhsa_user_sgpr_kernarg_preload_offset 0
		.amdhsa_user_sgpr_private_segment_size 0
		.amdhsa_uses_dynamic_stack 0
		.amdhsa_system_sgpr_private_segment_wavefront_offset 0
		.amdhsa_system_sgpr_workgroup_id_x 1
		.amdhsa_system_sgpr_workgroup_id_y 0
		.amdhsa_system_sgpr_workgroup_id_z 1
		.amdhsa_system_sgpr_workgroup_info 0
		.amdhsa_system_vgpr_workitem_id 1
		.amdhsa_next_free_vgpr 59
		.amdhsa_next_free_sgpr 30
		.amdhsa_accum_offset 60
		.amdhsa_reserve_vcc 1
		.amdhsa_reserve_flat_scratch 0
		.amdhsa_float_round_mode_32 0
		.amdhsa_float_round_mode_16_64 0
		.amdhsa_float_denorm_mode_32 3
		.amdhsa_float_denorm_mode_16_64 3
		.amdhsa_dx10_clamp 1
		.amdhsa_ieee_mode 1
		.amdhsa_fp16_overflow 0
		.amdhsa_tg_split 0
		.amdhsa_exception_fp_ieee_invalid_op 0
		.amdhsa_exception_fp_denorm_src 0
		.amdhsa_exception_fp_ieee_div_zero 0
		.amdhsa_exception_fp_ieee_overflow 0
		.amdhsa_exception_fp_ieee_underflow 0
		.amdhsa_exception_fp_ieee_inexact 0
		.amdhsa_exception_int_div_zero 0
	.end_amdhsa_kernel
	.section	.text._ZL23rocblas_trmm_rNx_kernelILi16E19rocblas_complex_numIfES1_KS1_S1_Ev13rocblas_fill_17rocblas_diagonal_iiT1_lPT2_llS7_llPT3_lli,"axG",@progbits,_ZL23rocblas_trmm_rNx_kernelILi16E19rocblas_complex_numIfES1_KS1_S1_Ev13rocblas_fill_17rocblas_diagonal_iiT1_lPT2_llS7_llPT3_lli,comdat
.Lfunc_end103:
	.size	_ZL23rocblas_trmm_rNx_kernelILi16E19rocblas_complex_numIfES1_KS1_S1_Ev13rocblas_fill_17rocblas_diagonal_iiT1_lPT2_llS7_llPT3_lli, .Lfunc_end103-_ZL23rocblas_trmm_rNx_kernelILi16E19rocblas_complex_numIfES1_KS1_S1_Ev13rocblas_fill_17rocblas_diagonal_iiT1_lPT2_llS7_llPT3_lli
                                        ; -- End function
	.section	.AMDGPU.csdata,"",@progbits
; Kernel info:
; codeLenInByte = 1328
; NumSgprs: 34
; NumVgprs: 59
; NumAgprs: 0
; TotalNumVgprs: 59
; ScratchSize: 0
; MemoryBound: 0
; FloatMode: 240
; IeeeMode: 1
; LDSByteSize: 4096 bytes/workgroup (compile time only)
; SGPRBlocks: 4
; VGPRBlocks: 7
; NumSGPRsForWavesPerEU: 34
; NumVGPRsForWavesPerEU: 59
; AccumOffset: 60
; Occupancy: 8
; WaveLimiterHint : 0
; COMPUTE_PGM_RSRC2:SCRATCH_EN: 0
; COMPUTE_PGM_RSRC2:USER_SGPR: 6
; COMPUTE_PGM_RSRC2:TRAP_HANDLER: 0
; COMPUTE_PGM_RSRC2:TGID_X_EN: 1
; COMPUTE_PGM_RSRC2:TGID_Y_EN: 0
; COMPUTE_PGM_RSRC2:TGID_Z_EN: 1
; COMPUTE_PGM_RSRC2:TIDIG_COMP_CNT: 1
; COMPUTE_PGM_RSRC3_GFX90A:ACCUM_OFFSET: 14
; COMPUTE_PGM_RSRC3_GFX90A:TG_SPLIT: 0
	.section	.text._ZL23rocblas_trmm_rTx_kernelILi16ELb0E19rocblas_complex_numIfEPKS1_S2_S1_Ev13rocblas_fill_17rocblas_diagonal_iiT2_lPT3_llS8_llPT4_lli,"axG",@progbits,_ZL23rocblas_trmm_rTx_kernelILi16ELb0E19rocblas_complex_numIfEPKS1_S2_S1_Ev13rocblas_fill_17rocblas_diagonal_iiT2_lPT3_llS8_llPT4_lli,comdat
	.globl	_ZL23rocblas_trmm_rTx_kernelILi16ELb0E19rocblas_complex_numIfEPKS1_S2_S1_Ev13rocblas_fill_17rocblas_diagonal_iiT2_lPT3_llS8_llPT4_lli ; -- Begin function _ZL23rocblas_trmm_rTx_kernelILi16ELb0E19rocblas_complex_numIfEPKS1_S2_S1_Ev13rocblas_fill_17rocblas_diagonal_iiT2_lPT3_llS8_llPT4_lli
	.p2align	8
	.type	_ZL23rocblas_trmm_rTx_kernelILi16ELb0E19rocblas_complex_numIfEPKS1_S2_S1_Ev13rocblas_fill_17rocblas_diagonal_iiT2_lPT3_llS8_llPT4_lli,@function
_ZL23rocblas_trmm_rTx_kernelILi16ELb0E19rocblas_complex_numIfEPKS1_S2_S1_Ev13rocblas_fill_17rocblas_diagonal_iiT2_lPT3_llS8_llPT4_lli: ; @_ZL23rocblas_trmm_rTx_kernelILi16ELb0E19rocblas_complex_numIfEPKS1_S2_S1_Ev13rocblas_fill_17rocblas_diagonal_iiT2_lPT3_llS8_llPT4_lli
; %bb.0:
	s_load_dwordx16 s[8:23], s[4:5], 0x10
	s_waitcnt lgkmcnt(0)
	s_mul_i32 s0, s7, s11
	s_mul_hi_u32 s1, s7, s10
	s_add_i32 s1, s1, s0
	s_mul_i32 s0, s7, s10
	s_lshl_b64 s[0:1], s[0:1], 3
	s_add_u32 s0, s8, s0
	s_addc_u32 s1, s9, s1
	s_load_dwordx2 s[24:25], s[0:1], 0x0
	s_waitcnt lgkmcnt(0)
	v_cmp_neq_f32_e64 s[0:1], s24, 0
	v_cmp_neq_f32_e64 s[2:3], s25, 0
	s_or_b64 s[0:1], s[0:1], s[2:3]
	s_andn2_b64 vcc, exec, s[0:1]
	s_mov_b32 s0, 0
	s_cbranch_vccnz .LBB104_15
; %bb.1:
	s_load_dwordx4 s[8:11], s[4:5], 0x0
	v_and_b32_e32 v3, 0x3ff, v0
	v_bfe_u32 v0, v0, 10, 10
	s_mov_b32 s1, s0
	v_lshlrev_b32_e32 v1, 4, v0
	v_pk_mov_b32 v[4:5], s[0:1], s[0:1] op_sel:[0,1]
	s_waitcnt lgkmcnt(0)
	v_cmp_gt_i32_e32 vcc, s11, v0
	v_cmp_gt_i32_e64 s[0:1], s11, v3
	v_add_lshl_u32 v2, v1, v3, 3
	s_and_b64 s[0:1], vcc, s[0:1]
	v_lshlrev_b32_e32 v1, 3, v3
	ds_write2st64_b64 v2, v[4:5], v[4:5] offset1:4
	s_and_saveexec_b64 s[2:3], s[0:1]
	s_cbranch_execz .LBB104_3
; %bb.2:
	s_mul_i32 s0, s7, s17
	s_mul_hi_u32 s1, s7, s16
	s_add_i32 s1, s1, s0
	s_mul_i32 s0, s7, s16
	s_lshl_b64 s[0:1], s[0:1], 3
	s_add_u32 s11, s12, s0
	s_addc_u32 s12, s13, s1
	v_mad_u64_u32 v[4:5], s[0:1], v0, s14, 0
	v_mov_b32_e32 v6, v5
	v_mad_u64_u32 v[6:7], s[0:1], v0, s15, v[6:7]
	v_mov_b32_e32 v5, v6
	v_lshlrev_b64 v[4:5], 3, v[4:5]
	v_mov_b32_e32 v6, s12
	v_add_co_u32_e64 v4, s[0:1], s11, v4
	v_addc_co_u32_e64 v5, s[0:1], v6, v5, s[0:1]
	v_add_co_u32_e64 v4, s[0:1], v4, v1
	v_addc_co_u32_e64 v5, s[0:1], 0, v5, s[0:1]
	global_load_dwordx2 v[4:5], v[4:5], off
	s_waitcnt vmcnt(0)
	ds_write_b64 v2, v[4:5]
.LBB104_3:
	s_or_b64 exec, exec, s[2:3]
	s_add_i32 s0, s10, -1
	s_ashr_i32 s1, s0, 31
	s_lshr_b32 s1, s1, 28
	s_add_i32 s0, s0, s1
	s_ashr_i32 s1, s0, 4
	s_and_b32 s0, s0, -16
	s_sub_i32 s0, s10, s0
	s_cmp_ge_i32 s6, s1
	s_cselect_b32 s0, s0, 16
	s_lshl_b32 s10, s6, 4
	v_cmp_gt_i32_e64 s[0:1], s0, v3
	s_ashr_i32 s11, s10, 31
	s_and_b64 s[0:1], vcc, s[0:1]
	s_and_saveexec_b64 s[2:3], s[0:1]
	s_cbranch_execz .LBB104_5
; %bb.4:
	s_mul_i32 s6, s7, s23
	s_mul_hi_u32 s12, s7, s22
	s_add_i32 s13, s12, s6
	s_mul_i32 s12, s7, s22
	s_lshl_b64 s[12:13], s[12:13], 3
	s_add_u32 s6, s18, s12
	s_addc_u32 s14, s19, s13
	s_lshl_b64 s[12:13], s[10:11], 3
	s_add_u32 s6, s6, s12
	s_addc_u32 s14, s14, s13
	v_mad_u64_u32 v[4:5], s[12:13], v0, s20, 0
	v_mov_b32_e32 v6, v5
	v_mad_u64_u32 v[6:7], s[12:13], v0, s21, v[6:7]
	v_mov_b32_e32 v5, v6
	v_lshlrev_b64 v[4:5], 3, v[4:5]
	v_mov_b32_e32 v6, s14
	v_add_co_u32_e32 v4, vcc, s6, v4
	v_addc_co_u32_e32 v5, vcc, v6, v5, vcc
	v_add_co_u32_e32 v4, vcc, v4, v1
	v_addc_co_u32_e32 v5, vcc, 0, v5, vcc
	global_load_dwordx2 v[4:5], v[4:5], off
	v_add_u32_e32 v6, 0x800, v2
	s_waitcnt vmcnt(0)
	ds_write_b64 v6, v[4:5]
.LBB104_5:
	s_or_b64 exec, exec, s[2:3]
	s_cmpk_eq_i32 s9, 0x84
	s_cselect_b64 s[2:3], -1, 0
	v_cmp_eq_u32_e32 vcc, v0, v3
	s_and_b64 s[12:13], vcc, s[2:3]
	s_and_saveexec_b64 s[2:3], s[12:13]
	s_cbranch_execz .LBB104_7
; %bb.6:
	v_mov_b32_e32 v4, 1.0
	v_mov_b32_e32 v5, 0
	ds_write_b64 v2, v[4:5]
.LBB104_7:
	s_or_b64 exec, exec, s[2:3]
	s_cmpk_lg_i32 s8, 0x79
	s_cbranch_scc0 .LBB104_9
; %bb.8:
	v_cmp_lt_u32_e32 vcc, v3, v0
	s_and_b64 s[2:3], vcc, exec
	s_cbranch_execz .LBB104_10
	s_branch .LBB104_11
.LBB104_9:
	s_mov_b64 s[2:3], 0
.LBB104_10:
	v_cmp_gt_u32_e32 vcc, v3, v0
	s_andn2_b64 s[2:3], s[2:3], exec
	s_and_b64 s[8:9], vcc, exec
	s_or_b64 s[2:3], s[2:3], s[8:9]
.LBB104_11:
	s_and_saveexec_b64 s[8:9], s[2:3]
	s_cbranch_execz .LBB104_13
; %bb.12:
	v_mov_b32_e32 v4, 0
	v_mov_b32_e32 v5, v4
	ds_write_b64 v2, v[4:5]
.LBB104_13:
	s_or_b64 exec, exec, s[8:9]
	s_waitcnt lgkmcnt(0)
	s_barrier
	s_and_saveexec_b64 s[2:3], s[0:1]
	s_cbranch_execz .LBB104_15
; %bb.14:
	v_lshlrev_b32_e32 v54, 3, v0
	v_add_u32_e32 v55, 0x800, v1
	s_load_dwordx2 s[8:9], s[4:5], 0x60
	s_load_dwordx4 s[0:3], s[4:5], 0x50
	ds_read2_b64 v[2:5], v54 offset1:16
	ds_read2_b64 v[6:9], v55 offset1:16
	ds_read2_b64 v[10:13], v54 offset0:32 offset1:48
	ds_read2_b64 v[14:17], v55 offset0:32 offset1:48
	s_waitcnt lgkmcnt(0)
	s_mul_i32 s5, s7, s9
	s_mul_hi_u32 s6, s7, s8
	s_mul_i32 s4, s7, s8
	v_mul_f32_e32 v18, v2, v7
	v_fmac_f32_e32 v18, v3, v6
	v_mul_f32_e32 v19, v4, v9
	v_add_f32_e32 v18, 0, v18
	v_fmac_f32_e32 v19, v5, v8
	v_mul_f32_e32 v27, v10, v15
	v_add_f32_e32 v26, v18, v19
	v_fmac_f32_e32 v27, v11, v14
	ds_read2_b64 v[18:21], v54 offset0:64 offset1:80
	ds_read2_b64 v[22:25], v55 offset0:64 offset1:80
	v_add_f32_e32 v26, v26, v27
	v_mul_f32_e32 v27, v12, v17
	v_fmac_f32_e32 v27, v13, v16
	v_add_f32_e32 v34, v26, v27
	ds_read2_b64 v[26:29], v54 offset0:96 offset1:112
	ds_read2_b64 v[30:33], v55 offset0:96 offset1:112
	s_waitcnt lgkmcnt(2)
	v_mul_f32_e32 v35, v18, v23
	v_fmac_f32_e32 v35, v19, v22
	v_add_f32_e32 v34, v34, v35
	v_mul_f32_e32 v35, v20, v25
	v_fmac_f32_e32 v35, v21, v24
	s_waitcnt lgkmcnt(0)
	v_mul_f32_e32 v43, v26, v31
	v_add_f32_e32 v42, v34, v35
	v_fmac_f32_e32 v43, v27, v30
	ds_read2_b64 v[34:37], v54 offset0:128 offset1:144
	ds_read2_b64 v[38:41], v55 offset0:128 offset1:144
	v_add_f32_e32 v42, v42, v43
	v_mul_f32_e32 v43, v28, v33
	v_fmac_f32_e32 v43, v29, v32
	v_add_f32_e32 v50, v42, v43
	ds_read2_b64 v[42:45], v54 offset0:160 offset1:176
	ds_read2_b64 v[46:49], v55 offset0:160 offset1:176
	s_waitcnt lgkmcnt(2)
	v_mul_f32_e32 v51, v34, v39
	v_fmac_f32_e32 v51, v35, v38
	v_add_f32_e32 v50, v50, v51
	v_mul_f32_e32 v51, v36, v41
	v_fmac_f32_e32 v51, v37, v40
	s_waitcnt lgkmcnt(0)
	v_mul_f32_e32 v57, v42, v47
	v_mul_f32_e32 v3, v3, v7
	v_add_f32_e32 v56, v50, v51
	v_fmac_f32_e32 v57, v43, v46
	v_fma_f32 v58, v2, v6, -v3
	v_mul_f32_e32 v2, v5, v9
	v_mul_f32_e32 v7, v44, v49
	ds_read2_b64 v[50:53], v54 offset0:192 offset1:208
	v_fma_f32 v59, v4, v8, -v2
	ds_read2_b64 v[2:5], v55 offset0:192 offset1:208
	v_add_f32_e32 v6, v56, v57
	v_fmac_f32_e32 v7, v45, v48
	v_add_f32_e32 v56, v6, v7
	v_mul_f32_e32 v6, v11, v15
	v_fma_f32 v14, v10, v14, -v6
	v_mul_f32_e32 v6, v13, v17
	v_fma_f32 v15, v12, v16, -v6
	ds_read2_b64 v[6:9], v54 offset0:224 offset1:240
	ds_read2_b64 v[10:13], v55 offset0:224 offset1:240
	s_waitcnt lgkmcnt(2)
	v_mul_f32_e32 v57, v50, v3
	v_fmac_f32_e32 v57, v51, v2
	v_mul_f32_e32 v17, v52, v5
	v_add_f32_e32 v16, v56, v57
	v_fmac_f32_e32 v17, v53, v4
	v_add_f32_e32 v16, v16, v17
	s_waitcnt lgkmcnt(0)
	v_mul_f32_e32 v17, v6, v11
	v_fmac_f32_e32 v17, v7, v10
	v_add_f32_e32 v16, v16, v17
	v_mul_f32_e32 v17, v8, v13
	v_fmac_f32_e32 v17, v9, v12
	v_add_f32_e32 v16, v16, v17
	v_add_f32_e32 v17, 0, v58
	;; [unrolled: 1-line block ×5, first 2 shown]
	v_mul_f32_e32 v15, v19, v23
	v_fma_f32 v15, v18, v22, -v15
	v_add_f32_e32 v14, v14, v15
	v_mul_f32_e32 v15, v21, v25
	v_fma_f32 v15, v20, v24, -v15
	v_add_f32_e32 v14, v14, v15
	;; [unrolled: 3-line block ×7, first 2 shown]
	v_mul_f32_e32 v15, v45, v49
	v_fma_f32 v15, v44, v48, -v15
	v_mul_f32_e32 v3, v51, v3
	v_add_f32_e32 v14, v14, v15
	v_fma_f32 v2, v50, v2, -v3
	v_mul_f32_e32 v3, v53, v5
	v_add_f32_e32 v2, v14, v2
	v_fma_f32 v3, v52, v4, -v3
	s_add_i32 s5, s6, s5
	v_add_f32_e32 v2, v2, v3
	v_mul_f32_e32 v3, v7, v11
	s_lshl_b64 s[4:5], s[4:5], 3
	v_fma_f32 v3, v6, v10, -v3
	s_add_u32 s4, s0, s4
	v_add_f32_e32 v2, v2, v3
	v_mul_f32_e32 v3, v9, v13
	s_addc_u32 s5, s1, s5
	s_lshl_b64 s[0:1], s[10:11], 3
	v_fma_f32 v3, v8, v12, -v3
	s_add_u32 s0, s4, s0
	v_add_f32_e32 v2, v2, v3
	v_mul_f32_e32 v3, s24, v16
	v_mul_f32_e32 v4, s25, v16
	s_addc_u32 s1, s5, s1
	v_fmac_f32_e32 v3, s25, v2
	v_fma_f32 v2, s24, v2, -v4
	v_mad_u64_u32 v[4:5], s[4:5], v0, s2, 0
	v_mov_b32_e32 v6, v5
	v_mad_u64_u32 v[6:7], s[2:3], v0, s3, v[6:7]
	v_mov_b32_e32 v5, v6
	v_lshlrev_b64 v[4:5], 3, v[4:5]
	v_mov_b32_e32 v0, s1
	v_add_co_u32_e32 v4, vcc, s0, v4
	v_addc_co_u32_e32 v5, vcc, v0, v5, vcc
	v_add_co_u32_e32 v0, vcc, v4, v1
	v_addc_co_u32_e32 v1, vcc, 0, v5, vcc
	global_store_dwordx2 v[0:1], v[2:3], off
.LBB104_15:
	s_endpgm
	.section	.rodata,"a",@progbits
	.p2align	6, 0x0
	.amdhsa_kernel _ZL23rocblas_trmm_rTx_kernelILi16ELb0E19rocblas_complex_numIfEPKS1_S2_S1_Ev13rocblas_fill_17rocblas_diagonal_iiT2_lPT3_llS8_llPT4_lli
		.amdhsa_group_segment_fixed_size 4096
		.amdhsa_private_segment_fixed_size 0
		.amdhsa_kernarg_size 108
		.amdhsa_user_sgpr_count 6
		.amdhsa_user_sgpr_private_segment_buffer 1
		.amdhsa_user_sgpr_dispatch_ptr 0
		.amdhsa_user_sgpr_queue_ptr 0
		.amdhsa_user_sgpr_kernarg_segment_ptr 1
		.amdhsa_user_sgpr_dispatch_id 0
		.amdhsa_user_sgpr_flat_scratch_init 0
		.amdhsa_user_sgpr_kernarg_preload_length 0
		.amdhsa_user_sgpr_kernarg_preload_offset 0
		.amdhsa_user_sgpr_private_segment_size 0
		.amdhsa_uses_dynamic_stack 0
		.amdhsa_system_sgpr_private_segment_wavefront_offset 0
		.amdhsa_system_sgpr_workgroup_id_x 1
		.amdhsa_system_sgpr_workgroup_id_y 0
		.amdhsa_system_sgpr_workgroup_id_z 1
		.amdhsa_system_sgpr_workgroup_info 0
		.amdhsa_system_vgpr_workitem_id 1
		.amdhsa_next_free_vgpr 60
		.amdhsa_next_free_sgpr 26
		.amdhsa_accum_offset 60
		.amdhsa_reserve_vcc 1
		.amdhsa_reserve_flat_scratch 0
		.amdhsa_float_round_mode_32 0
		.amdhsa_float_round_mode_16_64 0
		.amdhsa_float_denorm_mode_32 3
		.amdhsa_float_denorm_mode_16_64 3
		.amdhsa_dx10_clamp 1
		.amdhsa_ieee_mode 1
		.amdhsa_fp16_overflow 0
		.amdhsa_tg_split 0
		.amdhsa_exception_fp_ieee_invalid_op 0
		.amdhsa_exception_fp_denorm_src 0
		.amdhsa_exception_fp_ieee_div_zero 0
		.amdhsa_exception_fp_ieee_overflow 0
		.amdhsa_exception_fp_ieee_underflow 0
		.amdhsa_exception_fp_ieee_inexact 0
		.amdhsa_exception_int_div_zero 0
	.end_amdhsa_kernel
	.section	.text._ZL23rocblas_trmm_rTx_kernelILi16ELb0E19rocblas_complex_numIfEPKS1_S2_S1_Ev13rocblas_fill_17rocblas_diagonal_iiT2_lPT3_llS8_llPT4_lli,"axG",@progbits,_ZL23rocblas_trmm_rTx_kernelILi16ELb0E19rocblas_complex_numIfEPKS1_S2_S1_Ev13rocblas_fill_17rocblas_diagonal_iiT2_lPT3_llS8_llPT4_lli,comdat
.Lfunc_end104:
	.size	_ZL23rocblas_trmm_rTx_kernelILi16ELb0E19rocblas_complex_numIfEPKS1_S2_S1_Ev13rocblas_fill_17rocblas_diagonal_iiT2_lPT3_llS8_llPT4_lli, .Lfunc_end104-_ZL23rocblas_trmm_rTx_kernelILi16ELb0E19rocblas_complex_numIfEPKS1_S2_S1_Ev13rocblas_fill_17rocblas_diagonal_iiT2_lPT3_llS8_llPT4_lli
                                        ; -- End function
	.section	.AMDGPU.csdata,"",@progbits
; Kernel info:
; codeLenInByte = 1368
; NumSgprs: 30
; NumVgprs: 60
; NumAgprs: 0
; TotalNumVgprs: 60
; ScratchSize: 0
; MemoryBound: 0
; FloatMode: 240
; IeeeMode: 1
; LDSByteSize: 4096 bytes/workgroup (compile time only)
; SGPRBlocks: 3
; VGPRBlocks: 7
; NumSGPRsForWavesPerEU: 30
; NumVGPRsForWavesPerEU: 60
; AccumOffset: 60
; Occupancy: 8
; WaveLimiterHint : 0
; COMPUTE_PGM_RSRC2:SCRATCH_EN: 0
; COMPUTE_PGM_RSRC2:USER_SGPR: 6
; COMPUTE_PGM_RSRC2:TRAP_HANDLER: 0
; COMPUTE_PGM_RSRC2:TGID_X_EN: 1
; COMPUTE_PGM_RSRC2:TGID_Y_EN: 0
; COMPUTE_PGM_RSRC2:TGID_Z_EN: 1
; COMPUTE_PGM_RSRC2:TIDIG_COMP_CNT: 1
; COMPUTE_PGM_RSRC3_GFX90A:ACCUM_OFFSET: 14
; COMPUTE_PGM_RSRC3_GFX90A:TG_SPLIT: 0
	.section	.text._ZL23rocblas_trmm_rTx_kernelILi16ELb0E19rocblas_complex_numIfES1_KS1_S1_Ev13rocblas_fill_17rocblas_diagonal_iiT2_lPT3_llS7_llPT4_lli,"axG",@progbits,_ZL23rocblas_trmm_rTx_kernelILi16ELb0E19rocblas_complex_numIfES1_KS1_S1_Ev13rocblas_fill_17rocblas_diagonal_iiT2_lPT3_llS7_llPT4_lli,comdat
	.globl	_ZL23rocblas_trmm_rTx_kernelILi16ELb0E19rocblas_complex_numIfES1_KS1_S1_Ev13rocblas_fill_17rocblas_diagonal_iiT2_lPT3_llS7_llPT4_lli ; -- Begin function _ZL23rocblas_trmm_rTx_kernelILi16ELb0E19rocblas_complex_numIfES1_KS1_S1_Ev13rocblas_fill_17rocblas_diagonal_iiT2_lPT3_llS7_llPT4_lli
	.p2align	8
	.type	_ZL23rocblas_trmm_rTx_kernelILi16ELb0E19rocblas_complex_numIfES1_KS1_S1_Ev13rocblas_fill_17rocblas_diagonal_iiT2_lPT3_llS7_llPT4_lli,@function
_ZL23rocblas_trmm_rTx_kernelILi16ELb0E19rocblas_complex_numIfES1_KS1_S1_Ev13rocblas_fill_17rocblas_diagonal_iiT2_lPT3_llS7_llPT4_lli: ; @_ZL23rocblas_trmm_rTx_kernelILi16ELb0E19rocblas_complex_numIfES1_KS1_S1_Ev13rocblas_fill_17rocblas_diagonal_iiT2_lPT3_llS7_llPT4_lli
; %bb.0:
	s_load_dwordx2 s[2:3], s[4:5], 0x10
	s_waitcnt lgkmcnt(0)
	v_cmp_neq_f32_e64 s[0:1], s2, 0
	v_cmp_neq_f32_e64 s[8:9], s3, 0
	s_or_b64 s[0:1], s[0:1], s[8:9]
	s_andn2_b64 vcc, exec, s[0:1]
	s_mov_b32 s0, 0
	s_cbranch_vccnz .LBB105_15
; %bb.1:
	s_load_dwordx4 s[24:27], s[4:5], 0x0
	s_load_dwordx16 s[8:23], s[4:5], 0x20
	v_and_b32_e32 v3, 0x3ff, v0
	v_bfe_u32 v0, v0, 10, 10
	s_mov_b32 s1, s0
	v_lshlrev_b32_e32 v1, 4, v0
	v_pk_mov_b32 v[4:5], s[0:1], s[0:1] op_sel:[0,1]
	s_waitcnt lgkmcnt(0)
	v_cmp_gt_i32_e32 vcc, s27, v0
	v_cmp_gt_i32_e64 s[0:1], s27, v3
	v_add_lshl_u32 v2, v1, v3, 3
	s_and_b64 s[0:1], vcc, s[0:1]
	v_lshlrev_b32_e32 v1, 3, v3
	ds_write2st64_b64 v2, v[4:5], v[4:5] offset1:4
	s_and_saveexec_b64 s[28:29], s[0:1]
	s_cbranch_execz .LBB105_3
; %bb.2:
	s_mul_i32 s0, s7, s13
	s_mul_hi_u32 s1, s7, s12
	s_add_i32 s1, s1, s0
	s_mul_i32 s0, s7, s12
	s_lshl_b64 s[0:1], s[0:1], 3
	s_add_u32 s8, s8, s0
	s_addc_u32 s9, s9, s1
	v_mad_u64_u32 v[4:5], s[0:1], v0, s10, 0
	v_mov_b32_e32 v6, v5
	v_mad_u64_u32 v[6:7], s[0:1], v0, s11, v[6:7]
	v_mov_b32_e32 v5, v6
	v_lshlrev_b64 v[4:5], 3, v[4:5]
	v_mov_b32_e32 v6, s9
	v_add_co_u32_e64 v4, s[0:1], s8, v4
	v_addc_co_u32_e64 v5, s[0:1], v6, v5, s[0:1]
	v_add_co_u32_e64 v4, s[0:1], v4, v1
	v_addc_co_u32_e64 v5, s[0:1], 0, v5, s[0:1]
	global_load_dwordx2 v[4:5], v[4:5], off
	s_waitcnt vmcnt(0)
	ds_write_b64 v2, v[4:5]
.LBB105_3:
	s_or_b64 exec, exec, s[28:29]
	s_add_i32 s0, s26, -1
	s_ashr_i32 s1, s0, 31
	s_lshr_b32 s1, s1, 28
	s_add_i32 s0, s0, s1
	s_ashr_i32 s1, s0, 4
	s_and_b32 s0, s0, -16
	s_sub_i32 s0, s26, s0
	s_cmp_ge_i32 s6, s1
	s_cselect_b32 s0, s0, 16
	s_lshl_b32 s8, s6, 4
	v_cmp_gt_i32_e64 s[0:1], s0, v3
	s_ashr_i32 s9, s8, 31
	s_and_b64 s[0:1], vcc, s[0:1]
	s_and_saveexec_b64 s[10:11], s[0:1]
	s_cbranch_execz .LBB105_5
; %bb.4:
	s_mul_i32 s6, s7, s19
	s_mul_hi_u32 s12, s7, s18
	s_add_i32 s13, s12, s6
	s_mul_i32 s12, s7, s18
	s_lshl_b64 s[12:13], s[12:13], 3
	s_add_u32 s6, s14, s12
	s_addc_u32 s14, s15, s13
	s_lshl_b64 s[12:13], s[8:9], 3
	s_add_u32 s6, s6, s12
	s_addc_u32 s14, s14, s13
	v_mad_u64_u32 v[4:5], s[12:13], v0, s16, 0
	v_mov_b32_e32 v6, v5
	v_mad_u64_u32 v[6:7], s[12:13], v0, s17, v[6:7]
	v_mov_b32_e32 v5, v6
	v_lshlrev_b64 v[4:5], 3, v[4:5]
	v_mov_b32_e32 v6, s14
	v_add_co_u32_e32 v4, vcc, s6, v4
	v_addc_co_u32_e32 v5, vcc, v6, v5, vcc
	v_add_co_u32_e32 v4, vcc, v4, v1
	v_addc_co_u32_e32 v5, vcc, 0, v5, vcc
	global_load_dwordx2 v[4:5], v[4:5], off
	v_add_u32_e32 v6, 0x800, v2
	s_waitcnt vmcnt(0)
	ds_write_b64 v6, v[4:5]
.LBB105_5:
	s_or_b64 exec, exec, s[10:11]
	s_cmpk_eq_i32 s25, 0x84
	s_cselect_b64 s[10:11], -1, 0
	v_cmp_eq_u32_e32 vcc, v0, v3
	s_and_b64 s[12:13], vcc, s[10:11]
	s_and_saveexec_b64 s[10:11], s[12:13]
	s_cbranch_execz .LBB105_7
; %bb.6:
	v_mov_b32_e32 v4, 1.0
	v_mov_b32_e32 v5, 0
	ds_write_b64 v2, v[4:5]
.LBB105_7:
	s_or_b64 exec, exec, s[10:11]
	s_cmpk_lg_i32 s24, 0x79
	s_cbranch_scc0 .LBB105_9
; %bb.8:
	v_cmp_lt_u32_e32 vcc, v3, v0
	s_and_b64 s[10:11], vcc, exec
	s_cbranch_execz .LBB105_10
	s_branch .LBB105_11
.LBB105_9:
	s_mov_b64 s[10:11], 0
.LBB105_10:
	v_cmp_gt_u32_e32 vcc, v3, v0
	s_andn2_b64 s[10:11], s[10:11], exec
	s_and_b64 s[12:13], vcc, exec
	s_or_b64 s[10:11], s[10:11], s[12:13]
.LBB105_11:
	s_and_saveexec_b64 s[12:13], s[10:11]
	s_cbranch_execz .LBB105_13
; %bb.12:
	v_mov_b32_e32 v4, 0
	v_mov_b32_e32 v5, v4
	ds_write_b64 v2, v[4:5]
.LBB105_13:
	s_or_b64 exec, exec, s[12:13]
	s_waitcnt lgkmcnt(0)
	s_barrier
	s_and_saveexec_b64 s[10:11], s[0:1]
	s_cbranch_execz .LBB105_15
; %bb.14:
	v_lshlrev_b32_e32 v54, 3, v0
	v_add_u32_e32 v55, 0x800, v1
	ds_read2_b64 v[2:5], v54 offset1:16
	ds_read2_b64 v[6:9], v55 offset1:16
	ds_read2_b64 v[10:13], v54 offset0:32 offset1:48
	ds_read2_b64 v[14:17], v55 offset0:32 offset1:48
	s_load_dwordx2 s[0:1], s[4:5], 0x60
	s_waitcnt lgkmcnt(0)
	v_mul_f32_e32 v18, v2, v7
	v_fmac_f32_e32 v18, v3, v6
	v_mul_f32_e32 v19, v4, v9
	v_add_f32_e32 v18, 0, v18
	v_fmac_f32_e32 v19, v5, v8
	v_mul_f32_e32 v27, v10, v15
	v_add_f32_e32 v26, v18, v19
	v_fmac_f32_e32 v27, v11, v14
	ds_read2_b64 v[18:21], v54 offset0:64 offset1:80
	ds_read2_b64 v[22:25], v55 offset0:64 offset1:80
	v_add_f32_e32 v26, v26, v27
	v_mul_f32_e32 v27, v12, v17
	v_fmac_f32_e32 v27, v13, v16
	v_add_f32_e32 v34, v26, v27
	ds_read2_b64 v[26:29], v54 offset0:96 offset1:112
	ds_read2_b64 v[30:33], v55 offset0:96 offset1:112
	s_waitcnt lgkmcnt(2)
	v_mul_f32_e32 v35, v18, v23
	v_fmac_f32_e32 v35, v19, v22
	v_add_f32_e32 v34, v34, v35
	v_mul_f32_e32 v35, v20, v25
	v_fmac_f32_e32 v35, v21, v24
	s_waitcnt lgkmcnt(0)
	v_mul_f32_e32 v43, v26, v31
	v_add_f32_e32 v42, v34, v35
	v_fmac_f32_e32 v43, v27, v30
	ds_read2_b64 v[34:37], v54 offset0:128 offset1:144
	ds_read2_b64 v[38:41], v55 offset0:128 offset1:144
	v_add_f32_e32 v42, v42, v43
	v_mul_f32_e32 v43, v28, v33
	v_fmac_f32_e32 v43, v29, v32
	v_add_f32_e32 v50, v42, v43
	ds_read2_b64 v[42:45], v54 offset0:160 offset1:176
	ds_read2_b64 v[46:49], v55 offset0:160 offset1:176
	s_waitcnt lgkmcnt(2)
	v_mul_f32_e32 v51, v34, v39
	v_fmac_f32_e32 v51, v35, v38
	v_add_f32_e32 v50, v50, v51
	v_mul_f32_e32 v51, v36, v41
	v_fmac_f32_e32 v51, v37, v40
	s_waitcnt lgkmcnt(0)
	v_mul_f32_e32 v57, v42, v47
	v_mul_f32_e32 v3, v3, v7
	v_add_f32_e32 v56, v50, v51
	v_fmac_f32_e32 v57, v43, v46
	v_fma_f32 v58, v2, v6, -v3
	v_mul_f32_e32 v2, v5, v9
	v_mul_f32_e32 v7, v44, v49
	ds_read2_b64 v[50:53], v54 offset0:192 offset1:208
	v_fma_f32 v59, v4, v8, -v2
	ds_read2_b64 v[2:5], v55 offset0:192 offset1:208
	v_add_f32_e32 v6, v56, v57
	v_fmac_f32_e32 v7, v45, v48
	v_add_f32_e32 v56, v6, v7
	v_mul_f32_e32 v6, v11, v15
	v_fma_f32 v14, v10, v14, -v6
	v_mul_f32_e32 v6, v13, v17
	v_fma_f32 v15, v12, v16, -v6
	ds_read2_b64 v[6:9], v54 offset0:224 offset1:240
	ds_read2_b64 v[10:13], v55 offset0:224 offset1:240
	s_waitcnt lgkmcnt(2)
	v_mul_f32_e32 v57, v50, v3
	v_fmac_f32_e32 v57, v51, v2
	v_mul_f32_e32 v17, v52, v5
	v_add_f32_e32 v16, v56, v57
	v_fmac_f32_e32 v17, v53, v4
	v_add_f32_e32 v16, v16, v17
	s_waitcnt lgkmcnt(0)
	v_mul_f32_e32 v17, v6, v11
	v_fmac_f32_e32 v17, v7, v10
	v_add_f32_e32 v16, v16, v17
	v_mul_f32_e32 v17, v8, v13
	v_fmac_f32_e32 v17, v9, v12
	v_add_f32_e32 v16, v16, v17
	v_add_f32_e32 v17, 0, v58
	;; [unrolled: 1-line block ×5, first 2 shown]
	v_mul_f32_e32 v15, v19, v23
	v_fma_f32 v15, v18, v22, -v15
	v_add_f32_e32 v14, v14, v15
	v_mul_f32_e32 v15, v21, v25
	v_fma_f32 v15, v20, v24, -v15
	v_add_f32_e32 v14, v14, v15
	v_mul_f32_e32 v15, v27, v31
	v_fma_f32 v15, v26, v30, -v15
	v_add_f32_e32 v14, v14, v15
	v_mul_f32_e32 v15, v29, v33
	v_fma_f32 v15, v28, v32, -v15
	v_add_f32_e32 v14, v14, v15
	v_mul_f32_e32 v15, v35, v39
	v_fma_f32 v15, v34, v38, -v15
	v_add_f32_e32 v14, v14, v15
	v_mul_f32_e32 v15, v37, v41
	v_fma_f32 v15, v36, v40, -v15
	v_add_f32_e32 v14, v14, v15
	v_mul_f32_e32 v15, v43, v47
	v_fma_f32 v15, v42, v46, -v15
	v_add_f32_e32 v14, v14, v15
	v_mul_f32_e32 v15, v45, v49
	v_fma_f32 v15, v44, v48, -v15
	v_mul_f32_e32 v3, v51, v3
	v_add_f32_e32 v14, v14, v15
	v_fma_f32 v2, v50, v2, -v3
	v_mul_f32_e32 v3, v53, v5
	v_add_f32_e32 v2, v14, v2
	v_fma_f32 v3, v52, v4, -v3
	v_add_f32_e32 v2, v2, v3
	v_mul_f32_e32 v3, v7, v11
	v_fma_f32 v3, v6, v10, -v3
	v_add_f32_e32 v2, v2, v3
	v_mul_f32_e32 v3, v9, v13
	s_mul_i32 s1, s7, s1
	s_mul_hi_u32 s4, s7, s0
	v_fma_f32 v3, v8, v12, -v3
	s_mul_i32 s0, s7, s0
	s_add_i32 s1, s4, s1
	v_add_f32_e32 v2, v2, v3
	v_mul_f32_e32 v3, s2, v16
	v_mul_f32_e32 v4, s3, v16
	s_lshl_b64 s[0:1], s[0:1], 3
	v_fmac_f32_e32 v3, s3, v2
	v_fma_f32 v2, s2, v2, -v4
	v_mad_u64_u32 v[4:5], s[2:3], v0, s22, 0
	s_add_u32 s4, s20, s0
	v_mov_b32_e32 v6, v5
	s_addc_u32 s5, s21, s1
	s_lshl_b64 s[0:1], s[8:9], 3
	v_mad_u64_u32 v[6:7], s[2:3], v0, s23, v[6:7]
	s_add_u32 s0, s4, s0
	v_mov_b32_e32 v5, v6
	s_addc_u32 s1, s5, s1
	v_lshlrev_b64 v[4:5], 3, v[4:5]
	v_mov_b32_e32 v0, s1
	v_add_co_u32_e32 v4, vcc, s0, v4
	v_addc_co_u32_e32 v5, vcc, v0, v5, vcc
	v_add_co_u32_e32 v0, vcc, v4, v1
	v_addc_co_u32_e32 v1, vcc, 0, v5, vcc
	global_store_dwordx2 v[0:1], v[2:3], off
.LBB105_15:
	s_endpgm
	.section	.rodata,"a",@progbits
	.p2align	6, 0x0
	.amdhsa_kernel _ZL23rocblas_trmm_rTx_kernelILi16ELb0E19rocblas_complex_numIfES1_KS1_S1_Ev13rocblas_fill_17rocblas_diagonal_iiT2_lPT3_llS7_llPT4_lli
		.amdhsa_group_segment_fixed_size 4096
		.amdhsa_private_segment_fixed_size 0
		.amdhsa_kernarg_size 108
		.amdhsa_user_sgpr_count 6
		.amdhsa_user_sgpr_private_segment_buffer 1
		.amdhsa_user_sgpr_dispatch_ptr 0
		.amdhsa_user_sgpr_queue_ptr 0
		.amdhsa_user_sgpr_kernarg_segment_ptr 1
		.amdhsa_user_sgpr_dispatch_id 0
		.amdhsa_user_sgpr_flat_scratch_init 0
		.amdhsa_user_sgpr_kernarg_preload_length 0
		.amdhsa_user_sgpr_kernarg_preload_offset 0
		.amdhsa_user_sgpr_private_segment_size 0
		.amdhsa_uses_dynamic_stack 0
		.amdhsa_system_sgpr_private_segment_wavefront_offset 0
		.amdhsa_system_sgpr_workgroup_id_x 1
		.amdhsa_system_sgpr_workgroup_id_y 0
		.amdhsa_system_sgpr_workgroup_id_z 1
		.amdhsa_system_sgpr_workgroup_info 0
		.amdhsa_system_vgpr_workitem_id 1
		.amdhsa_next_free_vgpr 60
		.amdhsa_next_free_sgpr 30
		.amdhsa_accum_offset 60
		.amdhsa_reserve_vcc 1
		.amdhsa_reserve_flat_scratch 0
		.amdhsa_float_round_mode_32 0
		.amdhsa_float_round_mode_16_64 0
		.amdhsa_float_denorm_mode_32 3
		.amdhsa_float_denorm_mode_16_64 3
		.amdhsa_dx10_clamp 1
		.amdhsa_ieee_mode 1
		.amdhsa_fp16_overflow 0
		.amdhsa_tg_split 0
		.amdhsa_exception_fp_ieee_invalid_op 0
		.amdhsa_exception_fp_denorm_src 0
		.amdhsa_exception_fp_ieee_div_zero 0
		.amdhsa_exception_fp_ieee_overflow 0
		.amdhsa_exception_fp_ieee_underflow 0
		.amdhsa_exception_fp_ieee_inexact 0
		.amdhsa_exception_int_div_zero 0
	.end_amdhsa_kernel
	.section	.text._ZL23rocblas_trmm_rTx_kernelILi16ELb0E19rocblas_complex_numIfES1_KS1_S1_Ev13rocblas_fill_17rocblas_diagonal_iiT2_lPT3_llS7_llPT4_lli,"axG",@progbits,_ZL23rocblas_trmm_rTx_kernelILi16ELb0E19rocblas_complex_numIfES1_KS1_S1_Ev13rocblas_fill_17rocblas_diagonal_iiT2_lPT3_llS7_llPT4_lli,comdat
.Lfunc_end105:
	.size	_ZL23rocblas_trmm_rTx_kernelILi16ELb0E19rocblas_complex_numIfES1_KS1_S1_Ev13rocblas_fill_17rocblas_diagonal_iiT2_lPT3_llS7_llPT4_lli, .Lfunc_end105-_ZL23rocblas_trmm_rTx_kernelILi16ELb0E19rocblas_complex_numIfES1_KS1_S1_Ev13rocblas_fill_17rocblas_diagonal_iiT2_lPT3_llS7_llPT4_lli
                                        ; -- End function
	.section	.AMDGPU.csdata,"",@progbits
; Kernel info:
; codeLenInByte = 1328
; NumSgprs: 34
; NumVgprs: 60
; NumAgprs: 0
; TotalNumVgprs: 60
; ScratchSize: 0
; MemoryBound: 0
; FloatMode: 240
; IeeeMode: 1
; LDSByteSize: 4096 bytes/workgroup (compile time only)
; SGPRBlocks: 4
; VGPRBlocks: 7
; NumSGPRsForWavesPerEU: 34
; NumVGPRsForWavesPerEU: 60
; AccumOffset: 60
; Occupancy: 8
; WaveLimiterHint : 0
; COMPUTE_PGM_RSRC2:SCRATCH_EN: 0
; COMPUTE_PGM_RSRC2:USER_SGPR: 6
; COMPUTE_PGM_RSRC2:TRAP_HANDLER: 0
; COMPUTE_PGM_RSRC2:TGID_X_EN: 1
; COMPUTE_PGM_RSRC2:TGID_Y_EN: 0
; COMPUTE_PGM_RSRC2:TGID_Z_EN: 1
; COMPUTE_PGM_RSRC2:TIDIG_COMP_CNT: 1
; COMPUTE_PGM_RSRC3_GFX90A:ACCUM_OFFSET: 14
; COMPUTE_PGM_RSRC3_GFX90A:TG_SPLIT: 0
	.section	.text._ZL23rocblas_trmm_rTx_kernelILi16ELb1E19rocblas_complex_numIfEPKS1_S2_S1_Ev13rocblas_fill_17rocblas_diagonal_iiT2_lPT3_llS8_llPT4_lli,"axG",@progbits,_ZL23rocblas_trmm_rTx_kernelILi16ELb1E19rocblas_complex_numIfEPKS1_S2_S1_Ev13rocblas_fill_17rocblas_diagonal_iiT2_lPT3_llS8_llPT4_lli,comdat
	.globl	_ZL23rocblas_trmm_rTx_kernelILi16ELb1E19rocblas_complex_numIfEPKS1_S2_S1_Ev13rocblas_fill_17rocblas_diagonal_iiT2_lPT3_llS8_llPT4_lli ; -- Begin function _ZL23rocblas_trmm_rTx_kernelILi16ELb1E19rocblas_complex_numIfEPKS1_S2_S1_Ev13rocblas_fill_17rocblas_diagonal_iiT2_lPT3_llS8_llPT4_lli
	.p2align	8
	.type	_ZL23rocblas_trmm_rTx_kernelILi16ELb1E19rocblas_complex_numIfEPKS1_S2_S1_Ev13rocblas_fill_17rocblas_diagonal_iiT2_lPT3_llS8_llPT4_lli,@function
_ZL23rocblas_trmm_rTx_kernelILi16ELb1E19rocblas_complex_numIfEPKS1_S2_S1_Ev13rocblas_fill_17rocblas_diagonal_iiT2_lPT3_llS8_llPT4_lli: ; @_ZL23rocblas_trmm_rTx_kernelILi16ELb1E19rocblas_complex_numIfEPKS1_S2_S1_Ev13rocblas_fill_17rocblas_diagonal_iiT2_lPT3_llS8_llPT4_lli
; %bb.0:
	s_load_dwordx16 s[8:23], s[4:5], 0x10
	s_waitcnt lgkmcnt(0)
	s_mul_i32 s0, s7, s11
	s_mul_hi_u32 s1, s7, s10
	s_add_i32 s1, s1, s0
	s_mul_i32 s0, s7, s10
	s_lshl_b64 s[0:1], s[0:1], 3
	s_add_u32 s0, s8, s0
	s_addc_u32 s1, s9, s1
	s_load_dwordx2 s[24:25], s[0:1], 0x0
	s_waitcnt lgkmcnt(0)
	v_cmp_neq_f32_e64 s[0:1], s24, 0
	v_cmp_neq_f32_e64 s[2:3], s25, 0
	s_or_b64 s[0:1], s[0:1], s[2:3]
	s_andn2_b64 vcc, exec, s[0:1]
	s_mov_b32 s0, 0
	s_cbranch_vccnz .LBB106_15
; %bb.1:
	s_load_dwordx4 s[8:11], s[4:5], 0x0
	v_and_b32_e32 v3, 0x3ff, v0
	v_bfe_u32 v0, v0, 10, 10
	s_mov_b32 s1, s0
	v_lshlrev_b32_e32 v1, 4, v0
	v_pk_mov_b32 v[4:5], s[0:1], s[0:1] op_sel:[0,1]
	s_waitcnt lgkmcnt(0)
	v_cmp_gt_i32_e32 vcc, s11, v0
	v_cmp_gt_i32_e64 s[0:1], s11, v3
	v_add_lshl_u32 v2, v1, v3, 3
	s_and_b64 s[0:1], vcc, s[0:1]
	v_lshlrev_b32_e32 v1, 3, v3
	ds_write2st64_b64 v2, v[4:5], v[4:5] offset1:4
	s_and_saveexec_b64 s[2:3], s[0:1]
	s_cbranch_execz .LBB106_3
; %bb.2:
	s_mul_i32 s0, s7, s17
	s_mul_hi_u32 s1, s7, s16
	s_add_i32 s1, s1, s0
	s_mul_i32 s0, s7, s16
	s_lshl_b64 s[0:1], s[0:1], 3
	s_add_u32 s11, s12, s0
	s_addc_u32 s12, s13, s1
	v_mad_u64_u32 v[4:5], s[0:1], v0, s14, 0
	v_mov_b32_e32 v6, v5
	v_mad_u64_u32 v[6:7], s[0:1], v0, s15, v[6:7]
	v_mov_b32_e32 v5, v6
	v_lshlrev_b64 v[4:5], 3, v[4:5]
	v_mov_b32_e32 v6, s12
	v_add_co_u32_e64 v4, s[0:1], s11, v4
	v_addc_co_u32_e64 v5, s[0:1], v6, v5, s[0:1]
	v_add_co_u32_e64 v4, s[0:1], v4, v1
	v_addc_co_u32_e64 v5, s[0:1], 0, v5, s[0:1]
	global_load_dwordx2 v[4:5], v[4:5], off
	s_waitcnt vmcnt(0)
	v_xor_b32_e32 v5, 0x80000000, v5
	ds_write_b64 v2, v[4:5]
.LBB106_3:
	s_or_b64 exec, exec, s[2:3]
	s_add_i32 s0, s10, -1
	s_ashr_i32 s1, s0, 31
	s_lshr_b32 s1, s1, 28
	s_add_i32 s0, s0, s1
	s_ashr_i32 s1, s0, 4
	s_and_b32 s0, s0, -16
	s_sub_i32 s0, s10, s0
	s_cmp_ge_i32 s6, s1
	s_cselect_b32 s0, s0, 16
	s_lshl_b32 s10, s6, 4
	v_cmp_gt_i32_e64 s[0:1], s0, v3
	s_ashr_i32 s11, s10, 31
	s_and_b64 s[0:1], vcc, s[0:1]
	s_and_saveexec_b64 s[2:3], s[0:1]
	s_cbranch_execz .LBB106_5
; %bb.4:
	s_mul_i32 s6, s7, s23
	s_mul_hi_u32 s12, s7, s22
	s_add_i32 s13, s12, s6
	s_mul_i32 s12, s7, s22
	s_lshl_b64 s[12:13], s[12:13], 3
	s_add_u32 s6, s18, s12
	s_addc_u32 s14, s19, s13
	s_lshl_b64 s[12:13], s[10:11], 3
	s_add_u32 s6, s6, s12
	s_addc_u32 s14, s14, s13
	v_mad_u64_u32 v[4:5], s[12:13], v0, s20, 0
	v_mov_b32_e32 v6, v5
	v_mad_u64_u32 v[6:7], s[12:13], v0, s21, v[6:7]
	v_mov_b32_e32 v5, v6
	v_lshlrev_b64 v[4:5], 3, v[4:5]
	v_mov_b32_e32 v6, s14
	v_add_co_u32_e32 v4, vcc, s6, v4
	v_addc_co_u32_e32 v5, vcc, v6, v5, vcc
	v_add_co_u32_e32 v4, vcc, v4, v1
	v_addc_co_u32_e32 v5, vcc, 0, v5, vcc
	global_load_dwordx2 v[4:5], v[4:5], off
	v_add_u32_e32 v6, 0x800, v2
	s_waitcnt vmcnt(0)
	ds_write_b64 v6, v[4:5]
.LBB106_5:
	s_or_b64 exec, exec, s[2:3]
	s_cmpk_eq_i32 s9, 0x84
	s_cselect_b64 s[2:3], -1, 0
	v_cmp_eq_u32_e32 vcc, v0, v3
	s_and_b64 s[12:13], vcc, s[2:3]
	s_and_saveexec_b64 s[2:3], s[12:13]
	s_cbranch_execz .LBB106_7
; %bb.6:
	v_mov_b32_e32 v4, 1.0
	v_mov_b32_e32 v5, 0
	ds_write_b64 v2, v[4:5]
.LBB106_7:
	s_or_b64 exec, exec, s[2:3]
	s_cmpk_lg_i32 s8, 0x79
	s_cbranch_scc0 .LBB106_9
; %bb.8:
	v_cmp_lt_u32_e32 vcc, v3, v0
	s_and_b64 s[2:3], vcc, exec
	s_cbranch_execz .LBB106_10
	s_branch .LBB106_11
.LBB106_9:
	s_mov_b64 s[2:3], 0
.LBB106_10:
	v_cmp_gt_u32_e32 vcc, v3, v0
	s_andn2_b64 s[2:3], s[2:3], exec
	s_and_b64 s[8:9], vcc, exec
	s_or_b64 s[2:3], s[2:3], s[8:9]
.LBB106_11:
	s_and_saveexec_b64 s[8:9], s[2:3]
	s_cbranch_execz .LBB106_13
; %bb.12:
	v_mov_b32_e32 v4, 0
	v_mov_b32_e32 v5, v4
	ds_write_b64 v2, v[4:5]
.LBB106_13:
	s_or_b64 exec, exec, s[8:9]
	s_waitcnt lgkmcnt(0)
	s_barrier
	s_and_saveexec_b64 s[2:3], s[0:1]
	s_cbranch_execz .LBB106_15
; %bb.14:
	v_lshlrev_b32_e32 v54, 3, v0
	v_add_u32_e32 v55, 0x800, v1
	s_load_dwordx2 s[8:9], s[4:5], 0x60
	s_load_dwordx4 s[0:3], s[4:5], 0x50
	ds_read2_b64 v[2:5], v54 offset1:16
	ds_read2_b64 v[6:9], v55 offset1:16
	ds_read2_b64 v[10:13], v54 offset0:32 offset1:48
	ds_read2_b64 v[14:17], v55 offset0:32 offset1:48
	s_waitcnt lgkmcnt(0)
	s_mul_i32 s5, s7, s9
	s_mul_hi_u32 s6, s7, s8
	s_mul_i32 s4, s7, s8
	v_mul_f32_e32 v18, v2, v7
	v_fmac_f32_e32 v18, v3, v6
	v_mul_f32_e32 v19, v4, v9
	v_add_f32_e32 v18, 0, v18
	v_fmac_f32_e32 v19, v5, v8
	v_mul_f32_e32 v27, v10, v15
	v_add_f32_e32 v26, v18, v19
	v_fmac_f32_e32 v27, v11, v14
	ds_read2_b64 v[18:21], v54 offset0:64 offset1:80
	ds_read2_b64 v[22:25], v55 offset0:64 offset1:80
	v_add_f32_e32 v26, v26, v27
	v_mul_f32_e32 v27, v12, v17
	v_fmac_f32_e32 v27, v13, v16
	v_add_f32_e32 v34, v26, v27
	ds_read2_b64 v[26:29], v54 offset0:96 offset1:112
	ds_read2_b64 v[30:33], v55 offset0:96 offset1:112
	s_waitcnt lgkmcnt(2)
	v_mul_f32_e32 v35, v18, v23
	v_fmac_f32_e32 v35, v19, v22
	v_add_f32_e32 v34, v34, v35
	v_mul_f32_e32 v35, v20, v25
	v_fmac_f32_e32 v35, v21, v24
	s_waitcnt lgkmcnt(0)
	v_mul_f32_e32 v43, v26, v31
	v_add_f32_e32 v42, v34, v35
	v_fmac_f32_e32 v43, v27, v30
	ds_read2_b64 v[34:37], v54 offset0:128 offset1:144
	ds_read2_b64 v[38:41], v55 offset0:128 offset1:144
	v_add_f32_e32 v42, v42, v43
	v_mul_f32_e32 v43, v28, v33
	v_fmac_f32_e32 v43, v29, v32
	v_add_f32_e32 v50, v42, v43
	ds_read2_b64 v[42:45], v54 offset0:160 offset1:176
	ds_read2_b64 v[46:49], v55 offset0:160 offset1:176
	s_waitcnt lgkmcnt(2)
	v_mul_f32_e32 v51, v34, v39
	v_fmac_f32_e32 v51, v35, v38
	v_add_f32_e32 v50, v50, v51
	v_mul_f32_e32 v51, v36, v41
	v_fmac_f32_e32 v51, v37, v40
	s_waitcnt lgkmcnt(0)
	v_mul_f32_e32 v57, v42, v47
	v_mul_f32_e32 v3, v3, v7
	v_add_f32_e32 v56, v50, v51
	v_fmac_f32_e32 v57, v43, v46
	v_fma_f32 v58, v2, v6, -v3
	v_mul_f32_e32 v2, v5, v9
	v_mul_f32_e32 v7, v44, v49
	ds_read2_b64 v[50:53], v54 offset0:192 offset1:208
	v_fma_f32 v59, v4, v8, -v2
	ds_read2_b64 v[2:5], v55 offset0:192 offset1:208
	v_add_f32_e32 v6, v56, v57
	v_fmac_f32_e32 v7, v45, v48
	v_add_f32_e32 v56, v6, v7
	v_mul_f32_e32 v6, v11, v15
	v_fma_f32 v14, v10, v14, -v6
	v_mul_f32_e32 v6, v13, v17
	v_fma_f32 v15, v12, v16, -v6
	ds_read2_b64 v[6:9], v54 offset0:224 offset1:240
	ds_read2_b64 v[10:13], v55 offset0:224 offset1:240
	s_waitcnt lgkmcnt(2)
	v_mul_f32_e32 v57, v50, v3
	v_fmac_f32_e32 v57, v51, v2
	v_mul_f32_e32 v17, v52, v5
	v_add_f32_e32 v16, v56, v57
	v_fmac_f32_e32 v17, v53, v4
	v_add_f32_e32 v16, v16, v17
	s_waitcnt lgkmcnt(0)
	v_mul_f32_e32 v17, v6, v11
	v_fmac_f32_e32 v17, v7, v10
	v_add_f32_e32 v16, v16, v17
	v_mul_f32_e32 v17, v8, v13
	v_fmac_f32_e32 v17, v9, v12
	v_add_f32_e32 v16, v16, v17
	v_add_f32_e32 v17, 0, v58
	;; [unrolled: 1-line block ×5, first 2 shown]
	v_mul_f32_e32 v15, v19, v23
	v_fma_f32 v15, v18, v22, -v15
	v_add_f32_e32 v14, v14, v15
	v_mul_f32_e32 v15, v21, v25
	v_fma_f32 v15, v20, v24, -v15
	v_add_f32_e32 v14, v14, v15
	;; [unrolled: 3-line block ×7, first 2 shown]
	v_mul_f32_e32 v15, v45, v49
	v_fma_f32 v15, v44, v48, -v15
	v_mul_f32_e32 v3, v51, v3
	v_add_f32_e32 v14, v14, v15
	v_fma_f32 v2, v50, v2, -v3
	v_mul_f32_e32 v3, v53, v5
	v_add_f32_e32 v2, v14, v2
	v_fma_f32 v3, v52, v4, -v3
	s_add_i32 s5, s6, s5
	v_add_f32_e32 v2, v2, v3
	v_mul_f32_e32 v3, v7, v11
	s_lshl_b64 s[4:5], s[4:5], 3
	v_fma_f32 v3, v6, v10, -v3
	s_add_u32 s4, s0, s4
	v_add_f32_e32 v2, v2, v3
	v_mul_f32_e32 v3, v9, v13
	s_addc_u32 s5, s1, s5
	s_lshl_b64 s[0:1], s[10:11], 3
	v_fma_f32 v3, v8, v12, -v3
	s_add_u32 s0, s4, s0
	v_add_f32_e32 v2, v2, v3
	v_mul_f32_e32 v3, s24, v16
	v_mul_f32_e32 v4, s25, v16
	s_addc_u32 s1, s5, s1
	v_fmac_f32_e32 v3, s25, v2
	v_fma_f32 v2, s24, v2, -v4
	v_mad_u64_u32 v[4:5], s[4:5], v0, s2, 0
	v_mov_b32_e32 v6, v5
	v_mad_u64_u32 v[6:7], s[2:3], v0, s3, v[6:7]
	v_mov_b32_e32 v5, v6
	v_lshlrev_b64 v[4:5], 3, v[4:5]
	v_mov_b32_e32 v0, s1
	v_add_co_u32_e32 v4, vcc, s0, v4
	v_addc_co_u32_e32 v5, vcc, v0, v5, vcc
	v_add_co_u32_e32 v0, vcc, v4, v1
	v_addc_co_u32_e32 v1, vcc, 0, v5, vcc
	global_store_dwordx2 v[0:1], v[2:3], off
.LBB106_15:
	s_endpgm
	.section	.rodata,"a",@progbits
	.p2align	6, 0x0
	.amdhsa_kernel _ZL23rocblas_trmm_rTx_kernelILi16ELb1E19rocblas_complex_numIfEPKS1_S2_S1_Ev13rocblas_fill_17rocblas_diagonal_iiT2_lPT3_llS8_llPT4_lli
		.amdhsa_group_segment_fixed_size 4096
		.amdhsa_private_segment_fixed_size 0
		.amdhsa_kernarg_size 108
		.amdhsa_user_sgpr_count 6
		.amdhsa_user_sgpr_private_segment_buffer 1
		.amdhsa_user_sgpr_dispatch_ptr 0
		.amdhsa_user_sgpr_queue_ptr 0
		.amdhsa_user_sgpr_kernarg_segment_ptr 1
		.amdhsa_user_sgpr_dispatch_id 0
		.amdhsa_user_sgpr_flat_scratch_init 0
		.amdhsa_user_sgpr_kernarg_preload_length 0
		.amdhsa_user_sgpr_kernarg_preload_offset 0
		.amdhsa_user_sgpr_private_segment_size 0
		.amdhsa_uses_dynamic_stack 0
		.amdhsa_system_sgpr_private_segment_wavefront_offset 0
		.amdhsa_system_sgpr_workgroup_id_x 1
		.amdhsa_system_sgpr_workgroup_id_y 0
		.amdhsa_system_sgpr_workgroup_id_z 1
		.amdhsa_system_sgpr_workgroup_info 0
		.amdhsa_system_vgpr_workitem_id 1
		.amdhsa_next_free_vgpr 60
		.amdhsa_next_free_sgpr 26
		.amdhsa_accum_offset 60
		.amdhsa_reserve_vcc 1
		.amdhsa_reserve_flat_scratch 0
		.amdhsa_float_round_mode_32 0
		.amdhsa_float_round_mode_16_64 0
		.amdhsa_float_denorm_mode_32 3
		.amdhsa_float_denorm_mode_16_64 3
		.amdhsa_dx10_clamp 1
		.amdhsa_ieee_mode 1
		.amdhsa_fp16_overflow 0
		.amdhsa_tg_split 0
		.amdhsa_exception_fp_ieee_invalid_op 0
		.amdhsa_exception_fp_denorm_src 0
		.amdhsa_exception_fp_ieee_div_zero 0
		.amdhsa_exception_fp_ieee_overflow 0
		.amdhsa_exception_fp_ieee_underflow 0
		.amdhsa_exception_fp_ieee_inexact 0
		.amdhsa_exception_int_div_zero 0
	.end_amdhsa_kernel
	.section	.text._ZL23rocblas_trmm_rTx_kernelILi16ELb1E19rocblas_complex_numIfEPKS1_S2_S1_Ev13rocblas_fill_17rocblas_diagonal_iiT2_lPT3_llS8_llPT4_lli,"axG",@progbits,_ZL23rocblas_trmm_rTx_kernelILi16ELb1E19rocblas_complex_numIfEPKS1_S2_S1_Ev13rocblas_fill_17rocblas_diagonal_iiT2_lPT3_llS8_llPT4_lli,comdat
.Lfunc_end106:
	.size	_ZL23rocblas_trmm_rTx_kernelILi16ELb1E19rocblas_complex_numIfEPKS1_S2_S1_Ev13rocblas_fill_17rocblas_diagonal_iiT2_lPT3_llS8_llPT4_lli, .Lfunc_end106-_ZL23rocblas_trmm_rTx_kernelILi16ELb1E19rocblas_complex_numIfEPKS1_S2_S1_Ev13rocblas_fill_17rocblas_diagonal_iiT2_lPT3_llS8_llPT4_lli
                                        ; -- End function
	.section	.AMDGPU.csdata,"",@progbits
; Kernel info:
; codeLenInByte = 1376
; NumSgprs: 30
; NumVgprs: 60
; NumAgprs: 0
; TotalNumVgprs: 60
; ScratchSize: 0
; MemoryBound: 0
; FloatMode: 240
; IeeeMode: 1
; LDSByteSize: 4096 bytes/workgroup (compile time only)
; SGPRBlocks: 3
; VGPRBlocks: 7
; NumSGPRsForWavesPerEU: 30
; NumVGPRsForWavesPerEU: 60
; AccumOffset: 60
; Occupancy: 8
; WaveLimiterHint : 0
; COMPUTE_PGM_RSRC2:SCRATCH_EN: 0
; COMPUTE_PGM_RSRC2:USER_SGPR: 6
; COMPUTE_PGM_RSRC2:TRAP_HANDLER: 0
; COMPUTE_PGM_RSRC2:TGID_X_EN: 1
; COMPUTE_PGM_RSRC2:TGID_Y_EN: 0
; COMPUTE_PGM_RSRC2:TGID_Z_EN: 1
; COMPUTE_PGM_RSRC2:TIDIG_COMP_CNT: 1
; COMPUTE_PGM_RSRC3_GFX90A:ACCUM_OFFSET: 14
; COMPUTE_PGM_RSRC3_GFX90A:TG_SPLIT: 0
	.section	.text._ZL23rocblas_trmm_rTx_kernelILi16ELb1E19rocblas_complex_numIfES1_KS1_S1_Ev13rocblas_fill_17rocblas_diagonal_iiT2_lPT3_llS7_llPT4_lli,"axG",@progbits,_ZL23rocblas_trmm_rTx_kernelILi16ELb1E19rocblas_complex_numIfES1_KS1_S1_Ev13rocblas_fill_17rocblas_diagonal_iiT2_lPT3_llS7_llPT4_lli,comdat
	.globl	_ZL23rocblas_trmm_rTx_kernelILi16ELb1E19rocblas_complex_numIfES1_KS1_S1_Ev13rocblas_fill_17rocblas_diagonal_iiT2_lPT3_llS7_llPT4_lli ; -- Begin function _ZL23rocblas_trmm_rTx_kernelILi16ELb1E19rocblas_complex_numIfES1_KS1_S1_Ev13rocblas_fill_17rocblas_diagonal_iiT2_lPT3_llS7_llPT4_lli
	.p2align	8
	.type	_ZL23rocblas_trmm_rTx_kernelILi16ELb1E19rocblas_complex_numIfES1_KS1_S1_Ev13rocblas_fill_17rocblas_diagonal_iiT2_lPT3_llS7_llPT4_lli,@function
_ZL23rocblas_trmm_rTx_kernelILi16ELb1E19rocblas_complex_numIfES1_KS1_S1_Ev13rocblas_fill_17rocblas_diagonal_iiT2_lPT3_llS7_llPT4_lli: ; @_ZL23rocblas_trmm_rTx_kernelILi16ELb1E19rocblas_complex_numIfES1_KS1_S1_Ev13rocblas_fill_17rocblas_diagonal_iiT2_lPT3_llS7_llPT4_lli
; %bb.0:
	s_load_dwordx2 s[2:3], s[4:5], 0x10
	s_waitcnt lgkmcnt(0)
	v_cmp_neq_f32_e64 s[0:1], s2, 0
	v_cmp_neq_f32_e64 s[8:9], s3, 0
	s_or_b64 s[0:1], s[0:1], s[8:9]
	s_andn2_b64 vcc, exec, s[0:1]
	s_mov_b32 s0, 0
	s_cbranch_vccnz .LBB107_15
; %bb.1:
	s_load_dwordx4 s[24:27], s[4:5], 0x0
	s_load_dwordx16 s[8:23], s[4:5], 0x20
	v_and_b32_e32 v3, 0x3ff, v0
	v_bfe_u32 v0, v0, 10, 10
	s_mov_b32 s1, s0
	v_lshlrev_b32_e32 v1, 4, v0
	v_pk_mov_b32 v[4:5], s[0:1], s[0:1] op_sel:[0,1]
	s_waitcnt lgkmcnt(0)
	v_cmp_gt_i32_e32 vcc, s27, v0
	v_cmp_gt_i32_e64 s[0:1], s27, v3
	v_add_lshl_u32 v2, v1, v3, 3
	s_and_b64 s[0:1], vcc, s[0:1]
	v_lshlrev_b32_e32 v1, 3, v3
	ds_write2st64_b64 v2, v[4:5], v[4:5] offset1:4
	s_and_saveexec_b64 s[28:29], s[0:1]
	s_cbranch_execz .LBB107_3
; %bb.2:
	s_mul_i32 s0, s7, s13
	s_mul_hi_u32 s1, s7, s12
	s_add_i32 s1, s1, s0
	s_mul_i32 s0, s7, s12
	s_lshl_b64 s[0:1], s[0:1], 3
	s_add_u32 s8, s8, s0
	s_addc_u32 s9, s9, s1
	v_mad_u64_u32 v[4:5], s[0:1], v0, s10, 0
	v_mov_b32_e32 v6, v5
	v_mad_u64_u32 v[6:7], s[0:1], v0, s11, v[6:7]
	v_mov_b32_e32 v5, v6
	v_lshlrev_b64 v[4:5], 3, v[4:5]
	v_mov_b32_e32 v6, s9
	v_add_co_u32_e64 v4, s[0:1], s8, v4
	v_addc_co_u32_e64 v5, s[0:1], v6, v5, s[0:1]
	v_add_co_u32_e64 v4, s[0:1], v4, v1
	v_addc_co_u32_e64 v5, s[0:1], 0, v5, s[0:1]
	global_load_dwordx2 v[4:5], v[4:5], off
	s_waitcnt vmcnt(0)
	v_xor_b32_e32 v5, 0x80000000, v5
	ds_write_b64 v2, v[4:5]
.LBB107_3:
	s_or_b64 exec, exec, s[28:29]
	s_add_i32 s0, s26, -1
	s_ashr_i32 s1, s0, 31
	s_lshr_b32 s1, s1, 28
	s_add_i32 s0, s0, s1
	s_ashr_i32 s1, s0, 4
	s_and_b32 s0, s0, -16
	s_sub_i32 s0, s26, s0
	s_cmp_ge_i32 s6, s1
	s_cselect_b32 s0, s0, 16
	s_lshl_b32 s8, s6, 4
	v_cmp_gt_i32_e64 s[0:1], s0, v3
	s_ashr_i32 s9, s8, 31
	s_and_b64 s[0:1], vcc, s[0:1]
	s_and_saveexec_b64 s[10:11], s[0:1]
	s_cbranch_execz .LBB107_5
; %bb.4:
	s_mul_i32 s6, s7, s19
	s_mul_hi_u32 s12, s7, s18
	s_add_i32 s13, s12, s6
	s_mul_i32 s12, s7, s18
	s_lshl_b64 s[12:13], s[12:13], 3
	s_add_u32 s6, s14, s12
	s_addc_u32 s14, s15, s13
	s_lshl_b64 s[12:13], s[8:9], 3
	s_add_u32 s6, s6, s12
	s_addc_u32 s14, s14, s13
	v_mad_u64_u32 v[4:5], s[12:13], v0, s16, 0
	v_mov_b32_e32 v6, v5
	v_mad_u64_u32 v[6:7], s[12:13], v0, s17, v[6:7]
	v_mov_b32_e32 v5, v6
	v_lshlrev_b64 v[4:5], 3, v[4:5]
	v_mov_b32_e32 v6, s14
	v_add_co_u32_e32 v4, vcc, s6, v4
	v_addc_co_u32_e32 v5, vcc, v6, v5, vcc
	v_add_co_u32_e32 v4, vcc, v4, v1
	v_addc_co_u32_e32 v5, vcc, 0, v5, vcc
	global_load_dwordx2 v[4:5], v[4:5], off
	v_add_u32_e32 v6, 0x800, v2
	s_waitcnt vmcnt(0)
	ds_write_b64 v6, v[4:5]
.LBB107_5:
	s_or_b64 exec, exec, s[10:11]
	s_cmpk_eq_i32 s25, 0x84
	s_cselect_b64 s[10:11], -1, 0
	v_cmp_eq_u32_e32 vcc, v0, v3
	s_and_b64 s[12:13], vcc, s[10:11]
	s_and_saveexec_b64 s[10:11], s[12:13]
	s_cbranch_execz .LBB107_7
; %bb.6:
	v_mov_b32_e32 v4, 1.0
	v_mov_b32_e32 v5, 0
	ds_write_b64 v2, v[4:5]
.LBB107_7:
	s_or_b64 exec, exec, s[10:11]
	s_cmpk_lg_i32 s24, 0x79
	s_cbranch_scc0 .LBB107_9
; %bb.8:
	v_cmp_lt_u32_e32 vcc, v3, v0
	s_and_b64 s[10:11], vcc, exec
	s_cbranch_execz .LBB107_10
	s_branch .LBB107_11
.LBB107_9:
	s_mov_b64 s[10:11], 0
.LBB107_10:
	v_cmp_gt_u32_e32 vcc, v3, v0
	s_andn2_b64 s[10:11], s[10:11], exec
	s_and_b64 s[12:13], vcc, exec
	s_or_b64 s[10:11], s[10:11], s[12:13]
.LBB107_11:
	s_and_saveexec_b64 s[12:13], s[10:11]
	s_cbranch_execz .LBB107_13
; %bb.12:
	v_mov_b32_e32 v4, 0
	v_mov_b32_e32 v5, v4
	ds_write_b64 v2, v[4:5]
.LBB107_13:
	s_or_b64 exec, exec, s[12:13]
	s_waitcnt lgkmcnt(0)
	s_barrier
	s_and_saveexec_b64 s[10:11], s[0:1]
	s_cbranch_execz .LBB107_15
; %bb.14:
	v_lshlrev_b32_e32 v54, 3, v0
	v_add_u32_e32 v55, 0x800, v1
	ds_read2_b64 v[2:5], v54 offset1:16
	ds_read2_b64 v[6:9], v55 offset1:16
	ds_read2_b64 v[10:13], v54 offset0:32 offset1:48
	ds_read2_b64 v[14:17], v55 offset0:32 offset1:48
	s_load_dwordx2 s[0:1], s[4:5], 0x60
	s_waitcnt lgkmcnt(0)
	v_mul_f32_e32 v18, v2, v7
	v_fmac_f32_e32 v18, v3, v6
	v_mul_f32_e32 v19, v4, v9
	v_add_f32_e32 v18, 0, v18
	v_fmac_f32_e32 v19, v5, v8
	v_mul_f32_e32 v27, v10, v15
	v_add_f32_e32 v26, v18, v19
	v_fmac_f32_e32 v27, v11, v14
	ds_read2_b64 v[18:21], v54 offset0:64 offset1:80
	ds_read2_b64 v[22:25], v55 offset0:64 offset1:80
	v_add_f32_e32 v26, v26, v27
	v_mul_f32_e32 v27, v12, v17
	v_fmac_f32_e32 v27, v13, v16
	v_add_f32_e32 v34, v26, v27
	ds_read2_b64 v[26:29], v54 offset0:96 offset1:112
	ds_read2_b64 v[30:33], v55 offset0:96 offset1:112
	s_waitcnt lgkmcnt(2)
	v_mul_f32_e32 v35, v18, v23
	v_fmac_f32_e32 v35, v19, v22
	v_add_f32_e32 v34, v34, v35
	v_mul_f32_e32 v35, v20, v25
	v_fmac_f32_e32 v35, v21, v24
	s_waitcnt lgkmcnt(0)
	v_mul_f32_e32 v43, v26, v31
	v_add_f32_e32 v42, v34, v35
	v_fmac_f32_e32 v43, v27, v30
	ds_read2_b64 v[34:37], v54 offset0:128 offset1:144
	ds_read2_b64 v[38:41], v55 offset0:128 offset1:144
	v_add_f32_e32 v42, v42, v43
	v_mul_f32_e32 v43, v28, v33
	v_fmac_f32_e32 v43, v29, v32
	v_add_f32_e32 v50, v42, v43
	ds_read2_b64 v[42:45], v54 offset0:160 offset1:176
	ds_read2_b64 v[46:49], v55 offset0:160 offset1:176
	s_waitcnt lgkmcnt(2)
	v_mul_f32_e32 v51, v34, v39
	v_fmac_f32_e32 v51, v35, v38
	v_add_f32_e32 v50, v50, v51
	v_mul_f32_e32 v51, v36, v41
	v_fmac_f32_e32 v51, v37, v40
	s_waitcnt lgkmcnt(0)
	v_mul_f32_e32 v57, v42, v47
	v_mul_f32_e32 v3, v3, v7
	v_add_f32_e32 v56, v50, v51
	v_fmac_f32_e32 v57, v43, v46
	v_fma_f32 v58, v2, v6, -v3
	v_mul_f32_e32 v2, v5, v9
	v_mul_f32_e32 v7, v44, v49
	ds_read2_b64 v[50:53], v54 offset0:192 offset1:208
	v_fma_f32 v59, v4, v8, -v2
	ds_read2_b64 v[2:5], v55 offset0:192 offset1:208
	v_add_f32_e32 v6, v56, v57
	v_fmac_f32_e32 v7, v45, v48
	v_add_f32_e32 v56, v6, v7
	v_mul_f32_e32 v6, v11, v15
	v_fma_f32 v14, v10, v14, -v6
	v_mul_f32_e32 v6, v13, v17
	v_fma_f32 v15, v12, v16, -v6
	ds_read2_b64 v[6:9], v54 offset0:224 offset1:240
	ds_read2_b64 v[10:13], v55 offset0:224 offset1:240
	s_waitcnt lgkmcnt(2)
	v_mul_f32_e32 v57, v50, v3
	v_fmac_f32_e32 v57, v51, v2
	v_mul_f32_e32 v17, v52, v5
	v_add_f32_e32 v16, v56, v57
	v_fmac_f32_e32 v17, v53, v4
	v_add_f32_e32 v16, v16, v17
	s_waitcnt lgkmcnt(0)
	v_mul_f32_e32 v17, v6, v11
	v_fmac_f32_e32 v17, v7, v10
	v_add_f32_e32 v16, v16, v17
	v_mul_f32_e32 v17, v8, v13
	v_fmac_f32_e32 v17, v9, v12
	v_add_f32_e32 v16, v16, v17
	v_add_f32_e32 v17, 0, v58
	;; [unrolled: 1-line block ×5, first 2 shown]
	v_mul_f32_e32 v15, v19, v23
	v_fma_f32 v15, v18, v22, -v15
	v_add_f32_e32 v14, v14, v15
	v_mul_f32_e32 v15, v21, v25
	v_fma_f32 v15, v20, v24, -v15
	v_add_f32_e32 v14, v14, v15
	;; [unrolled: 3-line block ×7, first 2 shown]
	v_mul_f32_e32 v15, v45, v49
	v_fma_f32 v15, v44, v48, -v15
	v_mul_f32_e32 v3, v51, v3
	v_add_f32_e32 v14, v14, v15
	v_fma_f32 v2, v50, v2, -v3
	v_mul_f32_e32 v3, v53, v5
	v_add_f32_e32 v2, v14, v2
	v_fma_f32 v3, v52, v4, -v3
	v_add_f32_e32 v2, v2, v3
	v_mul_f32_e32 v3, v7, v11
	v_fma_f32 v3, v6, v10, -v3
	v_add_f32_e32 v2, v2, v3
	v_mul_f32_e32 v3, v9, v13
	s_mul_i32 s1, s7, s1
	s_mul_hi_u32 s4, s7, s0
	v_fma_f32 v3, v8, v12, -v3
	s_mul_i32 s0, s7, s0
	s_add_i32 s1, s4, s1
	v_add_f32_e32 v2, v2, v3
	v_mul_f32_e32 v3, s2, v16
	v_mul_f32_e32 v4, s3, v16
	s_lshl_b64 s[0:1], s[0:1], 3
	v_fmac_f32_e32 v3, s3, v2
	v_fma_f32 v2, s2, v2, -v4
	v_mad_u64_u32 v[4:5], s[2:3], v0, s22, 0
	s_add_u32 s4, s20, s0
	v_mov_b32_e32 v6, v5
	s_addc_u32 s5, s21, s1
	s_lshl_b64 s[0:1], s[8:9], 3
	v_mad_u64_u32 v[6:7], s[2:3], v0, s23, v[6:7]
	s_add_u32 s0, s4, s0
	v_mov_b32_e32 v5, v6
	s_addc_u32 s1, s5, s1
	v_lshlrev_b64 v[4:5], 3, v[4:5]
	v_mov_b32_e32 v0, s1
	v_add_co_u32_e32 v4, vcc, s0, v4
	v_addc_co_u32_e32 v5, vcc, v0, v5, vcc
	v_add_co_u32_e32 v0, vcc, v4, v1
	v_addc_co_u32_e32 v1, vcc, 0, v5, vcc
	global_store_dwordx2 v[0:1], v[2:3], off
.LBB107_15:
	s_endpgm
	.section	.rodata,"a",@progbits
	.p2align	6, 0x0
	.amdhsa_kernel _ZL23rocblas_trmm_rTx_kernelILi16ELb1E19rocblas_complex_numIfES1_KS1_S1_Ev13rocblas_fill_17rocblas_diagonal_iiT2_lPT3_llS7_llPT4_lli
		.amdhsa_group_segment_fixed_size 4096
		.amdhsa_private_segment_fixed_size 0
		.amdhsa_kernarg_size 108
		.amdhsa_user_sgpr_count 6
		.amdhsa_user_sgpr_private_segment_buffer 1
		.amdhsa_user_sgpr_dispatch_ptr 0
		.amdhsa_user_sgpr_queue_ptr 0
		.amdhsa_user_sgpr_kernarg_segment_ptr 1
		.amdhsa_user_sgpr_dispatch_id 0
		.amdhsa_user_sgpr_flat_scratch_init 0
		.amdhsa_user_sgpr_kernarg_preload_length 0
		.amdhsa_user_sgpr_kernarg_preload_offset 0
		.amdhsa_user_sgpr_private_segment_size 0
		.amdhsa_uses_dynamic_stack 0
		.amdhsa_system_sgpr_private_segment_wavefront_offset 0
		.amdhsa_system_sgpr_workgroup_id_x 1
		.amdhsa_system_sgpr_workgroup_id_y 0
		.amdhsa_system_sgpr_workgroup_id_z 1
		.amdhsa_system_sgpr_workgroup_info 0
		.amdhsa_system_vgpr_workitem_id 1
		.amdhsa_next_free_vgpr 60
		.amdhsa_next_free_sgpr 30
		.amdhsa_accum_offset 60
		.amdhsa_reserve_vcc 1
		.amdhsa_reserve_flat_scratch 0
		.amdhsa_float_round_mode_32 0
		.amdhsa_float_round_mode_16_64 0
		.amdhsa_float_denorm_mode_32 3
		.amdhsa_float_denorm_mode_16_64 3
		.amdhsa_dx10_clamp 1
		.amdhsa_ieee_mode 1
		.amdhsa_fp16_overflow 0
		.amdhsa_tg_split 0
		.amdhsa_exception_fp_ieee_invalid_op 0
		.amdhsa_exception_fp_denorm_src 0
		.amdhsa_exception_fp_ieee_div_zero 0
		.amdhsa_exception_fp_ieee_overflow 0
		.amdhsa_exception_fp_ieee_underflow 0
		.amdhsa_exception_fp_ieee_inexact 0
		.amdhsa_exception_int_div_zero 0
	.end_amdhsa_kernel
	.section	.text._ZL23rocblas_trmm_rTx_kernelILi16ELb1E19rocblas_complex_numIfES1_KS1_S1_Ev13rocblas_fill_17rocblas_diagonal_iiT2_lPT3_llS7_llPT4_lli,"axG",@progbits,_ZL23rocblas_trmm_rTx_kernelILi16ELb1E19rocblas_complex_numIfES1_KS1_S1_Ev13rocblas_fill_17rocblas_diagonal_iiT2_lPT3_llS7_llPT4_lli,comdat
.Lfunc_end107:
	.size	_ZL23rocblas_trmm_rTx_kernelILi16ELb1E19rocblas_complex_numIfES1_KS1_S1_Ev13rocblas_fill_17rocblas_diagonal_iiT2_lPT3_llS7_llPT4_lli, .Lfunc_end107-_ZL23rocblas_trmm_rTx_kernelILi16ELb1E19rocblas_complex_numIfES1_KS1_S1_Ev13rocblas_fill_17rocblas_diagonal_iiT2_lPT3_llS7_llPT4_lli
                                        ; -- End function
	.section	.AMDGPU.csdata,"",@progbits
; Kernel info:
; codeLenInByte = 1336
; NumSgprs: 34
; NumVgprs: 60
; NumAgprs: 0
; TotalNumVgprs: 60
; ScratchSize: 0
; MemoryBound: 0
; FloatMode: 240
; IeeeMode: 1
; LDSByteSize: 4096 bytes/workgroup (compile time only)
; SGPRBlocks: 4
; VGPRBlocks: 7
; NumSGPRsForWavesPerEU: 34
; NumVGPRsForWavesPerEU: 60
; AccumOffset: 60
; Occupancy: 8
; WaveLimiterHint : 0
; COMPUTE_PGM_RSRC2:SCRATCH_EN: 0
; COMPUTE_PGM_RSRC2:USER_SGPR: 6
; COMPUTE_PGM_RSRC2:TRAP_HANDLER: 0
; COMPUTE_PGM_RSRC2:TGID_X_EN: 1
; COMPUTE_PGM_RSRC2:TGID_Y_EN: 0
; COMPUTE_PGM_RSRC2:TGID_Z_EN: 1
; COMPUTE_PGM_RSRC2:TIDIG_COMP_CNT: 1
; COMPUTE_PGM_RSRC3_GFX90A:ACCUM_OFFSET: 14
; COMPUTE_PGM_RSRC3_GFX90A:TG_SPLIT: 0
	.section	.text._ZL30rocblas_trmm_outofplace_kernelI19rocblas_complex_numIdELi32ELi2ELb1ELb0ELb0ELb0EPKS1_S2_S1_Ev17rocblas_diagonal_iiT6_lPT7_lllS7_lllPT8_llli,"axG",@progbits,_ZL30rocblas_trmm_outofplace_kernelI19rocblas_complex_numIdELi32ELi2ELb1ELb0ELb0ELb0EPKS1_S2_S1_Ev17rocblas_diagonal_iiT6_lPT7_lllS7_lllPT8_llli,comdat
	.globl	_ZL30rocblas_trmm_outofplace_kernelI19rocblas_complex_numIdELi32ELi2ELb1ELb0ELb0ELb0EPKS1_S2_S1_Ev17rocblas_diagonal_iiT6_lPT7_lllS7_lllPT8_llli ; -- Begin function _ZL30rocblas_trmm_outofplace_kernelI19rocblas_complex_numIdELi32ELi2ELb1ELb0ELb0ELb0EPKS1_S2_S1_Ev17rocblas_diagonal_iiT6_lPT7_lllS7_lllPT8_llli
	.p2align	8
	.type	_ZL30rocblas_trmm_outofplace_kernelI19rocblas_complex_numIdELi32ELi2ELb1ELb0ELb0ELb0EPKS1_S2_S1_Ev17rocblas_diagonal_iiT6_lPT7_lllS7_lllPT8_llli,@function
_ZL30rocblas_trmm_outofplace_kernelI19rocblas_complex_numIdELi32ELi2ELb1ELb0ELb0ELb0EPKS1_S2_S1_Ev17rocblas_diagonal_iiT6_lPT7_lllS7_lllPT8_llli: ; @_ZL30rocblas_trmm_outofplace_kernelI19rocblas_complex_numIdELi32ELi2ELb1ELb0ELb0ELb0EPKS1_S2_S1_Ev17rocblas_diagonal_iiT6_lPT7_lllS7_lllPT8_llli
; %bb.0:
	s_load_dwordx16 s[12:27], s[4:5], 0x10
	s_waitcnt lgkmcnt(0)
	s_mul_i32 s0, s8, s15
	s_mul_hi_u32 s1, s8, s14
	s_add_i32 s1, s1, s0
	s_mul_i32 s0, s8, s14
	s_lshl_b64 s[0:1], s[0:1], 4
	s_add_u32 s0, s12, s0
	s_addc_u32 s1, s13, s1
	s_load_dwordx4 s[28:31], s[0:1], 0x0
	s_waitcnt lgkmcnt(0)
	v_cmp_eq_f64_e64 s[0:1], s[28:29], 0
	v_cmp_eq_f64_e64 s[2:3], s[30:31], 0
	s_and_b64 s[0:1], s[0:1], s[2:3]
	s_and_b64 vcc, exec, s[0:1]
	s_cbranch_vccnz .LBB108_63
; %bb.1:
	s_load_dwordx4 s[44:47], s[4:5], 0x0
	s_waitcnt lgkmcnt(0)
	s_add_i32 s0, s46, -1
	s_ashr_i32 s1, s0, 31
	s_lshr_b32 s1, s1, 27
	s_add_i32 s0, s0, s1
	s_ashr_i32 s33, s0, 5
	s_cmp_gt_i32 s7, s33
	s_cbranch_scc1 .LBB108_63
; %bb.2:
	s_load_dwordx4 s[48:51], s[4:5], 0x70
	s_load_dwordx8 s[36:43], s[4:5], 0x50
	s_load_dword s47, s[4:5], 0x8c
	v_bfe_u32 v16, v0, 10, 10
	v_and_b32_e32 v0, 0x3ff, v0
	v_lshlrev_b32_e32 v3, 9, v16
	s_waitcnt lgkmcnt(0)
	s_mul_i32 s0, s8, s51
	s_mul_hi_u32 s1, s8, s50
	s_add_i32 s1, s1, s0
	s_mul_i32 s0, s8, s50
	s_lshl_b64 s[0:1], s[0:1], 4
	s_add_u32 s2, s40, s0
	s_addc_u32 s3, s41, s1
	s_lshl_b64 s[0:1], s[42:43], 4
	s_add_u32 s54, s2, s0
	s_addc_u32 s55, s3, s1
	s_lshl_b32 s56, s6, 5
	s_cmp_gt_i32 s6, -1
	v_add_u32_e32 v18, s56, v0
	s_cselect_b64 s[34:35], -1, 0
	s_cmpk_eq_i32 s44, 0x84
	v_ashrrev_i32_e32 v19, 31, v18
	s_cselect_b64 s[40:41], -1, 0
	s_ashr_i32 s43, s45, 31
	s_ashr_i32 s6, s46, 31
	s_lshl_b64 s[50:51], s[20:21], 9
	v_add_co_u32_e32 v20, vcc, 16, v18
	v_addc_co_u32_e32 v21, vcc, 0, v19, vcc
	s_add_u32 s52, s45, -16
	s_mul_i32 s9, s39, s8
	s_mul_hi_u32 s10, s38, s8
	s_addc_u32 s53, s43, -1
	v_sub_co_u32_e32 v24, vcc, v18, v16
	s_add_i32 s11, s10, s9
	s_mul_i32 s10, s38, s8
	v_subbrev_co_u32_e32 v25, vcc, 0, v19, vcc
	s_lshl_b64 s[10:11], s[10:11], 4
	s_lshl_b64 s[12:13], s[26:27], 4
	v_add_co_u32_e32 v26, vcc, 16, v24
	s_add_u32 s9, s10, s12
	v_addc_co_u32_e32 v27, vcc, 0, v25, vcc
	s_addc_u32 s10, s11, s13
	v_add_co_u32_e32 v28, vcc, -16, v24
	s_add_u32 s9, s24, s9
	v_lshlrev_b32_e32 v1, 4, v0
	v_addc_co_u32_e32 v29, vcc, -1, v25, vcc
	s_addc_u32 s10, s25, s10
	v_add_u32_e32 v17, v1, v3
	v_add_u32_e32 v67, 0x4000, v3
	v_mov_b32_e32 v3, s10
	v_add_co_u32_e32 v4, vcc, s9, v1
	s_movk_i32 s57, 0x100
	v_addc_co_u32_e32 v3, vcc, 0, v3, vcc
	s_mul_i32 s9, s23, s8
	s_mul_hi_u32 s10, s22, s8
	v_add_co_u32_e32 v30, vcc, s57, v4
	s_add_i32 s9, s10, s9
	v_mad_u64_u32 v[4:5], s[10:11], s20, v16, 0
	v_mov_b32_e32 v6, v5
	s_mul_i32 s8, s22, s8
	v_mad_u64_u32 v[6:7], s[10:11], s21, v16, v[6:7]
	s_lshl_b64 s[24:25], s[36:37], 4
	s_lshl_b32 s44, s47, 5
	s_lshl_b64 s[8:9], s[8:9], 4
	s_lshl_b64 s[10:11], s[18:19], 4
	s_add_u32 s10, s16, s10
	s_addc_u32 s11, s17, s11
	v_mov_b32_e32 v5, v6
	s_add_u32 s8, s10, s8
	v_addc_co_u32_e32 v31, vcc, 0, v3, vcc
	v_lshlrev_b64 v[4:5], 4, v[4:5]
	s_addc_u32 s9, s11, s9
	v_mov_b32_e32 v3, s9
	v_add_co_u32_e32 v4, vcc, s8, v4
	v_addc_co_u32_e32 v3, vcc, v3, v5, vcc
	v_add_co_u32_e32 v36, vcc, s57, v4
	v_addc_co_u32_e32 v37, vcc, 0, v3, vcc
	v_mov_b32_e32 v3, 0x100
	v_lshl_add_u32 v3, v16, 4, v3
	v_pk_mov_b32 v[4:5], s[8:9], s[8:9] op_sel:[0,1]
	v_mad_u64_u32 v[38:39], s[8:9], s20, v3, v[4:5]
	v_mov_b32_e32 v4, v39
	s_mov_b32 s42, s45
	v_add_u32_e32 v68, v67, v1
	v_add_u32_e32 v22, 16, v18
	v_mad_u64_u32 v[4:5], s[8:9], s21, v3, v[4:5]
	v_mov_b32_e32 v2, 0
	v_cmp_le_i32_e64 s[0:1], s45, v18
	v_cmp_le_i64_e64 s[2:3], s[42:43], v[20:21]
	v_add_u32_e32 v64, 0x100, v17
	v_add_u32_e32 v65, 0x2000, v17
	;; [unrolled: 1-line block ×6, first 2 shown]
	v_cmp_gt_i32_e64 s[4:5], s45, v18
	v_cmp_gt_i32_e64 s[14:15], s45, v22
	v_ashrrev_i32_e32 v23, 31, v22
	v_lshl_add_u32 v32, s7, 5, v16
	v_lshlrev_b64 v[34:35], 4, v[18:19]
	v_mov_b32_e32 v39, v4
	v_mov_b32_e32 v3, 0x3ff00000
	s_movk_i32 s45, 0x200
	s_branch .LBB108_4
.LBB108_3:                              ;   in Loop: Header=BB108_4 Depth=1
	s_or_b64 exec, exec, s[8:9]
	s_add_i32 s7, s47, s7
	s_cmp_le_i32 s7, s33
	v_add_u32_e32 v32, s44, v32
	s_cbranch_scc0 .LBB108_63
.LBB108_4:                              ; =>This Loop Header: Depth=1
                                        ;     Child Loop BB108_7 Depth 2
	v_lshl_add_u32 v72, s7, 5, v16
	v_pk_mov_b32 v[60:61], 0, 0
	v_ashrrev_i32_e32 v73, 31, v72
	s_mov_b64 s[18:19], 0
	s_andn2_b64 vcc, exec, s[34:35]
	v_pk_mov_b32 v[62:63], v[60:61], v[60:61] op_sel:[0,1]
	v_pk_mov_b32 v[56:57], v[60:61], v[60:61] op_sel:[0,1]
	;; [unrolled: 1-line block ×7, first 2 shown]
	s_cbranch_vccnz .LBB108_55
; %bb.5:                                ;   in Loop: Header=BB108_4 Depth=1
	v_ashrrev_i32_e32 v33, 31, v32
	v_mad_u64_u32 v[40:41], s[8:9], s24, v32, v[30:31]
	v_mul_lo_u32 v4, s25, v32
	v_mul_lo_u32 v5, s24, v33
	v_add3_u32 v41, v4, v41, v5
	v_lshlrev_b64 v[4:5], 4, v[32:33]
	v_add_co_u32_e32 v4, vcc, 0x100, v4
	v_addc_co_u32_e32 v5, vcc, 0, v5, vcc
	v_mul_lo_u32 v5, s36, v5
	v_mul_lo_u32 v6, s37, v4
	v_mad_u64_u32 v[42:43], s[8:9], s36, v4, v[30:31]
	v_add3_u32 v43, v6, v43, v5
	v_mov_b32_e32 v5, s6
	v_sub_co_u32_e32 v4, vcc, s46, v72
	v_subb_co_u32_e32 v5, vcc, v5, v73, vcc
	v_pk_mov_b32 v[48:49], 0, 0
	v_cmp_lt_i64_e64 s[8:9], 0, v[4:5]
	v_cmp_lt_i64_e64 s[10:11], 16, v[4:5]
	v_pk_mov_b32 v[44:45], v[38:39], v[38:39] op_sel:[0,1]
	v_pk_mov_b32 v[46:47], v[36:37], v[36:37] op_sel:[0,1]
	;; [unrolled: 1-line block ×9, first 2 shown]
	s_branch .LBB108_7
.LBB108_6:                              ;   in Loop: Header=BB108_7 Depth=2
	s_or_b64 exec, exec, s[12:13]
	s_waitcnt lgkmcnt(0)
	s_barrier
	ds_read_b128 v[74:77], v1
	ds_read_b128 v[78:81], v67
	ds_read_b128 v[12:15], v67 offset:16
	ds_read_b128 v[8:11], v67 offset:32
	;; [unrolled: 1-line block ×4, first 2 shown]
	s_waitcnt lgkmcnt(4)
	v_mul_f64 v[86:87], v[80:81], v[76:77]
	v_fma_f64 v[86:87], v[78:79], v[74:75], -v[86:87]
	v_mul_f64 v[88:89], v[78:79], v[76:77]
	v_fmac_f64_e32 v[88:89], v[80:81], v[74:75]
	v_add_f64 v[86:87], v[60:61], v[86:87]
	s_waitcnt lgkmcnt(0)
	v_mul_f64 v[60:61], v[80:81], v[84:85]
	v_add_f64 v[88:89], v[62:63], v[88:89]
	v_fma_f64 v[90:91], v[78:79], v[82:83], -v[60:61]
	ds_read_b128 v[60:63], v67 offset:8192
	v_mul_f64 v[78:79], v[78:79], v[84:85]
	v_fmac_f64_e32 v[78:79], v[80:81], v[82:83]
	v_add_f64 v[80:81], v[56:57], v[90:91]
	v_add_f64 v[78:79], v[58:59], v[78:79]
	ds_read_b128 v[56:59], v67 offset:8208
	s_waitcnt lgkmcnt(1)
	v_mul_f64 v[90:91], v[62:63], v[76:77]
	v_fma_f64 v[90:91], v[60:61], v[74:75], -v[90:91]
	v_mul_f64 v[76:77], v[60:61], v[76:77]
	v_fmac_f64_e32 v[76:77], v[62:63], v[74:75]
	v_add_f64 v[74:75], v[52:53], v[90:91]
	v_mul_f64 v[52:53], v[62:63], v[84:85]
	v_add_f64 v[76:77], v[54:55], v[76:77]
	v_fma_f64 v[90:91], v[60:61], v[82:83], -v[52:53]
	v_mul_f64 v[60:61], v[60:61], v[84:85]
	ds_read_b128 v[52:55], v1 offset:512
	v_fmac_f64_e32 v[60:61], v[62:63], v[82:83]
	v_add_f64 v[62:63], v[50:51], v[90:91]
	v_add_f64 v[60:61], v[48:49], v[60:61]
	ds_read_b128 v[48:51], v1 offset:768
	s_waitcnt lgkmcnt(1)
	v_mul_f64 v[82:83], v[14:15], v[54:55]
	v_fma_f64 v[82:83], v[12:13], v[52:53], -v[82:83]
	v_add_f64 v[82:83], v[86:87], v[82:83]
	v_mul_f64 v[84:85], v[12:13], v[54:55]
	s_waitcnt lgkmcnt(0)
	v_mul_f64 v[86:87], v[14:15], v[50:51]
	v_fma_f64 v[86:87], v[12:13], v[48:49], -v[86:87]
	v_mul_f64 v[12:13], v[12:13], v[50:51]
	v_fmac_f64_e32 v[12:13], v[14:15], v[48:49]
	v_fmac_f64_e32 v[84:85], v[14:15], v[52:53]
	v_add_f64 v[78:79], v[78:79], v[12:13]
	v_mul_f64 v[12:13], v[58:59], v[54:55]
	v_mul_f64 v[14:15], v[56:57], v[54:55]
	v_fma_f64 v[12:13], v[56:57], v[52:53], -v[12:13]
	v_fmac_f64_e32 v[14:15], v[58:59], v[52:53]
	v_mul_f64 v[52:53], v[58:59], v[50:51]
	v_fma_f64 v[54:55], v[56:57], v[48:49], -v[52:53]
	v_mul_f64 v[56:57], v[56:57], v[50:51]
	ds_read_b128 v[50:53], v1 offset:1024
	v_fmac_f64_e32 v[56:57], v[58:59], v[48:49]
	v_add_f64 v[48:49], v[62:63], v[54:55]
	v_add_f64 v[62:63], v[60:61], v[56:57]
	ds_read_b128 v[54:57], v1 offset:1280
	s_waitcnt lgkmcnt(1)
	v_mul_f64 v[58:59], v[10:11], v[52:53]
	v_fma_f64 v[58:59], v[8:9], v[50:51], -v[58:59]
	v_mul_f64 v[60:61], v[8:9], v[52:53]
	v_add_f64 v[84:85], v[88:89], v[84:85]
	v_add_f64 v[12:13], v[74:75], v[12:13]
	v_fmac_f64_e32 v[60:61], v[10:11], v[50:51]
	v_add_f64 v[74:75], v[82:83], v[58:59]
	s_waitcnt lgkmcnt(0)
	v_mul_f64 v[58:59], v[10:11], v[56:57]
	v_add_f64 v[14:15], v[76:77], v[14:15]
	v_add_f64 v[76:77], v[84:85], v[60:61]
	v_fma_f64 v[82:83], v[8:9], v[54:55], -v[58:59]
	ds_read_b128 v[58:61], v67 offset:8224
	v_mul_f64 v[8:9], v[8:9], v[56:57]
	v_add_f64 v[80:81], v[80:81], v[86:87]
	v_fmac_f64_e32 v[8:9], v[10:11], v[54:55]
	v_add_f64 v[80:81], v[80:81], v[82:83]
	v_add_f64 v[78:79], v[78:79], v[8:9]
	ds_read_b128 v[8:11], v67 offset:8240
	s_waitcnt lgkmcnt(1)
	v_mul_f64 v[82:83], v[60:61], v[52:53]
	v_fma_f64 v[82:83], v[58:59], v[50:51], -v[82:83]
	v_mul_f64 v[52:53], v[58:59], v[52:53]
	v_add_f64 v[82:83], v[12:13], v[82:83]
	v_mul_f64 v[12:13], v[60:61], v[56:57]
	v_fmac_f64_e32 v[52:53], v[60:61], v[50:51]
	v_fma_f64 v[50:51], v[58:59], v[54:55], -v[12:13]
	v_mul_f64 v[56:57], v[58:59], v[56:57]
	v_add_f64 v[52:53], v[14:15], v[52:53]
	ds_read_b128 v[12:15], v1 offset:1536
	v_fmac_f64_e32 v[56:57], v[60:61], v[54:55]
	v_add_f64 v[54:55], v[48:49], v[50:51]
	ds_read_b128 v[48:51], v1 offset:1792
	v_add_f64 v[56:57], v[62:63], v[56:57]
	s_waitcnt lgkmcnt(1)
	v_mul_f64 v[58:59], v[6:7], v[14:15]
	v_fma_f64 v[58:59], v[4:5], v[12:13], -v[58:59]
	v_mul_f64 v[60:61], v[4:5], v[14:15]
	s_waitcnt lgkmcnt(0)
	v_mul_f64 v[62:63], v[6:7], v[50:51]
	v_fma_f64 v[62:63], v[4:5], v[48:49], -v[62:63]
	v_mul_f64 v[4:5], v[4:5], v[50:51]
	v_fmac_f64_e32 v[4:5], v[6:7], v[48:49]
	v_fmac_f64_e32 v[60:61], v[6:7], v[12:13]
	v_add_f64 v[58:59], v[74:75], v[58:59]
	v_add_f64 v[74:75], v[78:79], v[4:5]
	v_mul_f64 v[4:5], v[10:11], v[14:15]
	v_mul_f64 v[6:7], v[8:9], v[14:15]
	v_fma_f64 v[4:5], v[8:9], v[12:13], -v[4:5]
	v_fmac_f64_e32 v[6:7], v[10:11], v[12:13]
	v_mul_f64 v[12:13], v[10:11], v[50:51]
	v_mul_f64 v[50:51], v[8:9], v[50:51]
	v_add_f64 v[6:7], v[52:53], v[6:7]
	v_fma_f64 v[52:53], v[8:9], v[48:49], -v[12:13]
	v_fmac_f64_e32 v[50:51], v[10:11], v[48:49]
	ds_read_b128 v[8:11], v67 offset:64
	ds_read_b128 v[12:15], v1 offset:2048
	v_add_f64 v[60:61], v[76:77], v[60:61]
	v_add_f64 v[76:77], v[54:55], v[52:53]
	;; [unrolled: 1-line block ×3, first 2 shown]
	ds_read_b128 v[48:51], v1 offset:2304
	ds_read_b128 v[52:55], v67 offset:80
	s_waitcnt lgkmcnt(2)
	v_mul_f64 v[56:57], v[10:11], v[14:15]
	v_add_f64 v[62:63], v[80:81], v[62:63]
	v_fma_f64 v[56:57], v[8:9], v[12:13], -v[56:57]
	v_mul_f64 v[80:81], v[8:9], v[14:15]
	v_add_f64 v[4:5], v[82:83], v[4:5]
	v_fmac_f64_e32 v[80:81], v[10:11], v[12:13]
	v_add_f64 v[82:83], v[58:59], v[56:57]
	s_waitcnt lgkmcnt(1)
	v_mul_f64 v[56:57], v[10:11], v[50:51]
	v_add_f64 v[60:61], v[60:61], v[80:81]
	v_fma_f64 v[80:81], v[8:9], v[48:49], -v[56:57]
	ds_read_b128 v[56:59], v67 offset:8256
	v_mul_f64 v[8:9], v[8:9], v[50:51]
	v_fmac_f64_e32 v[8:9], v[10:11], v[48:49]
	v_add_f64 v[62:63], v[62:63], v[80:81]
	v_add_f64 v[74:75], v[74:75], v[8:9]
	ds_read_b128 v[8:11], v67 offset:8272
	s_waitcnt lgkmcnt(1)
	v_mul_f64 v[80:81], v[58:59], v[14:15]
	v_fma_f64 v[80:81], v[56:57], v[12:13], -v[80:81]
	v_mul_f64 v[14:15], v[56:57], v[14:15]
	v_fmac_f64_e32 v[14:15], v[58:59], v[12:13]
	v_add_f64 v[80:81], v[4:5], v[80:81]
	v_mul_f64 v[4:5], v[58:59], v[50:51]
	v_add_f64 v[84:85], v[6:7], v[14:15]
	v_fma_f64 v[12:13], v[56:57], v[48:49], -v[4:5]
	v_mul_f64 v[14:15], v[56:57], v[50:51]
	ds_read_b128 v[4:7], v1 offset:2560
	v_fmac_f64_e32 v[14:15], v[58:59], v[48:49]
	v_add_f64 v[48:49], v[76:77], v[12:13]
	v_add_f64 v[50:51], v[78:79], v[14:15]
	ds_read_b128 v[12:15], v1 offset:2816
	s_waitcnt lgkmcnt(1)
	v_mul_f64 v[58:59], v[52:53], v[6:7]
	v_fmac_f64_e32 v[58:59], v[54:55], v[4:5]
	v_mul_f64 v[56:57], v[54:55], v[6:7]
	v_add_f64 v[58:59], v[60:61], v[58:59]
	s_waitcnt lgkmcnt(0)
	v_mul_f64 v[60:61], v[54:55], v[14:15]
	v_fma_f64 v[56:57], v[52:53], v[4:5], -v[56:57]
	v_fma_f64 v[60:61], v[52:53], v[12:13], -v[60:61]
	v_mul_f64 v[52:53], v[52:53], v[14:15]
	v_fmac_f64_e32 v[52:53], v[54:55], v[12:13]
	v_add_f64 v[60:61], v[62:63], v[60:61]
	v_add_f64 v[62:63], v[74:75], v[52:53]
	v_mul_f64 v[52:53], v[10:11], v[6:7]
	v_fma_f64 v[52:53], v[8:9], v[4:5], -v[52:53]
	v_mul_f64 v[6:7], v[8:9], v[6:7]
	v_fmac_f64_e32 v[6:7], v[10:11], v[4:5]
	v_add_f64 v[4:5], v[80:81], v[52:53]
	v_mul_f64 v[52:53], v[10:11], v[14:15]
	v_mul_f64 v[54:55], v[8:9], v[14:15]
	v_fma_f64 v[52:53], v[8:9], v[12:13], -v[52:53]
	v_fmac_f64_e32 v[54:55], v[10:11], v[12:13]
	ds_read_b128 v[8:11], v67 offset:96
	ds_read_b128 v[12:15], v1 offset:3072
	v_add_f64 v[74:75], v[48:49], v[52:53]
	v_add_f64 v[76:77], v[50:51], v[54:55]
	ds_read_b128 v[48:51], v1 offset:3328
	ds_read_b128 v[52:55], v67 offset:112
	v_add_f64 v[56:57], v[82:83], v[56:57]
	s_waitcnt lgkmcnt(2)
	v_mul_f64 v[78:79], v[10:11], v[14:15]
	v_fma_f64 v[78:79], v[8:9], v[12:13], -v[78:79]
	v_mul_f64 v[80:81], v[8:9], v[14:15]
	v_fmac_f64_e32 v[80:81], v[10:11], v[12:13]
	v_add_f64 v[78:79], v[56:57], v[78:79]
	s_waitcnt lgkmcnt(1)
	v_mul_f64 v[56:57], v[10:11], v[50:51]
	v_add_f64 v[80:81], v[58:59], v[80:81]
	v_fma_f64 v[82:83], v[8:9], v[48:49], -v[56:57]
	ds_read_b128 v[56:59], v67 offset:8288
	v_mul_f64 v[8:9], v[8:9], v[50:51]
	v_fmac_f64_e32 v[8:9], v[10:11], v[48:49]
	v_add_f64 v[60:61], v[60:61], v[82:83]
	v_add_f64 v[62:63], v[62:63], v[8:9]
	ds_read_b128 v[8:11], v67 offset:8304
	s_waitcnt lgkmcnt(1)
	v_mul_f64 v[82:83], v[58:59], v[14:15]
	v_mul_f64 v[14:15], v[56:57], v[14:15]
	v_add_f64 v[6:7], v[84:85], v[6:7]
	v_fma_f64 v[82:83], v[56:57], v[12:13], -v[82:83]
	v_fmac_f64_e32 v[14:15], v[58:59], v[12:13]
	v_add_f64 v[82:83], v[4:5], v[82:83]
	v_add_f64 v[84:85], v[6:7], v[14:15]
	v_mul_f64 v[4:5], v[58:59], v[50:51]
	v_mul_f64 v[14:15], v[56:57], v[50:51]
	v_fma_f64 v[12:13], v[56:57], v[48:49], -v[4:5]
	v_fmac_f64_e32 v[14:15], v[58:59], v[48:49]
	ds_read_b128 v[4:7], v1 offset:3584
	v_add_f64 v[48:49], v[74:75], v[12:13]
	v_add_f64 v[50:51], v[76:77], v[14:15]
	ds_read_b128 v[12:15], v1 offset:3840
	v_add_co_u32_e32 v40, vcc, s45, v40
	s_waitcnt lgkmcnt(1)
	v_mul_f64 v[56:57], v[54:55], v[6:7]
	v_fma_f64 v[56:57], v[52:53], v[4:5], -v[56:57]
	s_waitcnt lgkmcnt(0)
	v_mul_f64 v[74:75], v[54:55], v[14:15]
	v_mul_f64 v[58:59], v[52:53], v[6:7]
	v_fma_f64 v[74:75], v[52:53], v[12:13], -v[74:75]
	v_mul_f64 v[52:53], v[52:53], v[14:15]
	v_fmac_f64_e32 v[52:53], v[54:55], v[12:13]
	v_add_f64 v[62:63], v[62:63], v[52:53]
	v_mul_f64 v[52:53], v[10:11], v[6:7]
	v_fma_f64 v[52:53], v[8:9], v[4:5], -v[52:53]
	v_mul_f64 v[6:7], v[8:9], v[6:7]
	v_fmac_f64_e32 v[58:59], v[54:55], v[4:5]
	v_fmac_f64_e32 v[6:7], v[10:11], v[4:5]
	v_add_f64 v[4:5], v[82:83], v[52:53]
	v_mul_f64 v[52:53], v[10:11], v[14:15]
	v_mul_f64 v[54:55], v[8:9], v[14:15]
	v_fma_f64 v[52:53], v[8:9], v[12:13], -v[52:53]
	v_fmac_f64_e32 v[54:55], v[10:11], v[12:13]
	ds_read_b128 v[8:11], v67 offset:128
	ds_read_b128 v[12:15], v1 offset:4096
	v_add_f64 v[60:61], v[60:61], v[74:75]
	v_add_f64 v[74:75], v[48:49], v[52:53]
	;; [unrolled: 1-line block ×3, first 2 shown]
	ds_read_b128 v[48:51], v1 offset:4352
	ds_read_b128 v[52:55], v67 offset:144
	v_add_f64 v[56:57], v[78:79], v[56:57]
	s_waitcnt lgkmcnt(2)
	v_mul_f64 v[78:79], v[10:11], v[14:15]
	v_add_f64 v[58:59], v[80:81], v[58:59]
	v_fma_f64 v[78:79], v[8:9], v[12:13], -v[78:79]
	v_mul_f64 v[80:81], v[8:9], v[14:15]
	v_fmac_f64_e32 v[80:81], v[10:11], v[12:13]
	v_add_f64 v[78:79], v[56:57], v[78:79]
	s_waitcnt lgkmcnt(1)
	v_mul_f64 v[56:57], v[10:11], v[50:51]
	v_add_f64 v[80:81], v[58:59], v[80:81]
	v_fma_f64 v[82:83], v[8:9], v[48:49], -v[56:57]
	ds_read_b128 v[56:59], v67 offset:8320
	v_mul_f64 v[8:9], v[8:9], v[50:51]
	v_fmac_f64_e32 v[8:9], v[10:11], v[48:49]
	v_add_f64 v[60:61], v[60:61], v[82:83]
	v_add_f64 v[62:63], v[62:63], v[8:9]
	ds_read_b128 v[8:11], v67 offset:8336
	s_waitcnt lgkmcnt(1)
	v_mul_f64 v[82:83], v[58:59], v[14:15]
	v_mul_f64 v[14:15], v[56:57], v[14:15]
	v_add_f64 v[6:7], v[84:85], v[6:7]
	v_fma_f64 v[82:83], v[56:57], v[12:13], -v[82:83]
	v_fmac_f64_e32 v[14:15], v[58:59], v[12:13]
	v_add_f64 v[82:83], v[4:5], v[82:83]
	v_add_f64 v[84:85], v[6:7], v[14:15]
	v_mul_f64 v[4:5], v[58:59], v[50:51]
	v_mul_f64 v[14:15], v[56:57], v[50:51]
	v_fma_f64 v[12:13], v[56:57], v[48:49], -v[4:5]
	v_fmac_f64_e32 v[14:15], v[58:59], v[48:49]
	ds_read_b128 v[4:7], v1 offset:4608
	v_add_f64 v[48:49], v[74:75], v[12:13]
	v_add_f64 v[50:51], v[76:77], v[14:15]
	ds_read_b128 v[12:15], v1 offset:4864
	v_addc_co_u32_e32 v41, vcc, 0, v41, vcc
	s_waitcnt lgkmcnt(1)
	v_mul_f64 v[56:57], v[54:55], v[6:7]
	v_fma_f64 v[56:57], v[52:53], v[4:5], -v[56:57]
	s_waitcnt lgkmcnt(0)
	v_mul_f64 v[74:75], v[54:55], v[14:15]
	v_mul_f64 v[58:59], v[52:53], v[6:7]
	v_fma_f64 v[74:75], v[52:53], v[12:13], -v[74:75]
	v_mul_f64 v[52:53], v[52:53], v[14:15]
	v_fmac_f64_e32 v[52:53], v[54:55], v[12:13]
	v_add_f64 v[62:63], v[62:63], v[52:53]
	v_mul_f64 v[52:53], v[10:11], v[6:7]
	v_fma_f64 v[52:53], v[8:9], v[4:5], -v[52:53]
	v_mul_f64 v[6:7], v[8:9], v[6:7]
	v_fmac_f64_e32 v[58:59], v[54:55], v[4:5]
	v_fmac_f64_e32 v[6:7], v[10:11], v[4:5]
	v_add_f64 v[4:5], v[82:83], v[52:53]
	v_mul_f64 v[52:53], v[10:11], v[14:15]
	v_mul_f64 v[54:55], v[8:9], v[14:15]
	v_fma_f64 v[52:53], v[8:9], v[12:13], -v[52:53]
	v_fmac_f64_e32 v[54:55], v[10:11], v[12:13]
	ds_read_b128 v[8:11], v67 offset:160
	ds_read_b128 v[12:15], v1 offset:5120
	v_add_f64 v[60:61], v[60:61], v[74:75]
	v_add_f64 v[74:75], v[48:49], v[52:53]
	;; [unrolled: 1-line block ×3, first 2 shown]
	ds_read_b128 v[48:51], v1 offset:5376
	ds_read_b128 v[52:55], v67 offset:176
	v_add_f64 v[56:57], v[78:79], v[56:57]
	s_waitcnt lgkmcnt(2)
	v_mul_f64 v[78:79], v[10:11], v[14:15]
	v_add_f64 v[58:59], v[80:81], v[58:59]
	v_fma_f64 v[78:79], v[8:9], v[12:13], -v[78:79]
	v_mul_f64 v[80:81], v[8:9], v[14:15]
	v_fmac_f64_e32 v[80:81], v[10:11], v[12:13]
	v_add_f64 v[78:79], v[56:57], v[78:79]
	s_waitcnt lgkmcnt(1)
	v_mul_f64 v[56:57], v[10:11], v[50:51]
	v_add_f64 v[80:81], v[58:59], v[80:81]
	v_fma_f64 v[82:83], v[8:9], v[48:49], -v[56:57]
	ds_read_b128 v[56:59], v67 offset:8352
	v_mul_f64 v[8:9], v[8:9], v[50:51]
	v_fmac_f64_e32 v[8:9], v[10:11], v[48:49]
	v_add_f64 v[60:61], v[60:61], v[82:83]
	v_add_f64 v[62:63], v[62:63], v[8:9]
	ds_read_b128 v[8:11], v67 offset:8368
	s_waitcnt lgkmcnt(1)
	v_mul_f64 v[82:83], v[58:59], v[14:15]
	v_mul_f64 v[14:15], v[56:57], v[14:15]
	v_add_f64 v[6:7], v[84:85], v[6:7]
	v_fma_f64 v[82:83], v[56:57], v[12:13], -v[82:83]
	v_fmac_f64_e32 v[14:15], v[58:59], v[12:13]
	v_add_f64 v[82:83], v[4:5], v[82:83]
	v_add_f64 v[84:85], v[6:7], v[14:15]
	v_mul_f64 v[4:5], v[58:59], v[50:51]
	v_mul_f64 v[14:15], v[56:57], v[50:51]
	v_fma_f64 v[12:13], v[56:57], v[48:49], -v[4:5]
	v_fmac_f64_e32 v[14:15], v[58:59], v[48:49]
	ds_read_b128 v[4:7], v1 offset:5632
	v_add_f64 v[48:49], v[74:75], v[12:13]
	v_add_f64 v[50:51], v[76:77], v[14:15]
	ds_read_b128 v[12:15], v1 offset:5888
	v_add_co_u32_e32 v46, vcc, s50, v46
	s_waitcnt lgkmcnt(1)
	v_mul_f64 v[56:57], v[54:55], v[6:7]
	v_fma_f64 v[56:57], v[52:53], v[4:5], -v[56:57]
	s_waitcnt lgkmcnt(0)
	v_mul_f64 v[74:75], v[54:55], v[14:15]
	v_mul_f64 v[58:59], v[52:53], v[6:7]
	v_fma_f64 v[74:75], v[52:53], v[12:13], -v[74:75]
	v_mul_f64 v[52:53], v[52:53], v[14:15]
	v_fmac_f64_e32 v[52:53], v[54:55], v[12:13]
	v_add_f64 v[62:63], v[62:63], v[52:53]
	v_mul_f64 v[52:53], v[10:11], v[6:7]
	v_fma_f64 v[52:53], v[8:9], v[4:5], -v[52:53]
	v_mul_f64 v[6:7], v[8:9], v[6:7]
	v_fmac_f64_e32 v[58:59], v[54:55], v[4:5]
	v_fmac_f64_e32 v[6:7], v[10:11], v[4:5]
	v_add_f64 v[4:5], v[82:83], v[52:53]
	v_mul_f64 v[52:53], v[10:11], v[14:15]
	v_mul_f64 v[54:55], v[8:9], v[14:15]
	v_fma_f64 v[52:53], v[8:9], v[12:13], -v[52:53]
	v_fmac_f64_e32 v[54:55], v[10:11], v[12:13]
	ds_read_b128 v[8:11], v67 offset:192
	ds_read_b128 v[12:15], v1 offset:6144
	v_add_f64 v[60:61], v[60:61], v[74:75]
	v_add_f64 v[74:75], v[48:49], v[52:53]
	;; [unrolled: 1-line block ×3, first 2 shown]
	ds_read_b128 v[48:51], v1 offset:6400
	ds_read_b128 v[52:55], v67 offset:208
	v_add_f64 v[56:57], v[78:79], v[56:57]
	s_waitcnt lgkmcnt(2)
	v_mul_f64 v[78:79], v[10:11], v[14:15]
	v_add_f64 v[58:59], v[80:81], v[58:59]
	v_fma_f64 v[78:79], v[8:9], v[12:13], -v[78:79]
	v_mul_f64 v[80:81], v[8:9], v[14:15]
	v_fmac_f64_e32 v[80:81], v[10:11], v[12:13]
	v_add_f64 v[78:79], v[56:57], v[78:79]
	s_waitcnt lgkmcnt(1)
	v_mul_f64 v[56:57], v[10:11], v[50:51]
	v_add_f64 v[80:81], v[58:59], v[80:81]
	v_fma_f64 v[82:83], v[8:9], v[48:49], -v[56:57]
	ds_read_b128 v[56:59], v67 offset:8384
	v_mul_f64 v[8:9], v[8:9], v[50:51]
	v_fmac_f64_e32 v[8:9], v[10:11], v[48:49]
	v_add_f64 v[60:61], v[60:61], v[82:83]
	v_add_f64 v[62:63], v[62:63], v[8:9]
	ds_read_b128 v[8:11], v67 offset:8400
	s_waitcnt lgkmcnt(1)
	v_mul_f64 v[82:83], v[58:59], v[14:15]
	v_mul_f64 v[14:15], v[56:57], v[14:15]
	v_add_f64 v[6:7], v[84:85], v[6:7]
	v_fma_f64 v[82:83], v[56:57], v[12:13], -v[82:83]
	v_fmac_f64_e32 v[14:15], v[58:59], v[12:13]
	v_add_f64 v[82:83], v[4:5], v[82:83]
	v_add_f64 v[84:85], v[6:7], v[14:15]
	v_mul_f64 v[4:5], v[58:59], v[50:51]
	v_mul_f64 v[14:15], v[56:57], v[50:51]
	v_fma_f64 v[12:13], v[56:57], v[48:49], -v[4:5]
	v_fmac_f64_e32 v[14:15], v[58:59], v[48:49]
	ds_read_b128 v[4:7], v1 offset:6656
	v_add_f64 v[48:49], v[74:75], v[12:13]
	v_add_f64 v[50:51], v[76:77], v[14:15]
	ds_read_b128 v[12:15], v1 offset:6912
	s_add_u32 s18, s18, 32
	s_waitcnt lgkmcnt(1)
	v_mul_f64 v[56:57], v[54:55], v[6:7]
	v_fma_f64 v[56:57], v[52:53], v[4:5], -v[56:57]
	v_mul_f64 v[58:59], v[52:53], v[6:7]
	s_waitcnt lgkmcnt(0)
	v_mul_f64 v[74:75], v[54:55], v[14:15]
	v_fma_f64 v[74:75], v[52:53], v[12:13], -v[74:75]
	v_mul_f64 v[52:53], v[52:53], v[14:15]
	v_fmac_f64_e32 v[52:53], v[54:55], v[12:13]
	v_add_f64 v[62:63], v[62:63], v[52:53]
	v_mul_f64 v[52:53], v[10:11], v[6:7]
	v_fma_f64 v[52:53], v[8:9], v[4:5], -v[52:53]
	v_mul_f64 v[6:7], v[8:9], v[6:7]
	v_fmac_f64_e32 v[58:59], v[54:55], v[4:5]
	v_fmac_f64_e32 v[6:7], v[10:11], v[4:5]
	v_add_f64 v[4:5], v[82:83], v[52:53]
	v_mul_f64 v[52:53], v[10:11], v[14:15]
	v_mul_f64 v[54:55], v[8:9], v[14:15]
	v_fma_f64 v[52:53], v[8:9], v[12:13], -v[52:53]
	v_fmac_f64_e32 v[54:55], v[10:11], v[12:13]
	ds_read_b128 v[8:11], v67 offset:224
	ds_read_b128 v[12:15], v1 offset:7168
	v_add_f64 v[60:61], v[60:61], v[74:75]
	v_add_f64 v[74:75], v[48:49], v[52:53]
	;; [unrolled: 1-line block ×3, first 2 shown]
	ds_read_b128 v[48:51], v1 offset:7424
	ds_read_b128 v[52:55], v67 offset:240
	v_add_f64 v[56:57], v[78:79], v[56:57]
	s_waitcnt lgkmcnt(2)
	v_mul_f64 v[78:79], v[10:11], v[14:15]
	v_add_f64 v[58:59], v[80:81], v[58:59]
	v_fma_f64 v[78:79], v[8:9], v[12:13], -v[78:79]
	v_mul_f64 v[80:81], v[8:9], v[14:15]
	v_fmac_f64_e32 v[80:81], v[10:11], v[12:13]
	v_add_f64 v[78:79], v[56:57], v[78:79]
	s_waitcnt lgkmcnt(1)
	v_mul_f64 v[56:57], v[10:11], v[50:51]
	v_add_f64 v[80:81], v[58:59], v[80:81]
	v_fma_f64 v[82:83], v[8:9], v[48:49], -v[56:57]
	ds_read_b128 v[56:59], v67 offset:8416
	v_mul_f64 v[8:9], v[8:9], v[50:51]
	v_fmac_f64_e32 v[8:9], v[10:11], v[48:49]
	v_add_f64 v[60:61], v[60:61], v[82:83]
	v_add_f64 v[62:63], v[62:63], v[8:9]
	ds_read_b128 v[8:11], v67 offset:8432
	s_waitcnt lgkmcnt(1)
	v_mul_f64 v[82:83], v[58:59], v[14:15]
	v_mul_f64 v[14:15], v[56:57], v[14:15]
	v_add_f64 v[6:7], v[84:85], v[6:7]
	v_fma_f64 v[82:83], v[56:57], v[12:13], -v[82:83]
	v_fmac_f64_e32 v[14:15], v[58:59], v[12:13]
	v_add_f64 v[82:83], v[4:5], v[82:83]
	v_add_f64 v[84:85], v[6:7], v[14:15]
	v_mul_f64 v[4:5], v[58:59], v[50:51]
	v_mul_f64 v[14:15], v[56:57], v[50:51]
	v_fma_f64 v[12:13], v[56:57], v[48:49], -v[4:5]
	v_fmac_f64_e32 v[14:15], v[58:59], v[48:49]
	ds_read_b128 v[4:7], v1 offset:7680
	v_add_f64 v[48:49], v[74:75], v[12:13]
	v_add_f64 v[50:51], v[76:77], v[14:15]
	ds_read_b128 v[12:15], v1 offset:7936
	s_addc_u32 s19, s19, 0
	s_waitcnt lgkmcnt(1)
	v_mul_f64 v[56:57], v[54:55], v[6:7]
	v_fma_f64 v[56:57], v[52:53], v[4:5], -v[56:57]
	v_mul_f64 v[58:59], v[52:53], v[6:7]
	s_waitcnt lgkmcnt(0)
	v_mul_f64 v[74:75], v[54:55], v[14:15]
	v_fma_f64 v[74:75], v[52:53], v[12:13], -v[74:75]
	v_mul_f64 v[52:53], v[52:53], v[14:15]
	v_fmac_f64_e32 v[52:53], v[54:55], v[12:13]
	v_add_f64 v[62:63], v[62:63], v[52:53]
	v_mul_f64 v[52:53], v[10:11], v[6:7]
	v_fma_f64 v[52:53], v[8:9], v[4:5], -v[52:53]
	v_mul_f64 v[6:7], v[8:9], v[6:7]
	v_fmac_f64_e32 v[58:59], v[54:55], v[4:5]
	v_fmac_f64_e32 v[6:7], v[10:11], v[4:5]
	v_add_f64 v[4:5], v[82:83], v[52:53]
	v_mul_f64 v[52:53], v[10:11], v[14:15]
	v_mul_f64 v[54:55], v[8:9], v[14:15]
	v_fma_f64 v[52:53], v[8:9], v[12:13], -v[52:53]
	v_fmac_f64_e32 v[54:55], v[10:11], v[12:13]
	ds_read_b128 v[8:11], v67 offset:256
	ds_read_b128 v[12:15], v1 offset:8192
	v_add_f64 v[60:61], v[60:61], v[74:75]
	v_add_f64 v[74:75], v[48:49], v[52:53]
	;; [unrolled: 1-line block ×3, first 2 shown]
	ds_read_b128 v[48:51], v1 offset:8448
	ds_read_b128 v[52:55], v67 offset:272
	v_add_f64 v[56:57], v[78:79], v[56:57]
	s_waitcnt lgkmcnt(2)
	v_mul_f64 v[78:79], v[10:11], v[14:15]
	v_add_f64 v[58:59], v[80:81], v[58:59]
	v_fma_f64 v[78:79], v[8:9], v[12:13], -v[78:79]
	v_mul_f64 v[80:81], v[8:9], v[14:15]
	v_fmac_f64_e32 v[80:81], v[10:11], v[12:13]
	v_add_f64 v[78:79], v[56:57], v[78:79]
	s_waitcnt lgkmcnt(1)
	v_mul_f64 v[56:57], v[10:11], v[50:51]
	v_add_f64 v[80:81], v[58:59], v[80:81]
	v_fma_f64 v[82:83], v[8:9], v[48:49], -v[56:57]
	ds_read_b128 v[56:59], v67 offset:8448
	v_mul_f64 v[8:9], v[8:9], v[50:51]
	v_fmac_f64_e32 v[8:9], v[10:11], v[48:49]
	v_add_f64 v[60:61], v[60:61], v[82:83]
	v_add_f64 v[62:63], v[62:63], v[8:9]
	ds_read_b128 v[8:11], v67 offset:8464
	s_waitcnt lgkmcnt(1)
	v_mul_f64 v[82:83], v[58:59], v[14:15]
	v_mul_f64 v[14:15], v[56:57], v[14:15]
	v_add_f64 v[6:7], v[84:85], v[6:7]
	v_fma_f64 v[82:83], v[56:57], v[12:13], -v[82:83]
	v_fmac_f64_e32 v[14:15], v[58:59], v[12:13]
	v_add_f64 v[82:83], v[4:5], v[82:83]
	v_add_f64 v[84:85], v[6:7], v[14:15]
	v_mul_f64 v[4:5], v[58:59], v[50:51]
	v_mul_f64 v[14:15], v[56:57], v[50:51]
	v_fma_f64 v[12:13], v[56:57], v[48:49], -v[4:5]
	v_fmac_f64_e32 v[14:15], v[58:59], v[48:49]
	ds_read_b128 v[4:7], v1 offset:8704
	v_add_f64 v[48:49], v[74:75], v[12:13]
	v_add_f64 v[50:51], v[76:77], v[14:15]
	ds_read_b128 v[12:15], v1 offset:8960
	s_sub_i32 s12, s18, 32
	s_waitcnt lgkmcnt(1)
	v_mul_f64 v[56:57], v[54:55], v[6:7]
	v_fma_f64 v[56:57], v[52:53], v[4:5], -v[56:57]
	v_mul_f64 v[58:59], v[52:53], v[6:7]
	s_waitcnt lgkmcnt(0)
	v_mul_f64 v[74:75], v[54:55], v[14:15]
	v_fma_f64 v[74:75], v[52:53], v[12:13], -v[74:75]
	v_mul_f64 v[52:53], v[52:53], v[14:15]
	v_fmac_f64_e32 v[52:53], v[54:55], v[12:13]
	v_add_f64 v[62:63], v[62:63], v[52:53]
	v_mul_f64 v[52:53], v[10:11], v[6:7]
	v_fma_f64 v[52:53], v[8:9], v[4:5], -v[52:53]
	v_mul_f64 v[6:7], v[8:9], v[6:7]
	v_fmac_f64_e32 v[58:59], v[54:55], v[4:5]
	v_fmac_f64_e32 v[6:7], v[10:11], v[4:5]
	v_add_f64 v[4:5], v[82:83], v[52:53]
	v_mul_f64 v[52:53], v[10:11], v[14:15]
	v_mul_f64 v[54:55], v[8:9], v[14:15]
	v_fma_f64 v[52:53], v[8:9], v[12:13], -v[52:53]
	v_fmac_f64_e32 v[54:55], v[10:11], v[12:13]
	ds_read_b128 v[8:11], v67 offset:288
	ds_read_b128 v[12:15], v1 offset:9216
	v_add_f64 v[60:61], v[60:61], v[74:75]
	v_add_f64 v[74:75], v[48:49], v[52:53]
	;; [unrolled: 1-line block ×3, first 2 shown]
	ds_read_b128 v[48:51], v1 offset:9472
	ds_read_b128 v[52:55], v67 offset:304
	v_add_f64 v[56:57], v[78:79], v[56:57]
	s_waitcnt lgkmcnt(2)
	v_mul_f64 v[78:79], v[10:11], v[14:15]
	v_add_f64 v[58:59], v[80:81], v[58:59]
	v_fma_f64 v[78:79], v[8:9], v[12:13], -v[78:79]
	v_mul_f64 v[80:81], v[8:9], v[14:15]
	v_fmac_f64_e32 v[80:81], v[10:11], v[12:13]
	v_add_f64 v[78:79], v[56:57], v[78:79]
	s_waitcnt lgkmcnt(1)
	v_mul_f64 v[56:57], v[10:11], v[50:51]
	v_add_f64 v[80:81], v[58:59], v[80:81]
	v_fma_f64 v[82:83], v[8:9], v[48:49], -v[56:57]
	ds_read_b128 v[56:59], v67 offset:8480
	v_mul_f64 v[8:9], v[8:9], v[50:51]
	v_fmac_f64_e32 v[8:9], v[10:11], v[48:49]
	v_add_f64 v[60:61], v[60:61], v[82:83]
	v_add_f64 v[62:63], v[62:63], v[8:9]
	ds_read_b128 v[8:11], v67 offset:8496
	s_waitcnt lgkmcnt(1)
	v_mul_f64 v[82:83], v[58:59], v[14:15]
	v_mul_f64 v[14:15], v[56:57], v[14:15]
	v_add_f64 v[6:7], v[84:85], v[6:7]
	v_fma_f64 v[82:83], v[56:57], v[12:13], -v[82:83]
	v_fmac_f64_e32 v[14:15], v[58:59], v[12:13]
	v_add_f64 v[82:83], v[4:5], v[82:83]
	v_add_f64 v[84:85], v[6:7], v[14:15]
	v_mul_f64 v[4:5], v[58:59], v[50:51]
	v_mul_f64 v[14:15], v[56:57], v[50:51]
	v_fma_f64 v[12:13], v[56:57], v[48:49], -v[4:5]
	v_fmac_f64_e32 v[14:15], v[58:59], v[48:49]
	ds_read_b128 v[4:7], v1 offset:9728
	v_add_f64 v[48:49], v[74:75], v[12:13]
	v_add_f64 v[50:51], v[76:77], v[14:15]
	ds_read_b128 v[12:15], v1 offset:9984
	s_cmp_ge_i32 s12, s56
	s_waitcnt lgkmcnt(1)
	v_mul_f64 v[56:57], v[54:55], v[6:7]
	v_fma_f64 v[56:57], v[52:53], v[4:5], -v[56:57]
	v_mul_f64 v[58:59], v[52:53], v[6:7]
	s_waitcnt lgkmcnt(0)
	v_mul_f64 v[74:75], v[54:55], v[14:15]
	v_fma_f64 v[74:75], v[52:53], v[12:13], -v[74:75]
	v_mul_f64 v[52:53], v[52:53], v[14:15]
	v_fmac_f64_e32 v[52:53], v[54:55], v[12:13]
	v_add_f64 v[62:63], v[62:63], v[52:53]
	v_mul_f64 v[52:53], v[10:11], v[6:7]
	v_fma_f64 v[52:53], v[8:9], v[4:5], -v[52:53]
	v_mul_f64 v[6:7], v[8:9], v[6:7]
	v_fmac_f64_e32 v[58:59], v[54:55], v[4:5]
	v_fmac_f64_e32 v[6:7], v[10:11], v[4:5]
	v_add_f64 v[4:5], v[82:83], v[52:53]
	v_mul_f64 v[52:53], v[10:11], v[14:15]
	v_mul_f64 v[54:55], v[8:9], v[14:15]
	v_fma_f64 v[52:53], v[8:9], v[12:13], -v[52:53]
	v_fmac_f64_e32 v[54:55], v[10:11], v[12:13]
	ds_read_b128 v[8:11], v67 offset:320
	ds_read_b128 v[12:15], v1 offset:10240
	v_add_f64 v[60:61], v[60:61], v[74:75]
	v_add_f64 v[74:75], v[48:49], v[52:53]
	v_add_f64 v[76:77], v[50:51], v[54:55]
	ds_read_b128 v[48:51], v1 offset:10496
	ds_read_b128 v[52:55], v67 offset:336
	v_add_f64 v[56:57], v[78:79], v[56:57]
	s_waitcnt lgkmcnt(2)
	v_mul_f64 v[78:79], v[10:11], v[14:15]
	v_add_f64 v[58:59], v[80:81], v[58:59]
	v_fma_f64 v[78:79], v[8:9], v[12:13], -v[78:79]
	v_mul_f64 v[80:81], v[8:9], v[14:15]
	v_fmac_f64_e32 v[80:81], v[10:11], v[12:13]
	v_add_f64 v[78:79], v[56:57], v[78:79]
	s_waitcnt lgkmcnt(1)
	v_mul_f64 v[56:57], v[10:11], v[50:51]
	v_add_f64 v[80:81], v[58:59], v[80:81]
	v_fma_f64 v[82:83], v[8:9], v[48:49], -v[56:57]
	ds_read_b128 v[56:59], v67 offset:8512
	v_mul_f64 v[8:9], v[8:9], v[50:51]
	v_fmac_f64_e32 v[8:9], v[10:11], v[48:49]
	v_add_f64 v[60:61], v[60:61], v[82:83]
	v_add_f64 v[62:63], v[62:63], v[8:9]
	ds_read_b128 v[8:11], v67 offset:8528
	s_waitcnt lgkmcnt(1)
	v_mul_f64 v[82:83], v[58:59], v[14:15]
	v_mul_f64 v[14:15], v[56:57], v[14:15]
	v_add_f64 v[6:7], v[84:85], v[6:7]
	v_fma_f64 v[82:83], v[56:57], v[12:13], -v[82:83]
	v_fmac_f64_e32 v[14:15], v[58:59], v[12:13]
	v_add_f64 v[82:83], v[4:5], v[82:83]
	v_add_f64 v[84:85], v[6:7], v[14:15]
	v_mul_f64 v[4:5], v[58:59], v[50:51]
	v_mul_f64 v[14:15], v[56:57], v[50:51]
	v_fma_f64 v[12:13], v[56:57], v[48:49], -v[4:5]
	v_fmac_f64_e32 v[14:15], v[58:59], v[48:49]
	ds_read_b128 v[4:7], v1 offset:10752
	v_add_f64 v[48:49], v[74:75], v[12:13]
	v_add_f64 v[50:51], v[76:77], v[14:15]
	ds_read_b128 v[12:15], v1 offset:11008
	s_waitcnt lgkmcnt(1)
	v_mul_f64 v[56:57], v[54:55], v[6:7]
	v_fma_f64 v[56:57], v[52:53], v[4:5], -v[56:57]
	v_mul_f64 v[58:59], v[52:53], v[6:7]
	s_waitcnt lgkmcnt(0)
	v_mul_f64 v[74:75], v[54:55], v[14:15]
	v_fma_f64 v[74:75], v[52:53], v[12:13], -v[74:75]
	v_mul_f64 v[52:53], v[52:53], v[14:15]
	v_fmac_f64_e32 v[52:53], v[54:55], v[12:13]
	v_add_f64 v[62:63], v[62:63], v[52:53]
	v_mul_f64 v[52:53], v[10:11], v[6:7]
	v_fma_f64 v[52:53], v[8:9], v[4:5], -v[52:53]
	v_mul_f64 v[6:7], v[8:9], v[6:7]
	v_fmac_f64_e32 v[58:59], v[54:55], v[4:5]
	v_fmac_f64_e32 v[6:7], v[10:11], v[4:5]
	v_add_f64 v[4:5], v[82:83], v[52:53]
	v_mul_f64 v[52:53], v[10:11], v[14:15]
	v_mul_f64 v[54:55], v[8:9], v[14:15]
	v_fma_f64 v[52:53], v[8:9], v[12:13], -v[52:53]
	v_fmac_f64_e32 v[54:55], v[10:11], v[12:13]
	ds_read_b128 v[8:11], v67 offset:352
	ds_read_b128 v[12:15], v1 offset:11264
	v_add_f64 v[60:61], v[60:61], v[74:75]
	v_add_f64 v[74:75], v[48:49], v[52:53]
	v_add_f64 v[76:77], v[50:51], v[54:55]
	ds_read_b128 v[48:51], v1 offset:11520
	ds_read_b128 v[52:55], v67 offset:368
	v_add_f64 v[56:57], v[78:79], v[56:57]
	s_waitcnt lgkmcnt(2)
	v_mul_f64 v[78:79], v[10:11], v[14:15]
	v_add_f64 v[58:59], v[80:81], v[58:59]
	v_fma_f64 v[78:79], v[8:9], v[12:13], -v[78:79]
	v_mul_f64 v[80:81], v[8:9], v[14:15]
	v_fmac_f64_e32 v[80:81], v[10:11], v[12:13]
	v_add_f64 v[78:79], v[56:57], v[78:79]
	s_waitcnt lgkmcnt(1)
	v_mul_f64 v[56:57], v[10:11], v[50:51]
	v_add_f64 v[80:81], v[58:59], v[80:81]
	v_fma_f64 v[82:83], v[8:9], v[48:49], -v[56:57]
	ds_read_b128 v[56:59], v67 offset:8544
	v_mul_f64 v[8:9], v[8:9], v[50:51]
	v_fmac_f64_e32 v[8:9], v[10:11], v[48:49]
	v_add_f64 v[60:61], v[60:61], v[82:83]
	v_add_f64 v[62:63], v[62:63], v[8:9]
	ds_read_b128 v[8:11], v67 offset:8560
	s_waitcnt lgkmcnt(1)
	v_mul_f64 v[82:83], v[58:59], v[14:15]
	v_mul_f64 v[14:15], v[56:57], v[14:15]
	v_add_f64 v[6:7], v[84:85], v[6:7]
	v_fma_f64 v[82:83], v[56:57], v[12:13], -v[82:83]
	v_fmac_f64_e32 v[14:15], v[58:59], v[12:13]
	v_add_f64 v[82:83], v[4:5], v[82:83]
	v_add_f64 v[84:85], v[6:7], v[14:15]
	v_mul_f64 v[4:5], v[58:59], v[50:51]
	v_mul_f64 v[14:15], v[56:57], v[50:51]
	v_fma_f64 v[12:13], v[56:57], v[48:49], -v[4:5]
	v_fmac_f64_e32 v[14:15], v[58:59], v[48:49]
	ds_read_b128 v[4:7], v1 offset:11776
	v_add_f64 v[48:49], v[74:75], v[12:13]
	v_add_f64 v[50:51], v[76:77], v[14:15]
	ds_read_b128 v[12:15], v1 offset:12032
	;; [unrolled: 61-line block ×5, first 2 shown]
	s_waitcnt lgkmcnt(1)
	v_mul_f64 v[56:57], v[54:55], v[6:7]
	v_fma_f64 v[56:57], v[52:53], v[4:5], -v[56:57]
	v_mul_f64 v[58:59], v[52:53], v[6:7]
	s_waitcnt lgkmcnt(0)
	v_mul_f64 v[74:75], v[54:55], v[14:15]
	v_fma_f64 v[74:75], v[52:53], v[12:13], -v[74:75]
	v_mul_f64 v[52:53], v[52:53], v[14:15]
	v_fmac_f64_e32 v[52:53], v[54:55], v[12:13]
	v_add_f64 v[62:63], v[62:63], v[52:53]
	v_mul_f64 v[52:53], v[10:11], v[6:7]
	v_fma_f64 v[52:53], v[8:9], v[4:5], -v[52:53]
	v_mul_f64 v[6:7], v[8:9], v[6:7]
	v_fmac_f64_e32 v[58:59], v[54:55], v[4:5]
	v_fmac_f64_e32 v[6:7], v[10:11], v[4:5]
	v_add_f64 v[4:5], v[82:83], v[52:53]
	v_mul_f64 v[52:53], v[10:11], v[14:15]
	v_mul_f64 v[54:55], v[8:9], v[14:15]
	v_fma_f64 v[52:53], v[8:9], v[12:13], -v[52:53]
	v_fmac_f64_e32 v[54:55], v[10:11], v[12:13]
	ds_read_b128 v[8:11], v67 offset:480
	ds_read_b128 v[12:15], v1 offset:15360
	v_add_f64 v[60:61], v[60:61], v[74:75]
	v_add_f64 v[74:75], v[48:49], v[52:53]
	;; [unrolled: 1-line block ×3, first 2 shown]
	ds_read_b128 v[48:51], v1 offset:15616
	ds_read_b128 v[52:55], v67 offset:496
	v_add_f64 v[56:57], v[78:79], v[56:57]
	s_waitcnt lgkmcnt(2)
	v_mul_f64 v[78:79], v[10:11], v[14:15]
	v_add_f64 v[58:59], v[80:81], v[58:59]
	v_fma_f64 v[78:79], v[8:9], v[12:13], -v[78:79]
	v_mul_f64 v[80:81], v[8:9], v[14:15]
	v_fmac_f64_e32 v[80:81], v[10:11], v[12:13]
	v_add_f64 v[78:79], v[56:57], v[78:79]
	s_waitcnt lgkmcnt(1)
	v_mul_f64 v[56:57], v[10:11], v[50:51]
	v_add_f64 v[80:81], v[58:59], v[80:81]
	v_fma_f64 v[82:83], v[8:9], v[48:49], -v[56:57]
	ds_read_b128 v[56:59], v67 offset:8672
	v_mul_f64 v[8:9], v[8:9], v[50:51]
	v_fmac_f64_e32 v[8:9], v[10:11], v[48:49]
	v_add_f64 v[6:7], v[84:85], v[6:7]
	v_add_f64 v[82:83], v[60:61], v[82:83]
	;; [unrolled: 1-line block ×3, first 2 shown]
	ds_read_b128 v[8:11], v67 offset:8688
	s_waitcnt lgkmcnt(1)
	v_mul_f64 v[60:61], v[58:59], v[14:15]
	v_fma_f64 v[60:61], v[56:57], v[12:13], -v[60:61]
	v_mul_f64 v[14:15], v[56:57], v[14:15]
	v_fmac_f64_e32 v[14:15], v[58:59], v[12:13]
	v_add_f64 v[86:87], v[4:5], v[60:61]
	v_mul_f64 v[4:5], v[58:59], v[50:51]
	v_add_f64 v[88:89], v[6:7], v[14:15]
	v_fma_f64 v[12:13], v[56:57], v[48:49], -v[4:5]
	v_mul_f64 v[14:15], v[56:57], v[50:51]
	ds_read_b128 v[4:7], v1 offset:15872
	v_fmac_f64_e32 v[14:15], v[58:59], v[48:49]
	v_add_f64 v[48:49], v[74:75], v[12:13]
	v_add_f64 v[74:75], v[76:77], v[14:15]
	ds_read_b128 v[12:15], v1 offset:16128
	s_waitcnt lgkmcnt(1)
	v_mul_f64 v[50:51], v[54:55], v[6:7]
	v_fma_f64 v[50:51], v[52:53], v[4:5], -v[50:51]
	v_mul_f64 v[56:57], v[52:53], v[6:7]
	v_add_f64 v[60:61], v[78:79], v[50:51]
	s_waitcnt lgkmcnt(0)
	v_mul_f64 v[50:51], v[54:55], v[14:15]
	v_fmac_f64_e32 v[56:57], v[54:55], v[4:5]
	v_fma_f64 v[50:51], v[52:53], v[12:13], -v[50:51]
	v_add_f64 v[62:63], v[80:81], v[56:57]
	v_add_f64 v[56:57], v[82:83], v[50:51]
	v_mul_f64 v[50:51], v[10:11], v[6:7]
	v_mul_f64 v[6:7], v[8:9], v[6:7]
	;; [unrolled: 1-line block ×3, first 2 shown]
	v_fma_f64 v[50:51], v[8:9], v[4:5], -v[50:51]
	v_fmac_f64_e32 v[6:7], v[10:11], v[4:5]
	v_mul_f64 v[4:5], v[10:11], v[14:15]
	v_fmac_f64_e32 v[52:53], v[54:55], v[12:13]
	v_fma_f64 v[4:5], v[8:9], v[12:13], -v[4:5]
	v_add_f64 v[58:59], v[84:85], v[52:53]
	v_add_f64 v[52:53], v[86:87], v[50:51]
	;; [unrolled: 1-line block ×3, first 2 shown]
	v_mov_b32_e32 v4, s51
	v_addc_co_u32_e32 v47, vcc, v47, v4, vcc
	v_add_co_u32_e32 v44, vcc, s50, v44
	v_add_f64 v[54:55], v[88:89], v[6:7]
	v_mul_f64 v[6:7], v[8:9], v[14:15]
	v_addc_co_u32_e32 v45, vcc, v45, v4, vcc
	v_fmac_f64_e32 v[6:7], v[10:11], v[12:13]
	v_add_co_u32_e32 v42, vcc, 0x200, v42
	v_add_f64 v[48:49], v[74:75], v[6:7]
	v_addc_co_u32_e32 v43, vcc, 0, v43, vcc
	s_barrier
	s_cbranch_scc1 .LBB108_55
.LBB108_7:                              ;   Parent Loop BB108_4 Depth=1
                                        ; =>  This Inner Loop Header: Depth=2
	v_mov_b32_e32 v4, s19
	v_add_co_u32_e32 v6, vcc, s18, v16
	v_addc_co_u32_e32 v7, vcc, 0, v4, vcc
	v_add_co_u32_e32 v8, vcc, v46, v34
	v_addc_co_u32_e32 v9, vcc, v47, v35, vcc
	v_cmp_eq_u64_e32 vcc, s[18:19], v[24:25]
	v_cmp_le_i64_e64 s[12:13], s[42:43], v[6:7]
	s_and_b64 s[22:23], s[40:41], vcc
	v_cmp_gt_i64_e32 vcc, v[6:7], v[18:19]
	s_or_b64 s[16:17], s[12:13], vcc
	s_or_b64 s[16:17], s[16:17], s[22:23]
	s_or_b64 s[16:17], s[0:1], s[16:17]
	s_xor_b64 s[16:17], s[16:17], -1
	s_and_saveexec_b64 s[20:21], s[16:17]
	s_xor_b64 s[16:17], exec, s[20:21]
	s_cbranch_execz .LBB108_9
; %bb.8:                                ;   in Loop: Header=BB108_7 Depth=2
	global_load_dwordx4 v[10:13], v[8:9], off offset:-256
	s_waitcnt vmcnt(0)
	ds_write2_b64 v17, v[10:11], v[12:13] offset1:1
.LBB108_9:                              ;   in Loop: Header=BB108_7 Depth=2
	s_or_saveexec_b64 s[16:17], s[16:17]
	s_xor_b64 s[20:21], s[22:23], -1
	s_xor_b64 exec, exec, s[16:17]
	s_cbranch_execz .LBB108_15
; %bb.10:                               ;   in Loop: Header=BB108_7 Depth=2
	s_and_saveexec_b64 s[26:27], s[20:21]
	s_xor_b64 s[26:27], exec, s[26:27]
	s_cbranch_execz .LBB108_12
; %bb.11:                               ;   in Loop: Header=BB108_7 Depth=2
	v_mov_b32_e32 v10, v2
	v_mov_b32_e32 v11, v2
	;; [unrolled: 1-line block ×4, first 2 shown]
	ds_write_b128 v17, v[10:13]
.LBB108_12:                             ;   in Loop: Header=BB108_7 Depth=2
	s_andn2_saveexec_b64 s[26:27], s[26:27]
	s_cbranch_execz .LBB108_14
; %bb.13:                               ;   in Loop: Header=BB108_7 Depth=2
	v_mov_b32_e32 v4, v2
	v_mov_b32_e32 v5, v2
	ds_write_b128 v17, v[2:5]
.LBB108_14:                             ;   in Loop: Header=BB108_7 Depth=2
	s_or_b64 exec, exec, s[26:27]
.LBB108_15:                             ;   in Loop: Header=BB108_7 Depth=2
	s_or_b64 exec, exec, s[16:17]
	v_cmp_eq_u64_e64 s[16:17], s[18:19], v[26:27]
	s_and_b64 s[26:27], s[40:41], s[16:17]
	v_cmp_lt_i64_e64 s[16:17], v[20:21], v[6:7]
	s_or_b64 s[12:13], s[12:13], s[16:17]
	s_or_b64 s[12:13], s[12:13], s[26:27]
	;; [unrolled: 1-line block ×3, first 2 shown]
	s_xor_b64 s[12:13], s[12:13], -1
	s_and_saveexec_b64 s[16:17], s[12:13]
	s_xor_b64 s[12:13], exec, s[16:17]
	s_cbranch_execz .LBB108_17
; %bb.16:                               ;   in Loop: Header=BB108_7 Depth=2
	global_load_dwordx4 v[8:11], v[8:9], off
	s_waitcnt vmcnt(0)
	ds_write2_b64 v64, v[8:9], v[10:11] offset1:1
.LBB108_17:                             ;   in Loop: Header=BB108_7 Depth=2
	s_andn2_saveexec_b64 s[12:13], s[12:13]
	s_cbranch_execz .LBB108_23
; %bb.18:                               ;   in Loop: Header=BB108_7 Depth=2
	s_xor_b64 s[16:17], s[26:27], -1
	s_and_saveexec_b64 s[26:27], s[16:17]
	s_xor_b64 s[16:17], exec, s[26:27]
	s_cbranch_execz .LBB108_20
; %bb.19:                               ;   in Loop: Header=BB108_7 Depth=2
	v_mov_b32_e32 v8, v2
	v_mov_b32_e32 v9, v2
	;; [unrolled: 1-line block ×4, first 2 shown]
	ds_write_b128 v64, v[8:11]
.LBB108_20:                             ;   in Loop: Header=BB108_7 Depth=2
	s_andn2_saveexec_b64 s[16:17], s[16:17]
	s_cbranch_execz .LBB108_22
; %bb.21:                               ;   in Loop: Header=BB108_7 Depth=2
	v_mov_b32_e32 v4, v2
	v_mov_b32_e32 v5, v2
	ds_write_b128 v64, v[2:5]
.LBB108_22:                             ;   in Loop: Header=BB108_7 Depth=2
	s_or_b64 exec, exec, s[16:17]
.LBB108_23:                             ;   in Loop: Header=BB108_7 Depth=2
	s_or_b64 exec, exec, s[12:13]
	v_add_co_u32_e64 v4, s[12:13], 16, v6
	v_addc_co_u32_e64 v5, s[12:13], 0, v7, s[12:13]
	v_cmp_eq_u64_e64 s[16:17], s[18:19], v[28:29]
	v_cmp_le_i64_e64 s[12:13], s[42:43], v[4:5]
	s_and_b64 s[26:27], s[40:41], s[16:17]
	v_cmp_gt_i64_e64 s[16:17], v[4:5], v[18:19]
	s_or_b64 s[16:17], s[12:13], s[16:17]
	s_or_b64 s[16:17], s[16:17], s[26:27]
	;; [unrolled: 1-line block ×3, first 2 shown]
	s_xor_b64 s[16:17], s[16:17], -1
	s_and_saveexec_b64 s[38:39], s[16:17]
	s_xor_b64 s[38:39], exec, s[38:39]
	s_cbranch_execz .LBB108_25
; %bb.24:                               ;   in Loop: Header=BB108_7 Depth=2
	v_add_co_u32_e64 v4, s[16:17], v44, v34
	v_addc_co_u32_e64 v5, s[16:17], v45, v35, s[16:17]
	global_load_dwordx4 v[4:7], v[4:5], off
	s_waitcnt vmcnt(0)
	ds_write2_b64 v65, v[4:5], v[6:7] offset1:1
.LBB108_25:                             ;   in Loop: Header=BB108_7 Depth=2
	s_andn2_saveexec_b64 s[16:17], s[38:39]
	s_cbranch_execz .LBB108_31
; %bb.26:                               ;   in Loop: Header=BB108_7 Depth=2
	s_xor_b64 s[26:27], s[26:27], -1
	s_and_saveexec_b64 s[38:39], s[26:27]
	s_xor_b64 s[26:27], exec, s[38:39]
	s_cbranch_execz .LBB108_28
; %bb.27:                               ;   in Loop: Header=BB108_7 Depth=2
	v_mov_b32_e32 v4, v2
	v_mov_b32_e32 v5, v2
	;; [unrolled: 1-line block ×4, first 2 shown]
	ds_write_b128 v65, v[4:7]
.LBB108_28:                             ;   in Loop: Header=BB108_7 Depth=2
	s_andn2_saveexec_b64 s[26:27], s[26:27]
	s_cbranch_execz .LBB108_30
; %bb.29:                               ;   in Loop: Header=BB108_7 Depth=2
	v_mov_b32_e32 v4, v2
	v_mov_b32_e32 v5, v2
	ds_write_b128 v65, v[2:5]
.LBB108_30:                             ;   in Loop: Header=BB108_7 Depth=2
	s_or_b64 exec, exec, s[26:27]
.LBB108_31:                             ;   in Loop: Header=BB108_7 Depth=2
	s_or_b64 exec, exec, s[16:17]
	s_or_b64 s[12:13], s[12:13], vcc
	s_or_b64 s[12:13], s[12:13], s[22:23]
	s_or_b64 s[12:13], s[2:3], s[12:13]
	s_xor_b64 s[12:13], s[12:13], -1
	s_and_saveexec_b64 s[16:17], s[12:13]
	s_xor_b64 s[12:13], exec, s[16:17]
	s_cbranch_execz .LBB108_33
; %bb.32:                               ;   in Loop: Header=BB108_7 Depth=2
	v_add_co_u32_e32 v4, vcc, v44, v34
	v_addc_co_u32_e32 v5, vcc, v45, v35, vcc
	global_load_dwordx4 v[4:7], v[4:5], off offset:256
	s_waitcnt vmcnt(0)
	ds_write2_b64 v66, v[4:5], v[6:7] offset1:1
.LBB108_33:                             ;   in Loop: Header=BB108_7 Depth=2
	s_andn2_saveexec_b64 s[12:13], s[12:13]
	s_cbranch_execz .LBB108_39
; %bb.34:                               ;   in Loop: Header=BB108_7 Depth=2
	s_and_saveexec_b64 s[16:17], s[20:21]
	s_xor_b64 s[16:17], exec, s[16:17]
	s_cbranch_execz .LBB108_36
; %bb.35:                               ;   in Loop: Header=BB108_7 Depth=2
	v_mov_b32_e32 v4, v2
	v_mov_b32_e32 v5, v2
	;; [unrolled: 1-line block ×4, first 2 shown]
	ds_write_b128 v66, v[4:7]
.LBB108_36:                             ;   in Loop: Header=BB108_7 Depth=2
	s_andn2_saveexec_b64 s[16:17], s[16:17]
	s_cbranch_execz .LBB108_38
; %bb.37:                               ;   in Loop: Header=BB108_7 Depth=2
	v_mov_b32_e32 v4, v2
	v_mov_b32_e32 v5, v2
	ds_write_b128 v66, v[2:5]
.LBB108_38:                             ;   in Loop: Header=BB108_7 Depth=2
	s_or_b64 exec, exec, s[16:17]
.LBB108_39:                             ;   in Loop: Header=BB108_7 Depth=2
	s_or_b64 exec, exec, s[12:13]
	v_mov_b32_e32 v5, s19
	v_add_co_u32_e32 v4, vcc, s18, v0
	v_addc_co_u32_e32 v5, vcc, 0, v5, vcc
	v_cmp_gt_i64_e32 vcc, s[42:43], v[4:5]
	s_and_b64 s[12:13], s[8:9], vcc
	s_xor_b64 s[12:13], s[12:13], -1
	s_and_saveexec_b64 s[16:17], s[12:13]
	s_xor_b64 s[12:13], exec, s[16:17]
	s_cbranch_execz .LBB108_41
; %bb.40:                               ;   in Loop: Header=BB108_7 Depth=2
	v_mov_b32_e32 v6, v2
	v_mov_b32_e32 v7, v2
	;; [unrolled: 1-line block ×4, first 2 shown]
	ds_write_b128 v68, v[6:9]
.LBB108_41:                             ;   in Loop: Header=BB108_7 Depth=2
	s_andn2_saveexec_b64 s[12:13], s[12:13]
	s_cbranch_execz .LBB108_43
; %bb.42:                               ;   in Loop: Header=BB108_7 Depth=2
	global_load_dwordx4 v[6:9], v[40:41], off offset:-256
	s_waitcnt vmcnt(0)
	ds_write2_b64 v68, v[6:7], v[8:9] offset1:1
.LBB108_43:                             ;   in Loop: Header=BB108_7 Depth=2
	s_or_b64 exec, exec, s[12:13]
	v_cmp_gt_i64_e64 s[12:13], s[52:53], v[4:5]
	s_and_b64 s[16:17], s[8:9], s[12:13]
	s_xor_b64 s[16:17], s[16:17], -1
	s_and_saveexec_b64 s[20:21], s[16:17]
	s_xor_b64 s[16:17], exec, s[20:21]
	s_cbranch_execz .LBB108_45
; %bb.44:                               ;   in Loop: Header=BB108_7 Depth=2
	v_mov_b32_e32 v4, v2
	v_mov_b32_e32 v5, v2
	v_mov_b32_e32 v6, v2
	v_mov_b32_e32 v7, v2
	ds_write_b128 v69, v[4:7]
.LBB108_45:                             ;   in Loop: Header=BB108_7 Depth=2
	s_andn2_saveexec_b64 s[16:17], s[16:17]
	s_cbranch_execz .LBB108_47
; %bb.46:                               ;   in Loop: Header=BB108_7 Depth=2
	global_load_dwordx4 v[4:7], v[40:41], off
	s_waitcnt vmcnt(0)
	ds_write2_b64 v69, v[4:5], v[6:7] offset1:1
.LBB108_47:                             ;   in Loop: Header=BB108_7 Depth=2
	s_or_b64 exec, exec, s[16:17]
	s_and_b64 s[16:17], s[10:11], vcc
	s_xor_b64 s[16:17], s[16:17], -1
	s_and_saveexec_b64 s[20:21], s[16:17]
	s_xor_b64 s[16:17], exec, s[20:21]
	s_cbranch_execz .LBB108_49
; %bb.48:                               ;   in Loop: Header=BB108_7 Depth=2
	v_mov_b32_e32 v4, v2
	v_mov_b32_e32 v5, v2
	v_mov_b32_e32 v6, v2
	v_mov_b32_e32 v7, v2
	ds_write_b128 v70, v[4:7]
.LBB108_49:                             ;   in Loop: Header=BB108_7 Depth=2
	s_andn2_saveexec_b64 s[16:17], s[16:17]
	s_cbranch_execz .LBB108_51
; %bb.50:                               ;   in Loop: Header=BB108_7 Depth=2
	global_load_dwordx4 v[4:7], v[42:43], off offset:-256
	s_waitcnt vmcnt(0)
	ds_write2_b64 v70, v[4:5], v[6:7] offset1:1
.LBB108_51:                             ;   in Loop: Header=BB108_7 Depth=2
	s_or_b64 exec, exec, s[16:17]
	s_and_b64 s[12:13], s[10:11], s[12:13]
	s_xor_b64 s[12:13], s[12:13], -1
	s_and_saveexec_b64 s[16:17], s[12:13]
	s_xor_b64 s[12:13], exec, s[16:17]
	s_cbranch_execz .LBB108_53
; %bb.52:                               ;   in Loop: Header=BB108_7 Depth=2
	v_mov_b32_e32 v4, v2
	v_mov_b32_e32 v5, v2
	;; [unrolled: 1-line block ×4, first 2 shown]
	ds_write_b128 v71, v[4:7]
.LBB108_53:                             ;   in Loop: Header=BB108_7 Depth=2
	s_andn2_saveexec_b64 s[12:13], s[12:13]
	s_cbranch_execz .LBB108_6
; %bb.54:                               ;   in Loop: Header=BB108_7 Depth=2
	global_load_dwordx4 v[4:7], v[42:43], off
	s_waitcnt vmcnt(0)
	ds_write2_b64 v71, v[4:5], v[6:7] offset1:1
	s_branch .LBB108_6
.LBB108_55:                             ;   in Loop: Header=BB108_4 Depth=1
	v_mul_lo_u32 v6, v73, s48
	v_mul_lo_u32 v7, v72, s49
	v_mad_u64_u32 v[4:5], s[8:9], v72, s48, 0
	v_add3_u32 v5, v5, v7, v6
	v_lshlrev_b64 v[4:5], 4, v[4:5]
	v_mov_b32_e32 v6, s55
	v_add_co_u32_e64 v4, s[8:9], s54, v4
	v_cmp_gt_i32_e32 vcc, s46, v72
	v_addc_co_u32_e64 v5, s[8:9], v6, v5, s[8:9]
	s_and_b64 s[8:9], s[4:5], vcc
	s_and_saveexec_b64 s[10:11], s[8:9]
	s_cbranch_execz .LBB108_57
; %bb.56:                               ;   in Loop: Header=BB108_4 Depth=1
	v_add_co_u32_e64 v10, s[8:9], v4, v34
	v_addc_co_u32_e64 v11, s[8:9], v5, v35, s[8:9]
	global_load_dwordx4 v[6:9], v[10:11], off
	v_mul_f64 v[12:13], s[30:31], v[62:63]
	v_mul_f64 v[14:15], s[28:29], v[62:63]
	v_fma_f64 v[12:13], s[28:29], v[60:61], -v[12:13]
	v_fmac_f64_e32 v[14:15], s[30:31], v[60:61]
	s_waitcnt vmcnt(0)
	v_add_f64 v[6:7], v[6:7], v[12:13]
	v_add_f64 v[8:9], v[8:9], v[14:15]
	global_store_dwordx4 v[10:11], v[6:9], off
.LBB108_57:                             ;   in Loop: Header=BB108_4 Depth=1
	s_or_b64 exec, exec, s[10:11]
	s_and_b64 s[10:11], s[14:15], vcc
	s_and_saveexec_b64 s[8:9], s[10:11]
	s_cbranch_execz .LBB108_59
; %bb.58:                               ;   in Loop: Header=BB108_4 Depth=1
	v_lshlrev_b64 v[6:7], 4, v[22:23]
	v_add_co_u32_e32 v8, vcc, v4, v6
	v_addc_co_u32_e32 v9, vcc, v5, v7, vcc
	global_load_dwordx4 v[4:7], v[8:9], off
	v_mul_f64 v[10:11], s[30:31], v[58:59]
	v_mul_f64 v[12:13], s[28:29], v[58:59]
	v_fma_f64 v[10:11], s[28:29], v[56:57], -v[10:11]
	v_fmac_f64_e32 v[12:13], s[30:31], v[56:57]
	s_waitcnt vmcnt(0)
	v_add_f64 v[4:5], v[4:5], v[10:11]
	v_add_f64 v[6:7], v[6:7], v[12:13]
	global_store_dwordx4 v[8:9], v[4:7], off
.LBB108_59:                             ;   in Loop: Header=BB108_4 Depth=1
	s_or_b64 exec, exec, s[8:9]
	v_add_u32_e32 v4, 16, v72
	v_ashrrev_i32_e32 v5, 31, v4
	v_cmp_gt_i32_e32 vcc, s46, v4
	v_mul_lo_u32 v6, v5, s48
	v_mul_lo_u32 v7, v4, s49
	v_mad_u64_u32 v[4:5], s[8:9], v4, s48, 0
	v_add3_u32 v5, v5, v7, v6
	v_lshlrev_b64 v[4:5], 4, v[4:5]
	v_mov_b32_e32 v6, s55
	v_add_co_u32_e64 v4, s[8:9], s54, v4
	v_addc_co_u32_e64 v5, s[8:9], v6, v5, s[8:9]
	s_and_b64 s[8:9], s[4:5], vcc
	s_and_saveexec_b64 s[10:11], s[8:9]
	s_cbranch_execz .LBB108_61
; %bb.60:                               ;   in Loop: Header=BB108_4 Depth=1
	v_add_co_u32_e64 v10, s[8:9], v4, v34
	v_addc_co_u32_e64 v11, s[8:9], v5, v35, s[8:9]
	global_load_dwordx4 v[6:9], v[10:11], off
	v_mul_f64 v[12:13], s[30:31], v[54:55]
	v_mul_f64 v[14:15], s[28:29], v[54:55]
	v_fma_f64 v[12:13], s[28:29], v[52:53], -v[12:13]
	v_fmac_f64_e32 v[14:15], s[30:31], v[52:53]
	s_waitcnt vmcnt(0)
	v_add_f64 v[6:7], v[6:7], v[12:13]
	v_add_f64 v[8:9], v[8:9], v[14:15]
	global_store_dwordx4 v[10:11], v[6:9], off
.LBB108_61:                             ;   in Loop: Header=BB108_4 Depth=1
	s_or_b64 exec, exec, s[10:11]
	s_and_b64 s[10:11], s[14:15], vcc
	s_and_saveexec_b64 s[8:9], s[10:11]
	s_cbranch_execz .LBB108_3
; %bb.62:                               ;   in Loop: Header=BB108_4 Depth=1
	v_lshlrev_b64 v[6:7], 4, v[22:23]
	v_add_co_u32_e32 v8, vcc, v4, v6
	v_addc_co_u32_e32 v9, vcc, v5, v7, vcc
	global_load_dwordx4 v[4:7], v[8:9], off
	v_mul_f64 v[10:11], s[30:31], v[48:49]
	v_mul_f64 v[12:13], s[28:29], v[48:49]
	v_fma_f64 v[10:11], s[28:29], v[50:51], -v[10:11]
	v_fmac_f64_e32 v[12:13], s[30:31], v[50:51]
	s_waitcnt vmcnt(0)
	v_add_f64 v[4:5], v[4:5], v[10:11]
	v_add_f64 v[6:7], v[6:7], v[12:13]
	global_store_dwordx4 v[8:9], v[4:7], off
	s_branch .LBB108_3
.LBB108_63:
	s_endpgm
	.section	.rodata,"a",@progbits
	.p2align	6, 0x0
	.amdhsa_kernel _ZL30rocblas_trmm_outofplace_kernelI19rocblas_complex_numIdELi32ELi2ELb1ELb0ELb0ELb0EPKS1_S2_S1_Ev17rocblas_diagonal_iiT6_lPT7_lllS7_lllPT8_llli
		.amdhsa_group_segment_fixed_size 32768
		.amdhsa_private_segment_fixed_size 0
		.amdhsa_kernarg_size 392
		.amdhsa_user_sgpr_count 6
		.amdhsa_user_sgpr_private_segment_buffer 1
		.amdhsa_user_sgpr_dispatch_ptr 0
		.amdhsa_user_sgpr_queue_ptr 0
		.amdhsa_user_sgpr_kernarg_segment_ptr 1
		.amdhsa_user_sgpr_dispatch_id 0
		.amdhsa_user_sgpr_flat_scratch_init 0
		.amdhsa_user_sgpr_kernarg_preload_length 0
		.amdhsa_user_sgpr_kernarg_preload_offset 0
		.amdhsa_user_sgpr_private_segment_size 0
		.amdhsa_uses_dynamic_stack 0
		.amdhsa_system_sgpr_private_segment_wavefront_offset 0
		.amdhsa_system_sgpr_workgroup_id_x 1
		.amdhsa_system_sgpr_workgroup_id_y 1
		.amdhsa_system_sgpr_workgroup_id_z 1
		.amdhsa_system_sgpr_workgroup_info 0
		.amdhsa_system_vgpr_workitem_id 1
		.amdhsa_next_free_vgpr 92
		.amdhsa_next_free_sgpr 58
		.amdhsa_accum_offset 92
		.amdhsa_reserve_vcc 1
		.amdhsa_reserve_flat_scratch 0
		.amdhsa_float_round_mode_32 0
		.amdhsa_float_round_mode_16_64 0
		.amdhsa_float_denorm_mode_32 3
		.amdhsa_float_denorm_mode_16_64 3
		.amdhsa_dx10_clamp 1
		.amdhsa_ieee_mode 1
		.amdhsa_fp16_overflow 0
		.amdhsa_tg_split 0
		.amdhsa_exception_fp_ieee_invalid_op 0
		.amdhsa_exception_fp_denorm_src 0
		.amdhsa_exception_fp_ieee_div_zero 0
		.amdhsa_exception_fp_ieee_overflow 0
		.amdhsa_exception_fp_ieee_underflow 0
		.amdhsa_exception_fp_ieee_inexact 0
		.amdhsa_exception_int_div_zero 0
	.end_amdhsa_kernel
	.section	.text._ZL30rocblas_trmm_outofplace_kernelI19rocblas_complex_numIdELi32ELi2ELb1ELb0ELb0ELb0EPKS1_S2_S1_Ev17rocblas_diagonal_iiT6_lPT7_lllS7_lllPT8_llli,"axG",@progbits,_ZL30rocblas_trmm_outofplace_kernelI19rocblas_complex_numIdELi32ELi2ELb1ELb0ELb0ELb0EPKS1_S2_S1_Ev17rocblas_diagonal_iiT6_lPT7_lllS7_lllPT8_llli,comdat
.Lfunc_end108:
	.size	_ZL30rocblas_trmm_outofplace_kernelI19rocblas_complex_numIdELi32ELi2ELb1ELb0ELb0ELb0EPKS1_S2_S1_Ev17rocblas_diagonal_iiT6_lPT7_lllS7_lllPT8_llli, .Lfunc_end108-_ZL30rocblas_trmm_outofplace_kernelI19rocblas_complex_numIdELi32ELi2ELb1ELb0ELb0ELb0EPKS1_S2_S1_Ev17rocblas_diagonal_iiT6_lPT7_lllS7_lllPT8_llli
                                        ; -- End function
	.section	.AMDGPU.csdata,"",@progbits
; Kernel info:
; codeLenInByte = 9500
; NumSgprs: 62
; NumVgprs: 92
; NumAgprs: 0
; TotalNumVgprs: 92
; ScratchSize: 0
; MemoryBound: 0
; FloatMode: 240
; IeeeMode: 1
; LDSByteSize: 32768 bytes/workgroup (compile time only)
; SGPRBlocks: 7
; VGPRBlocks: 11
; NumSGPRsForWavesPerEU: 62
; NumVGPRsForWavesPerEU: 92
; AccumOffset: 92
; Occupancy: 5
; WaveLimiterHint : 0
; COMPUTE_PGM_RSRC2:SCRATCH_EN: 0
; COMPUTE_PGM_RSRC2:USER_SGPR: 6
; COMPUTE_PGM_RSRC2:TRAP_HANDLER: 0
; COMPUTE_PGM_RSRC2:TGID_X_EN: 1
; COMPUTE_PGM_RSRC2:TGID_Y_EN: 1
; COMPUTE_PGM_RSRC2:TGID_Z_EN: 1
; COMPUTE_PGM_RSRC2:TIDIG_COMP_CNT: 1
; COMPUTE_PGM_RSRC3_GFX90A:ACCUM_OFFSET: 22
; COMPUTE_PGM_RSRC3_GFX90A:TG_SPLIT: 0
	.section	.text._ZL30rocblas_trmm_outofplace_kernelI19rocblas_complex_numIdELi32ELi2ELb1ELb0ELb0ELb0ES1_KS1_S1_Ev17rocblas_diagonal_iiT6_lPT7_lllS6_lllPT8_llli,"axG",@progbits,_ZL30rocblas_trmm_outofplace_kernelI19rocblas_complex_numIdELi32ELi2ELb1ELb0ELb0ELb0ES1_KS1_S1_Ev17rocblas_diagonal_iiT6_lPT7_lllS6_lllPT8_llli,comdat
	.globl	_ZL30rocblas_trmm_outofplace_kernelI19rocblas_complex_numIdELi32ELi2ELb1ELb0ELb0ELb0ES1_KS1_S1_Ev17rocblas_diagonal_iiT6_lPT7_lllS6_lllPT8_llli ; -- Begin function _ZL30rocblas_trmm_outofplace_kernelI19rocblas_complex_numIdELi32ELi2ELb1ELb0ELb0ELb0ES1_KS1_S1_Ev17rocblas_diagonal_iiT6_lPT7_lllS6_lllPT8_llli
	.p2align	8
	.type	_ZL30rocblas_trmm_outofplace_kernelI19rocblas_complex_numIdELi32ELi2ELb1ELb0ELb0ELb0ES1_KS1_S1_Ev17rocblas_diagonal_iiT6_lPT7_lllS6_lllPT8_llli,@function
_ZL30rocblas_trmm_outofplace_kernelI19rocblas_complex_numIdELi32ELi2ELb1ELb0ELb0ELb0ES1_KS1_S1_Ev17rocblas_diagonal_iiT6_lPT7_lllS6_lllPT8_llli: ; @_ZL30rocblas_trmm_outofplace_kernelI19rocblas_complex_numIdELi32ELi2ELb1ELb0ELb0ELb0ES1_KS1_S1_Ev17rocblas_diagonal_iiT6_lPT7_lllS6_lllPT8_llli
; %bb.0:
	s_load_dwordx4 s[44:47], s[4:5], 0x10
	s_waitcnt lgkmcnt(0)
	v_cmp_eq_f64_e64 s[0:1], s[44:45], 0
	v_cmp_eq_f64_e64 s[2:3], s[46:47], 0
	s_and_b64 s[0:1], s[0:1], s[2:3]
	s_and_b64 vcc, exec, s[0:1]
	s_cbranch_vccnz .LBB109_63
; %bb.1:
	s_load_dwordx4 s[48:51], s[4:5], 0x0
	s_waitcnt lgkmcnt(0)
	s_add_i32 s0, s50, -1
	s_ashr_i32 s1, s0, 31
	s_lshr_b32 s1, s1, 27
	s_add_i32 s0, s0, s1
	s_ashr_i32 s33, s0, 5
	s_cmp_gt_i32 s7, s33
	s_cbranch_scc1 .LBB109_63
; %bb.2:
	s_load_dwordx8 s[36:43], s[4:5], 0x68
	s_load_dwordx16 s[16:31], s[4:5], 0x28
	v_bfe_u32 v16, v0, 10, 10
	v_and_b32_e32 v0, 0x3ff, v0
	v_lshlrev_b32_e32 v3, 9, v16
	s_waitcnt lgkmcnt(0)
	s_mul_i32 s1, s8, s43
	s_mul_hi_u32 s2, s8, s42
	s_mul_i32 s0, s8, s42
	s_add_i32 s1, s2, s1
	s_lshl_b64 s[0:1], s[0:1], 4
	s_add_u32 s2, s36, s0
	s_addc_u32 s3, s37, s1
	s_lshl_b64 s[0:1], s[38:39], 4
	s_add_u32 s51, s2, s0
	s_addc_u32 s54, s3, s1
	s_lshl_b32 s55, s6, 5
	s_cmp_gt_i32 s6, -1
	v_add_u32_e32 v18, s55, v0
	s_cselect_b64 s[34:35], -1, 0
	s_cmpk_eq_i32 s48, 0x84
	v_ashrrev_i32_e32 v19, 31, v18
	s_cselect_b64 s[36:37], -1, 0
	s_ashr_i32 s39, s49, 31
	s_ashr_i32 s6, s50, 31
	s_lshl_b64 s[42:43], s[20:21], 9
	v_add_co_u32_e32 v20, vcc, 16, v18
	v_addc_co_u32_e32 v21, vcc, 0, v19, vcc
	s_add_u32 s52, s49, -16
	s_mul_i32 s9, s31, s8
	s_mul_hi_u32 s10, s30, s8
	s_addc_u32 s53, s39, -1
	v_sub_co_u32_e32 v24, vcc, v18, v16
	s_add_i32 s11, s10, s9
	s_mul_i32 s10, s30, s8
	v_subbrev_co_u32_e32 v25, vcc, 0, v19, vcc
	s_lshl_b64 s[10:11], s[10:11], 4
	s_lshl_b64 s[12:13], s[26:27], 4
	v_add_co_u32_e32 v26, vcc, 16, v24
	s_add_u32 s9, s10, s12
	v_addc_co_u32_e32 v27, vcc, 0, v25, vcc
	s_addc_u32 s10, s11, s13
	v_add_co_u32_e32 v28, vcc, -16, v24
	s_add_u32 s9, s24, s9
	v_lshlrev_b32_e32 v1, 4, v0
	v_addc_co_u32_e32 v29, vcc, -1, v25, vcc
	s_addc_u32 s10, s25, s10
	s_load_dword s48, s[4:5], 0x94
	v_add_u32_e32 v17, v1, v3
	v_add_u32_e32 v67, 0x4000, v3
	v_mov_b32_e32 v3, s10
	v_add_co_u32_e32 v4, vcc, s9, v1
	s_movk_i32 s56, 0x100
	v_addc_co_u32_e32 v3, vcc, 0, v3, vcc
	s_mul_i32 s9, s23, s8
	s_mul_hi_u32 s10, s22, s8
	v_add_co_u32_e32 v30, vcc, s56, v4
	s_add_i32 s9, s10, s9
	v_mad_u64_u32 v[4:5], s[10:11], s20, v16, 0
	v_mov_b32_e32 v6, v5
	v_add_u32_e32 v22, 16, v18
	s_mul_i32 s8, s22, s8
	v_mad_u64_u32 v[6:7], s[10:11], s21, v16, v[6:7]
	s_mov_b32 s38, s49
	v_cmp_le_i32_e64 s[0:1], s49, v18
	v_cmp_gt_i32_e64 s[4:5], s49, v18
	v_cmp_gt_i32_e64 s[14:15], s49, v22
	s_lshl_b64 s[24:25], s[28:29], 4
	s_waitcnt lgkmcnt(0)
	s_lshl_b32 s49, s48, 5
	s_lshl_b64 s[8:9], s[8:9], 4
	s_lshl_b64 s[10:11], s[18:19], 4
	s_add_u32 s10, s16, s10
	s_addc_u32 s11, s17, s11
	v_mov_b32_e32 v5, v6
	s_add_u32 s8, s10, s8
	v_addc_co_u32_e32 v31, vcc, 0, v3, vcc
	v_lshlrev_b64 v[4:5], 4, v[4:5]
	s_addc_u32 s9, s11, s9
	v_mov_b32_e32 v3, s9
	v_add_co_u32_e32 v4, vcc, s8, v4
	v_addc_co_u32_e32 v3, vcc, v3, v5, vcc
	v_add_co_u32_e32 v36, vcc, s56, v4
	v_addc_co_u32_e32 v37, vcc, 0, v3, vcc
	v_mov_b32_e32 v3, 0x100
	v_lshl_add_u32 v3, v16, 4, v3
	v_pk_mov_b32 v[4:5], s[8:9], s[8:9] op_sel:[0,1]
	v_mad_u64_u32 v[38:39], s[8:9], s20, v3, v[4:5]
	v_mov_b32_e32 v4, v39
	v_add_u32_e32 v68, v67, v1
	v_mad_u64_u32 v[4:5], s[8:9], s21, v3, v[4:5]
	v_mov_b32_e32 v2, 0
	v_cmp_le_i64_e64 s[2:3], s[38:39], v[20:21]
	v_add_u32_e32 v64, 0x100, v17
	v_add_u32_e32 v65, 0x2000, v17
	;; [unrolled: 1-line block ×6, first 2 shown]
	v_ashrrev_i32_e32 v23, 31, v22
	v_lshl_add_u32 v32, s7, 5, v16
	v_lshlrev_b64 v[34:35], 4, v[18:19]
	v_mov_b32_e32 v39, v4
	v_mov_b32_e32 v3, 0x3ff00000
	s_movk_i32 s56, 0x200
	s_branch .LBB109_4
.LBB109_3:                              ;   in Loop: Header=BB109_4 Depth=1
	s_or_b64 exec, exec, s[8:9]
	s_add_i32 s7, s48, s7
	s_cmp_le_i32 s7, s33
	v_add_u32_e32 v32, s49, v32
	s_cbranch_scc0 .LBB109_63
.LBB109_4:                              ; =>This Loop Header: Depth=1
                                        ;     Child Loop BB109_7 Depth 2
	v_lshl_add_u32 v72, s7, 5, v16
	v_pk_mov_b32 v[60:61], 0, 0
	v_ashrrev_i32_e32 v73, 31, v72
	s_mov_b64 s[18:19], 0
	s_andn2_b64 vcc, exec, s[34:35]
	v_pk_mov_b32 v[62:63], v[60:61], v[60:61] op_sel:[0,1]
	v_pk_mov_b32 v[56:57], v[60:61], v[60:61] op_sel:[0,1]
	;; [unrolled: 1-line block ×7, first 2 shown]
	s_cbranch_vccnz .LBB109_55
; %bb.5:                                ;   in Loop: Header=BB109_4 Depth=1
	v_ashrrev_i32_e32 v33, 31, v32
	v_mad_u64_u32 v[40:41], s[8:9], s24, v32, v[30:31]
	v_mul_lo_u32 v4, s25, v32
	v_mul_lo_u32 v5, s24, v33
	v_add3_u32 v41, v4, v41, v5
	v_lshlrev_b64 v[4:5], 4, v[32:33]
	v_add_co_u32_e32 v4, vcc, 0x100, v4
	v_addc_co_u32_e32 v5, vcc, 0, v5, vcc
	v_mul_lo_u32 v5, s28, v5
	v_mul_lo_u32 v6, s29, v4
	v_mad_u64_u32 v[42:43], s[8:9], s28, v4, v[30:31]
	v_add3_u32 v43, v6, v43, v5
	v_mov_b32_e32 v5, s6
	v_sub_co_u32_e32 v4, vcc, s50, v72
	v_subb_co_u32_e32 v5, vcc, v5, v73, vcc
	v_pk_mov_b32 v[48:49], 0, 0
	v_cmp_lt_i64_e64 s[8:9], 0, v[4:5]
	v_cmp_lt_i64_e64 s[10:11], 16, v[4:5]
	v_pk_mov_b32 v[44:45], v[38:39], v[38:39] op_sel:[0,1]
	v_pk_mov_b32 v[46:47], v[36:37], v[36:37] op_sel:[0,1]
	;; [unrolled: 1-line block ×9, first 2 shown]
	s_branch .LBB109_7
.LBB109_6:                              ;   in Loop: Header=BB109_7 Depth=2
	s_or_b64 exec, exec, s[12:13]
	s_waitcnt lgkmcnt(0)
	s_barrier
	ds_read_b128 v[74:77], v1
	ds_read_b128 v[78:81], v67
	ds_read_b128 v[12:15], v67 offset:16
	ds_read_b128 v[8:11], v67 offset:32
	;; [unrolled: 1-line block ×4, first 2 shown]
	s_waitcnt lgkmcnt(4)
	v_mul_f64 v[86:87], v[80:81], v[76:77]
	v_fma_f64 v[86:87], v[78:79], v[74:75], -v[86:87]
	v_mul_f64 v[88:89], v[78:79], v[76:77]
	v_fmac_f64_e32 v[88:89], v[80:81], v[74:75]
	v_add_f64 v[86:87], v[60:61], v[86:87]
	s_waitcnt lgkmcnt(0)
	v_mul_f64 v[60:61], v[80:81], v[84:85]
	v_add_f64 v[88:89], v[62:63], v[88:89]
	v_fma_f64 v[90:91], v[78:79], v[82:83], -v[60:61]
	ds_read_b128 v[60:63], v67 offset:8192
	v_mul_f64 v[78:79], v[78:79], v[84:85]
	v_fmac_f64_e32 v[78:79], v[80:81], v[82:83]
	v_add_f64 v[80:81], v[56:57], v[90:91]
	v_add_f64 v[78:79], v[58:59], v[78:79]
	ds_read_b128 v[56:59], v67 offset:8208
	s_waitcnt lgkmcnt(1)
	v_mul_f64 v[90:91], v[62:63], v[76:77]
	v_fma_f64 v[90:91], v[60:61], v[74:75], -v[90:91]
	v_mul_f64 v[76:77], v[60:61], v[76:77]
	v_fmac_f64_e32 v[76:77], v[62:63], v[74:75]
	v_add_f64 v[74:75], v[52:53], v[90:91]
	v_mul_f64 v[52:53], v[62:63], v[84:85]
	v_add_f64 v[76:77], v[54:55], v[76:77]
	v_fma_f64 v[90:91], v[60:61], v[82:83], -v[52:53]
	v_mul_f64 v[60:61], v[60:61], v[84:85]
	ds_read_b128 v[52:55], v1 offset:512
	v_fmac_f64_e32 v[60:61], v[62:63], v[82:83]
	v_add_f64 v[62:63], v[50:51], v[90:91]
	v_add_f64 v[60:61], v[48:49], v[60:61]
	ds_read_b128 v[48:51], v1 offset:768
	s_waitcnt lgkmcnt(1)
	v_mul_f64 v[82:83], v[14:15], v[54:55]
	v_fma_f64 v[82:83], v[12:13], v[52:53], -v[82:83]
	v_add_f64 v[82:83], v[86:87], v[82:83]
	v_mul_f64 v[84:85], v[12:13], v[54:55]
	s_waitcnt lgkmcnt(0)
	v_mul_f64 v[86:87], v[14:15], v[50:51]
	v_fma_f64 v[86:87], v[12:13], v[48:49], -v[86:87]
	v_mul_f64 v[12:13], v[12:13], v[50:51]
	v_fmac_f64_e32 v[12:13], v[14:15], v[48:49]
	v_fmac_f64_e32 v[84:85], v[14:15], v[52:53]
	v_add_f64 v[78:79], v[78:79], v[12:13]
	v_mul_f64 v[12:13], v[58:59], v[54:55]
	v_mul_f64 v[14:15], v[56:57], v[54:55]
	v_fma_f64 v[12:13], v[56:57], v[52:53], -v[12:13]
	v_fmac_f64_e32 v[14:15], v[58:59], v[52:53]
	v_mul_f64 v[52:53], v[58:59], v[50:51]
	v_fma_f64 v[54:55], v[56:57], v[48:49], -v[52:53]
	v_mul_f64 v[56:57], v[56:57], v[50:51]
	ds_read_b128 v[50:53], v1 offset:1024
	v_fmac_f64_e32 v[56:57], v[58:59], v[48:49]
	v_add_f64 v[48:49], v[62:63], v[54:55]
	v_add_f64 v[62:63], v[60:61], v[56:57]
	ds_read_b128 v[54:57], v1 offset:1280
	s_waitcnt lgkmcnt(1)
	v_mul_f64 v[58:59], v[10:11], v[52:53]
	v_fma_f64 v[58:59], v[8:9], v[50:51], -v[58:59]
	v_mul_f64 v[60:61], v[8:9], v[52:53]
	v_add_f64 v[84:85], v[88:89], v[84:85]
	v_add_f64 v[12:13], v[74:75], v[12:13]
	v_fmac_f64_e32 v[60:61], v[10:11], v[50:51]
	v_add_f64 v[74:75], v[82:83], v[58:59]
	s_waitcnt lgkmcnt(0)
	v_mul_f64 v[58:59], v[10:11], v[56:57]
	v_add_f64 v[14:15], v[76:77], v[14:15]
	v_add_f64 v[76:77], v[84:85], v[60:61]
	v_fma_f64 v[82:83], v[8:9], v[54:55], -v[58:59]
	ds_read_b128 v[58:61], v67 offset:8224
	v_mul_f64 v[8:9], v[8:9], v[56:57]
	v_add_f64 v[80:81], v[80:81], v[86:87]
	v_fmac_f64_e32 v[8:9], v[10:11], v[54:55]
	v_add_f64 v[80:81], v[80:81], v[82:83]
	v_add_f64 v[78:79], v[78:79], v[8:9]
	ds_read_b128 v[8:11], v67 offset:8240
	s_waitcnt lgkmcnt(1)
	v_mul_f64 v[82:83], v[60:61], v[52:53]
	v_fma_f64 v[82:83], v[58:59], v[50:51], -v[82:83]
	v_mul_f64 v[52:53], v[58:59], v[52:53]
	v_add_f64 v[82:83], v[12:13], v[82:83]
	v_mul_f64 v[12:13], v[60:61], v[56:57]
	v_fmac_f64_e32 v[52:53], v[60:61], v[50:51]
	v_fma_f64 v[50:51], v[58:59], v[54:55], -v[12:13]
	v_mul_f64 v[56:57], v[58:59], v[56:57]
	v_add_f64 v[52:53], v[14:15], v[52:53]
	ds_read_b128 v[12:15], v1 offset:1536
	v_fmac_f64_e32 v[56:57], v[60:61], v[54:55]
	v_add_f64 v[54:55], v[48:49], v[50:51]
	ds_read_b128 v[48:51], v1 offset:1792
	v_add_f64 v[56:57], v[62:63], v[56:57]
	s_waitcnt lgkmcnt(1)
	v_mul_f64 v[58:59], v[6:7], v[14:15]
	v_fma_f64 v[58:59], v[4:5], v[12:13], -v[58:59]
	v_mul_f64 v[60:61], v[4:5], v[14:15]
	s_waitcnt lgkmcnt(0)
	v_mul_f64 v[62:63], v[6:7], v[50:51]
	v_fma_f64 v[62:63], v[4:5], v[48:49], -v[62:63]
	v_mul_f64 v[4:5], v[4:5], v[50:51]
	v_fmac_f64_e32 v[4:5], v[6:7], v[48:49]
	v_fmac_f64_e32 v[60:61], v[6:7], v[12:13]
	v_add_f64 v[58:59], v[74:75], v[58:59]
	v_add_f64 v[74:75], v[78:79], v[4:5]
	v_mul_f64 v[4:5], v[10:11], v[14:15]
	v_mul_f64 v[6:7], v[8:9], v[14:15]
	v_fma_f64 v[4:5], v[8:9], v[12:13], -v[4:5]
	v_fmac_f64_e32 v[6:7], v[10:11], v[12:13]
	v_mul_f64 v[12:13], v[10:11], v[50:51]
	v_mul_f64 v[50:51], v[8:9], v[50:51]
	v_add_f64 v[6:7], v[52:53], v[6:7]
	v_fma_f64 v[52:53], v[8:9], v[48:49], -v[12:13]
	v_fmac_f64_e32 v[50:51], v[10:11], v[48:49]
	ds_read_b128 v[8:11], v67 offset:64
	ds_read_b128 v[12:15], v1 offset:2048
	v_add_f64 v[60:61], v[76:77], v[60:61]
	v_add_f64 v[76:77], v[54:55], v[52:53]
	;; [unrolled: 1-line block ×3, first 2 shown]
	ds_read_b128 v[48:51], v1 offset:2304
	ds_read_b128 v[52:55], v67 offset:80
	s_waitcnt lgkmcnt(2)
	v_mul_f64 v[56:57], v[10:11], v[14:15]
	v_add_f64 v[62:63], v[80:81], v[62:63]
	v_fma_f64 v[56:57], v[8:9], v[12:13], -v[56:57]
	v_mul_f64 v[80:81], v[8:9], v[14:15]
	v_add_f64 v[4:5], v[82:83], v[4:5]
	v_fmac_f64_e32 v[80:81], v[10:11], v[12:13]
	v_add_f64 v[82:83], v[58:59], v[56:57]
	s_waitcnt lgkmcnt(1)
	v_mul_f64 v[56:57], v[10:11], v[50:51]
	v_add_f64 v[60:61], v[60:61], v[80:81]
	v_fma_f64 v[80:81], v[8:9], v[48:49], -v[56:57]
	ds_read_b128 v[56:59], v67 offset:8256
	v_mul_f64 v[8:9], v[8:9], v[50:51]
	v_fmac_f64_e32 v[8:9], v[10:11], v[48:49]
	v_add_f64 v[62:63], v[62:63], v[80:81]
	v_add_f64 v[74:75], v[74:75], v[8:9]
	ds_read_b128 v[8:11], v67 offset:8272
	s_waitcnt lgkmcnt(1)
	v_mul_f64 v[80:81], v[58:59], v[14:15]
	v_fma_f64 v[80:81], v[56:57], v[12:13], -v[80:81]
	v_mul_f64 v[14:15], v[56:57], v[14:15]
	v_fmac_f64_e32 v[14:15], v[58:59], v[12:13]
	v_add_f64 v[80:81], v[4:5], v[80:81]
	v_mul_f64 v[4:5], v[58:59], v[50:51]
	v_add_f64 v[84:85], v[6:7], v[14:15]
	v_fma_f64 v[12:13], v[56:57], v[48:49], -v[4:5]
	v_mul_f64 v[14:15], v[56:57], v[50:51]
	ds_read_b128 v[4:7], v1 offset:2560
	v_fmac_f64_e32 v[14:15], v[58:59], v[48:49]
	v_add_f64 v[48:49], v[76:77], v[12:13]
	v_add_f64 v[50:51], v[78:79], v[14:15]
	ds_read_b128 v[12:15], v1 offset:2816
	s_waitcnt lgkmcnt(1)
	v_mul_f64 v[58:59], v[52:53], v[6:7]
	v_fmac_f64_e32 v[58:59], v[54:55], v[4:5]
	v_mul_f64 v[56:57], v[54:55], v[6:7]
	v_add_f64 v[58:59], v[60:61], v[58:59]
	s_waitcnt lgkmcnt(0)
	v_mul_f64 v[60:61], v[54:55], v[14:15]
	v_fma_f64 v[56:57], v[52:53], v[4:5], -v[56:57]
	v_fma_f64 v[60:61], v[52:53], v[12:13], -v[60:61]
	v_mul_f64 v[52:53], v[52:53], v[14:15]
	v_fmac_f64_e32 v[52:53], v[54:55], v[12:13]
	v_add_f64 v[60:61], v[62:63], v[60:61]
	v_add_f64 v[62:63], v[74:75], v[52:53]
	v_mul_f64 v[52:53], v[10:11], v[6:7]
	v_fma_f64 v[52:53], v[8:9], v[4:5], -v[52:53]
	v_mul_f64 v[6:7], v[8:9], v[6:7]
	v_fmac_f64_e32 v[6:7], v[10:11], v[4:5]
	v_add_f64 v[4:5], v[80:81], v[52:53]
	v_mul_f64 v[52:53], v[10:11], v[14:15]
	v_mul_f64 v[54:55], v[8:9], v[14:15]
	v_fma_f64 v[52:53], v[8:9], v[12:13], -v[52:53]
	v_fmac_f64_e32 v[54:55], v[10:11], v[12:13]
	ds_read_b128 v[8:11], v67 offset:96
	ds_read_b128 v[12:15], v1 offset:3072
	v_add_f64 v[74:75], v[48:49], v[52:53]
	v_add_f64 v[76:77], v[50:51], v[54:55]
	ds_read_b128 v[48:51], v1 offset:3328
	ds_read_b128 v[52:55], v67 offset:112
	v_add_f64 v[56:57], v[82:83], v[56:57]
	s_waitcnt lgkmcnt(2)
	v_mul_f64 v[78:79], v[10:11], v[14:15]
	v_fma_f64 v[78:79], v[8:9], v[12:13], -v[78:79]
	v_mul_f64 v[80:81], v[8:9], v[14:15]
	v_fmac_f64_e32 v[80:81], v[10:11], v[12:13]
	v_add_f64 v[78:79], v[56:57], v[78:79]
	s_waitcnt lgkmcnt(1)
	v_mul_f64 v[56:57], v[10:11], v[50:51]
	v_add_f64 v[80:81], v[58:59], v[80:81]
	v_fma_f64 v[82:83], v[8:9], v[48:49], -v[56:57]
	ds_read_b128 v[56:59], v67 offset:8288
	v_mul_f64 v[8:9], v[8:9], v[50:51]
	v_fmac_f64_e32 v[8:9], v[10:11], v[48:49]
	v_add_f64 v[60:61], v[60:61], v[82:83]
	v_add_f64 v[62:63], v[62:63], v[8:9]
	ds_read_b128 v[8:11], v67 offset:8304
	s_waitcnt lgkmcnt(1)
	v_mul_f64 v[82:83], v[58:59], v[14:15]
	v_mul_f64 v[14:15], v[56:57], v[14:15]
	v_add_f64 v[6:7], v[84:85], v[6:7]
	v_fma_f64 v[82:83], v[56:57], v[12:13], -v[82:83]
	v_fmac_f64_e32 v[14:15], v[58:59], v[12:13]
	v_add_f64 v[82:83], v[4:5], v[82:83]
	v_add_f64 v[84:85], v[6:7], v[14:15]
	v_mul_f64 v[4:5], v[58:59], v[50:51]
	v_mul_f64 v[14:15], v[56:57], v[50:51]
	v_fma_f64 v[12:13], v[56:57], v[48:49], -v[4:5]
	v_fmac_f64_e32 v[14:15], v[58:59], v[48:49]
	ds_read_b128 v[4:7], v1 offset:3584
	v_add_f64 v[48:49], v[74:75], v[12:13]
	v_add_f64 v[50:51], v[76:77], v[14:15]
	ds_read_b128 v[12:15], v1 offset:3840
	v_add_co_u32_e32 v40, vcc, s56, v40
	s_waitcnt lgkmcnt(1)
	v_mul_f64 v[56:57], v[54:55], v[6:7]
	v_fma_f64 v[56:57], v[52:53], v[4:5], -v[56:57]
	s_waitcnt lgkmcnt(0)
	v_mul_f64 v[74:75], v[54:55], v[14:15]
	v_mul_f64 v[58:59], v[52:53], v[6:7]
	v_fma_f64 v[74:75], v[52:53], v[12:13], -v[74:75]
	v_mul_f64 v[52:53], v[52:53], v[14:15]
	v_fmac_f64_e32 v[52:53], v[54:55], v[12:13]
	v_add_f64 v[62:63], v[62:63], v[52:53]
	v_mul_f64 v[52:53], v[10:11], v[6:7]
	v_fma_f64 v[52:53], v[8:9], v[4:5], -v[52:53]
	v_mul_f64 v[6:7], v[8:9], v[6:7]
	v_fmac_f64_e32 v[58:59], v[54:55], v[4:5]
	v_fmac_f64_e32 v[6:7], v[10:11], v[4:5]
	v_add_f64 v[4:5], v[82:83], v[52:53]
	v_mul_f64 v[52:53], v[10:11], v[14:15]
	v_mul_f64 v[54:55], v[8:9], v[14:15]
	v_fma_f64 v[52:53], v[8:9], v[12:13], -v[52:53]
	v_fmac_f64_e32 v[54:55], v[10:11], v[12:13]
	ds_read_b128 v[8:11], v67 offset:128
	ds_read_b128 v[12:15], v1 offset:4096
	v_add_f64 v[60:61], v[60:61], v[74:75]
	v_add_f64 v[74:75], v[48:49], v[52:53]
	;; [unrolled: 1-line block ×3, first 2 shown]
	ds_read_b128 v[48:51], v1 offset:4352
	ds_read_b128 v[52:55], v67 offset:144
	v_add_f64 v[56:57], v[78:79], v[56:57]
	s_waitcnt lgkmcnt(2)
	v_mul_f64 v[78:79], v[10:11], v[14:15]
	v_add_f64 v[58:59], v[80:81], v[58:59]
	v_fma_f64 v[78:79], v[8:9], v[12:13], -v[78:79]
	v_mul_f64 v[80:81], v[8:9], v[14:15]
	v_fmac_f64_e32 v[80:81], v[10:11], v[12:13]
	v_add_f64 v[78:79], v[56:57], v[78:79]
	s_waitcnt lgkmcnt(1)
	v_mul_f64 v[56:57], v[10:11], v[50:51]
	v_add_f64 v[80:81], v[58:59], v[80:81]
	v_fma_f64 v[82:83], v[8:9], v[48:49], -v[56:57]
	ds_read_b128 v[56:59], v67 offset:8320
	v_mul_f64 v[8:9], v[8:9], v[50:51]
	v_fmac_f64_e32 v[8:9], v[10:11], v[48:49]
	v_add_f64 v[60:61], v[60:61], v[82:83]
	v_add_f64 v[62:63], v[62:63], v[8:9]
	ds_read_b128 v[8:11], v67 offset:8336
	s_waitcnt lgkmcnt(1)
	v_mul_f64 v[82:83], v[58:59], v[14:15]
	v_mul_f64 v[14:15], v[56:57], v[14:15]
	v_add_f64 v[6:7], v[84:85], v[6:7]
	v_fma_f64 v[82:83], v[56:57], v[12:13], -v[82:83]
	v_fmac_f64_e32 v[14:15], v[58:59], v[12:13]
	v_add_f64 v[82:83], v[4:5], v[82:83]
	v_add_f64 v[84:85], v[6:7], v[14:15]
	v_mul_f64 v[4:5], v[58:59], v[50:51]
	v_mul_f64 v[14:15], v[56:57], v[50:51]
	v_fma_f64 v[12:13], v[56:57], v[48:49], -v[4:5]
	v_fmac_f64_e32 v[14:15], v[58:59], v[48:49]
	ds_read_b128 v[4:7], v1 offset:4608
	v_add_f64 v[48:49], v[74:75], v[12:13]
	v_add_f64 v[50:51], v[76:77], v[14:15]
	ds_read_b128 v[12:15], v1 offset:4864
	v_addc_co_u32_e32 v41, vcc, 0, v41, vcc
	s_waitcnt lgkmcnt(1)
	v_mul_f64 v[56:57], v[54:55], v[6:7]
	v_fma_f64 v[56:57], v[52:53], v[4:5], -v[56:57]
	s_waitcnt lgkmcnt(0)
	v_mul_f64 v[74:75], v[54:55], v[14:15]
	v_mul_f64 v[58:59], v[52:53], v[6:7]
	v_fma_f64 v[74:75], v[52:53], v[12:13], -v[74:75]
	v_mul_f64 v[52:53], v[52:53], v[14:15]
	v_fmac_f64_e32 v[52:53], v[54:55], v[12:13]
	v_add_f64 v[62:63], v[62:63], v[52:53]
	v_mul_f64 v[52:53], v[10:11], v[6:7]
	v_fma_f64 v[52:53], v[8:9], v[4:5], -v[52:53]
	v_mul_f64 v[6:7], v[8:9], v[6:7]
	v_fmac_f64_e32 v[58:59], v[54:55], v[4:5]
	v_fmac_f64_e32 v[6:7], v[10:11], v[4:5]
	v_add_f64 v[4:5], v[82:83], v[52:53]
	v_mul_f64 v[52:53], v[10:11], v[14:15]
	v_mul_f64 v[54:55], v[8:9], v[14:15]
	v_fma_f64 v[52:53], v[8:9], v[12:13], -v[52:53]
	v_fmac_f64_e32 v[54:55], v[10:11], v[12:13]
	ds_read_b128 v[8:11], v67 offset:160
	ds_read_b128 v[12:15], v1 offset:5120
	v_add_f64 v[60:61], v[60:61], v[74:75]
	v_add_f64 v[74:75], v[48:49], v[52:53]
	v_add_f64 v[76:77], v[50:51], v[54:55]
	ds_read_b128 v[48:51], v1 offset:5376
	ds_read_b128 v[52:55], v67 offset:176
	v_add_f64 v[56:57], v[78:79], v[56:57]
	s_waitcnt lgkmcnt(2)
	v_mul_f64 v[78:79], v[10:11], v[14:15]
	v_add_f64 v[58:59], v[80:81], v[58:59]
	v_fma_f64 v[78:79], v[8:9], v[12:13], -v[78:79]
	v_mul_f64 v[80:81], v[8:9], v[14:15]
	v_fmac_f64_e32 v[80:81], v[10:11], v[12:13]
	v_add_f64 v[78:79], v[56:57], v[78:79]
	s_waitcnt lgkmcnt(1)
	v_mul_f64 v[56:57], v[10:11], v[50:51]
	v_add_f64 v[80:81], v[58:59], v[80:81]
	v_fma_f64 v[82:83], v[8:9], v[48:49], -v[56:57]
	ds_read_b128 v[56:59], v67 offset:8352
	v_mul_f64 v[8:9], v[8:9], v[50:51]
	v_fmac_f64_e32 v[8:9], v[10:11], v[48:49]
	v_add_f64 v[60:61], v[60:61], v[82:83]
	v_add_f64 v[62:63], v[62:63], v[8:9]
	ds_read_b128 v[8:11], v67 offset:8368
	s_waitcnt lgkmcnt(1)
	v_mul_f64 v[82:83], v[58:59], v[14:15]
	v_mul_f64 v[14:15], v[56:57], v[14:15]
	v_add_f64 v[6:7], v[84:85], v[6:7]
	v_fma_f64 v[82:83], v[56:57], v[12:13], -v[82:83]
	v_fmac_f64_e32 v[14:15], v[58:59], v[12:13]
	v_add_f64 v[82:83], v[4:5], v[82:83]
	v_add_f64 v[84:85], v[6:7], v[14:15]
	v_mul_f64 v[4:5], v[58:59], v[50:51]
	v_mul_f64 v[14:15], v[56:57], v[50:51]
	v_fma_f64 v[12:13], v[56:57], v[48:49], -v[4:5]
	v_fmac_f64_e32 v[14:15], v[58:59], v[48:49]
	ds_read_b128 v[4:7], v1 offset:5632
	v_add_f64 v[48:49], v[74:75], v[12:13]
	v_add_f64 v[50:51], v[76:77], v[14:15]
	ds_read_b128 v[12:15], v1 offset:5888
	v_add_co_u32_e32 v46, vcc, s42, v46
	s_waitcnt lgkmcnt(1)
	v_mul_f64 v[56:57], v[54:55], v[6:7]
	v_fma_f64 v[56:57], v[52:53], v[4:5], -v[56:57]
	s_waitcnt lgkmcnt(0)
	v_mul_f64 v[74:75], v[54:55], v[14:15]
	v_mul_f64 v[58:59], v[52:53], v[6:7]
	v_fma_f64 v[74:75], v[52:53], v[12:13], -v[74:75]
	v_mul_f64 v[52:53], v[52:53], v[14:15]
	v_fmac_f64_e32 v[52:53], v[54:55], v[12:13]
	v_add_f64 v[62:63], v[62:63], v[52:53]
	v_mul_f64 v[52:53], v[10:11], v[6:7]
	v_fma_f64 v[52:53], v[8:9], v[4:5], -v[52:53]
	v_mul_f64 v[6:7], v[8:9], v[6:7]
	v_fmac_f64_e32 v[58:59], v[54:55], v[4:5]
	v_fmac_f64_e32 v[6:7], v[10:11], v[4:5]
	v_add_f64 v[4:5], v[82:83], v[52:53]
	v_mul_f64 v[52:53], v[10:11], v[14:15]
	v_mul_f64 v[54:55], v[8:9], v[14:15]
	v_fma_f64 v[52:53], v[8:9], v[12:13], -v[52:53]
	v_fmac_f64_e32 v[54:55], v[10:11], v[12:13]
	ds_read_b128 v[8:11], v67 offset:192
	ds_read_b128 v[12:15], v1 offset:6144
	v_add_f64 v[60:61], v[60:61], v[74:75]
	v_add_f64 v[74:75], v[48:49], v[52:53]
	;; [unrolled: 1-line block ×3, first 2 shown]
	ds_read_b128 v[48:51], v1 offset:6400
	ds_read_b128 v[52:55], v67 offset:208
	v_add_f64 v[56:57], v[78:79], v[56:57]
	s_waitcnt lgkmcnt(2)
	v_mul_f64 v[78:79], v[10:11], v[14:15]
	v_add_f64 v[58:59], v[80:81], v[58:59]
	v_fma_f64 v[78:79], v[8:9], v[12:13], -v[78:79]
	v_mul_f64 v[80:81], v[8:9], v[14:15]
	v_fmac_f64_e32 v[80:81], v[10:11], v[12:13]
	v_add_f64 v[78:79], v[56:57], v[78:79]
	s_waitcnt lgkmcnt(1)
	v_mul_f64 v[56:57], v[10:11], v[50:51]
	v_add_f64 v[80:81], v[58:59], v[80:81]
	v_fma_f64 v[82:83], v[8:9], v[48:49], -v[56:57]
	ds_read_b128 v[56:59], v67 offset:8384
	v_mul_f64 v[8:9], v[8:9], v[50:51]
	v_fmac_f64_e32 v[8:9], v[10:11], v[48:49]
	v_add_f64 v[60:61], v[60:61], v[82:83]
	v_add_f64 v[62:63], v[62:63], v[8:9]
	ds_read_b128 v[8:11], v67 offset:8400
	s_waitcnt lgkmcnt(1)
	v_mul_f64 v[82:83], v[58:59], v[14:15]
	v_mul_f64 v[14:15], v[56:57], v[14:15]
	v_add_f64 v[6:7], v[84:85], v[6:7]
	v_fma_f64 v[82:83], v[56:57], v[12:13], -v[82:83]
	v_fmac_f64_e32 v[14:15], v[58:59], v[12:13]
	v_add_f64 v[82:83], v[4:5], v[82:83]
	v_add_f64 v[84:85], v[6:7], v[14:15]
	v_mul_f64 v[4:5], v[58:59], v[50:51]
	v_mul_f64 v[14:15], v[56:57], v[50:51]
	v_fma_f64 v[12:13], v[56:57], v[48:49], -v[4:5]
	v_fmac_f64_e32 v[14:15], v[58:59], v[48:49]
	ds_read_b128 v[4:7], v1 offset:6656
	v_add_f64 v[48:49], v[74:75], v[12:13]
	v_add_f64 v[50:51], v[76:77], v[14:15]
	ds_read_b128 v[12:15], v1 offset:6912
	s_add_u32 s18, s18, 32
	s_waitcnt lgkmcnt(1)
	v_mul_f64 v[56:57], v[54:55], v[6:7]
	v_fma_f64 v[56:57], v[52:53], v[4:5], -v[56:57]
	v_mul_f64 v[58:59], v[52:53], v[6:7]
	s_waitcnt lgkmcnt(0)
	v_mul_f64 v[74:75], v[54:55], v[14:15]
	v_fma_f64 v[74:75], v[52:53], v[12:13], -v[74:75]
	v_mul_f64 v[52:53], v[52:53], v[14:15]
	v_fmac_f64_e32 v[52:53], v[54:55], v[12:13]
	v_add_f64 v[62:63], v[62:63], v[52:53]
	v_mul_f64 v[52:53], v[10:11], v[6:7]
	v_fma_f64 v[52:53], v[8:9], v[4:5], -v[52:53]
	v_mul_f64 v[6:7], v[8:9], v[6:7]
	v_fmac_f64_e32 v[58:59], v[54:55], v[4:5]
	v_fmac_f64_e32 v[6:7], v[10:11], v[4:5]
	v_add_f64 v[4:5], v[82:83], v[52:53]
	v_mul_f64 v[52:53], v[10:11], v[14:15]
	v_mul_f64 v[54:55], v[8:9], v[14:15]
	v_fma_f64 v[52:53], v[8:9], v[12:13], -v[52:53]
	v_fmac_f64_e32 v[54:55], v[10:11], v[12:13]
	ds_read_b128 v[8:11], v67 offset:224
	ds_read_b128 v[12:15], v1 offset:7168
	v_add_f64 v[60:61], v[60:61], v[74:75]
	v_add_f64 v[74:75], v[48:49], v[52:53]
	v_add_f64 v[76:77], v[50:51], v[54:55]
	ds_read_b128 v[48:51], v1 offset:7424
	ds_read_b128 v[52:55], v67 offset:240
	v_add_f64 v[56:57], v[78:79], v[56:57]
	s_waitcnt lgkmcnt(2)
	v_mul_f64 v[78:79], v[10:11], v[14:15]
	v_add_f64 v[58:59], v[80:81], v[58:59]
	v_fma_f64 v[78:79], v[8:9], v[12:13], -v[78:79]
	v_mul_f64 v[80:81], v[8:9], v[14:15]
	v_fmac_f64_e32 v[80:81], v[10:11], v[12:13]
	v_add_f64 v[78:79], v[56:57], v[78:79]
	s_waitcnt lgkmcnt(1)
	v_mul_f64 v[56:57], v[10:11], v[50:51]
	v_add_f64 v[80:81], v[58:59], v[80:81]
	v_fma_f64 v[82:83], v[8:9], v[48:49], -v[56:57]
	ds_read_b128 v[56:59], v67 offset:8416
	v_mul_f64 v[8:9], v[8:9], v[50:51]
	v_fmac_f64_e32 v[8:9], v[10:11], v[48:49]
	v_add_f64 v[60:61], v[60:61], v[82:83]
	v_add_f64 v[62:63], v[62:63], v[8:9]
	ds_read_b128 v[8:11], v67 offset:8432
	s_waitcnt lgkmcnt(1)
	v_mul_f64 v[82:83], v[58:59], v[14:15]
	v_mul_f64 v[14:15], v[56:57], v[14:15]
	v_add_f64 v[6:7], v[84:85], v[6:7]
	v_fma_f64 v[82:83], v[56:57], v[12:13], -v[82:83]
	v_fmac_f64_e32 v[14:15], v[58:59], v[12:13]
	v_add_f64 v[82:83], v[4:5], v[82:83]
	v_add_f64 v[84:85], v[6:7], v[14:15]
	v_mul_f64 v[4:5], v[58:59], v[50:51]
	v_mul_f64 v[14:15], v[56:57], v[50:51]
	v_fma_f64 v[12:13], v[56:57], v[48:49], -v[4:5]
	v_fmac_f64_e32 v[14:15], v[58:59], v[48:49]
	ds_read_b128 v[4:7], v1 offset:7680
	v_add_f64 v[48:49], v[74:75], v[12:13]
	v_add_f64 v[50:51], v[76:77], v[14:15]
	ds_read_b128 v[12:15], v1 offset:7936
	s_addc_u32 s19, s19, 0
	s_waitcnt lgkmcnt(1)
	v_mul_f64 v[56:57], v[54:55], v[6:7]
	v_fma_f64 v[56:57], v[52:53], v[4:5], -v[56:57]
	v_mul_f64 v[58:59], v[52:53], v[6:7]
	s_waitcnt lgkmcnt(0)
	v_mul_f64 v[74:75], v[54:55], v[14:15]
	v_fma_f64 v[74:75], v[52:53], v[12:13], -v[74:75]
	v_mul_f64 v[52:53], v[52:53], v[14:15]
	v_fmac_f64_e32 v[52:53], v[54:55], v[12:13]
	v_add_f64 v[62:63], v[62:63], v[52:53]
	v_mul_f64 v[52:53], v[10:11], v[6:7]
	v_fma_f64 v[52:53], v[8:9], v[4:5], -v[52:53]
	v_mul_f64 v[6:7], v[8:9], v[6:7]
	v_fmac_f64_e32 v[58:59], v[54:55], v[4:5]
	v_fmac_f64_e32 v[6:7], v[10:11], v[4:5]
	v_add_f64 v[4:5], v[82:83], v[52:53]
	v_mul_f64 v[52:53], v[10:11], v[14:15]
	v_mul_f64 v[54:55], v[8:9], v[14:15]
	v_fma_f64 v[52:53], v[8:9], v[12:13], -v[52:53]
	v_fmac_f64_e32 v[54:55], v[10:11], v[12:13]
	ds_read_b128 v[8:11], v67 offset:256
	ds_read_b128 v[12:15], v1 offset:8192
	v_add_f64 v[60:61], v[60:61], v[74:75]
	v_add_f64 v[74:75], v[48:49], v[52:53]
	;; [unrolled: 1-line block ×3, first 2 shown]
	ds_read_b128 v[48:51], v1 offset:8448
	ds_read_b128 v[52:55], v67 offset:272
	v_add_f64 v[56:57], v[78:79], v[56:57]
	s_waitcnt lgkmcnt(2)
	v_mul_f64 v[78:79], v[10:11], v[14:15]
	v_add_f64 v[58:59], v[80:81], v[58:59]
	v_fma_f64 v[78:79], v[8:9], v[12:13], -v[78:79]
	v_mul_f64 v[80:81], v[8:9], v[14:15]
	v_fmac_f64_e32 v[80:81], v[10:11], v[12:13]
	v_add_f64 v[78:79], v[56:57], v[78:79]
	s_waitcnt lgkmcnt(1)
	v_mul_f64 v[56:57], v[10:11], v[50:51]
	v_add_f64 v[80:81], v[58:59], v[80:81]
	v_fma_f64 v[82:83], v[8:9], v[48:49], -v[56:57]
	ds_read_b128 v[56:59], v67 offset:8448
	v_mul_f64 v[8:9], v[8:9], v[50:51]
	v_fmac_f64_e32 v[8:9], v[10:11], v[48:49]
	v_add_f64 v[60:61], v[60:61], v[82:83]
	v_add_f64 v[62:63], v[62:63], v[8:9]
	ds_read_b128 v[8:11], v67 offset:8464
	s_waitcnt lgkmcnt(1)
	v_mul_f64 v[82:83], v[58:59], v[14:15]
	v_mul_f64 v[14:15], v[56:57], v[14:15]
	v_add_f64 v[6:7], v[84:85], v[6:7]
	v_fma_f64 v[82:83], v[56:57], v[12:13], -v[82:83]
	v_fmac_f64_e32 v[14:15], v[58:59], v[12:13]
	v_add_f64 v[82:83], v[4:5], v[82:83]
	v_add_f64 v[84:85], v[6:7], v[14:15]
	v_mul_f64 v[4:5], v[58:59], v[50:51]
	v_mul_f64 v[14:15], v[56:57], v[50:51]
	v_fma_f64 v[12:13], v[56:57], v[48:49], -v[4:5]
	v_fmac_f64_e32 v[14:15], v[58:59], v[48:49]
	ds_read_b128 v[4:7], v1 offset:8704
	v_add_f64 v[48:49], v[74:75], v[12:13]
	v_add_f64 v[50:51], v[76:77], v[14:15]
	ds_read_b128 v[12:15], v1 offset:8960
	s_sub_i32 s12, s18, 32
	s_waitcnt lgkmcnt(1)
	v_mul_f64 v[56:57], v[54:55], v[6:7]
	v_fma_f64 v[56:57], v[52:53], v[4:5], -v[56:57]
	v_mul_f64 v[58:59], v[52:53], v[6:7]
	s_waitcnt lgkmcnt(0)
	v_mul_f64 v[74:75], v[54:55], v[14:15]
	v_fma_f64 v[74:75], v[52:53], v[12:13], -v[74:75]
	v_mul_f64 v[52:53], v[52:53], v[14:15]
	v_fmac_f64_e32 v[52:53], v[54:55], v[12:13]
	v_add_f64 v[62:63], v[62:63], v[52:53]
	v_mul_f64 v[52:53], v[10:11], v[6:7]
	v_fma_f64 v[52:53], v[8:9], v[4:5], -v[52:53]
	v_mul_f64 v[6:7], v[8:9], v[6:7]
	v_fmac_f64_e32 v[58:59], v[54:55], v[4:5]
	v_fmac_f64_e32 v[6:7], v[10:11], v[4:5]
	v_add_f64 v[4:5], v[82:83], v[52:53]
	v_mul_f64 v[52:53], v[10:11], v[14:15]
	v_mul_f64 v[54:55], v[8:9], v[14:15]
	v_fma_f64 v[52:53], v[8:9], v[12:13], -v[52:53]
	v_fmac_f64_e32 v[54:55], v[10:11], v[12:13]
	ds_read_b128 v[8:11], v67 offset:288
	ds_read_b128 v[12:15], v1 offset:9216
	v_add_f64 v[60:61], v[60:61], v[74:75]
	v_add_f64 v[74:75], v[48:49], v[52:53]
	;; [unrolled: 1-line block ×3, first 2 shown]
	ds_read_b128 v[48:51], v1 offset:9472
	ds_read_b128 v[52:55], v67 offset:304
	v_add_f64 v[56:57], v[78:79], v[56:57]
	s_waitcnt lgkmcnt(2)
	v_mul_f64 v[78:79], v[10:11], v[14:15]
	v_add_f64 v[58:59], v[80:81], v[58:59]
	v_fma_f64 v[78:79], v[8:9], v[12:13], -v[78:79]
	v_mul_f64 v[80:81], v[8:9], v[14:15]
	v_fmac_f64_e32 v[80:81], v[10:11], v[12:13]
	v_add_f64 v[78:79], v[56:57], v[78:79]
	s_waitcnt lgkmcnt(1)
	v_mul_f64 v[56:57], v[10:11], v[50:51]
	v_add_f64 v[80:81], v[58:59], v[80:81]
	v_fma_f64 v[82:83], v[8:9], v[48:49], -v[56:57]
	ds_read_b128 v[56:59], v67 offset:8480
	v_mul_f64 v[8:9], v[8:9], v[50:51]
	v_fmac_f64_e32 v[8:9], v[10:11], v[48:49]
	v_add_f64 v[60:61], v[60:61], v[82:83]
	v_add_f64 v[62:63], v[62:63], v[8:9]
	ds_read_b128 v[8:11], v67 offset:8496
	s_waitcnt lgkmcnt(1)
	v_mul_f64 v[82:83], v[58:59], v[14:15]
	v_mul_f64 v[14:15], v[56:57], v[14:15]
	v_add_f64 v[6:7], v[84:85], v[6:7]
	v_fma_f64 v[82:83], v[56:57], v[12:13], -v[82:83]
	v_fmac_f64_e32 v[14:15], v[58:59], v[12:13]
	v_add_f64 v[82:83], v[4:5], v[82:83]
	v_add_f64 v[84:85], v[6:7], v[14:15]
	v_mul_f64 v[4:5], v[58:59], v[50:51]
	v_mul_f64 v[14:15], v[56:57], v[50:51]
	v_fma_f64 v[12:13], v[56:57], v[48:49], -v[4:5]
	v_fmac_f64_e32 v[14:15], v[58:59], v[48:49]
	ds_read_b128 v[4:7], v1 offset:9728
	v_add_f64 v[48:49], v[74:75], v[12:13]
	v_add_f64 v[50:51], v[76:77], v[14:15]
	ds_read_b128 v[12:15], v1 offset:9984
	s_cmp_ge_i32 s12, s55
	s_waitcnt lgkmcnt(1)
	v_mul_f64 v[56:57], v[54:55], v[6:7]
	v_fma_f64 v[56:57], v[52:53], v[4:5], -v[56:57]
	v_mul_f64 v[58:59], v[52:53], v[6:7]
	s_waitcnt lgkmcnt(0)
	v_mul_f64 v[74:75], v[54:55], v[14:15]
	v_fma_f64 v[74:75], v[52:53], v[12:13], -v[74:75]
	v_mul_f64 v[52:53], v[52:53], v[14:15]
	v_fmac_f64_e32 v[52:53], v[54:55], v[12:13]
	v_add_f64 v[62:63], v[62:63], v[52:53]
	v_mul_f64 v[52:53], v[10:11], v[6:7]
	v_fma_f64 v[52:53], v[8:9], v[4:5], -v[52:53]
	v_mul_f64 v[6:7], v[8:9], v[6:7]
	v_fmac_f64_e32 v[58:59], v[54:55], v[4:5]
	v_fmac_f64_e32 v[6:7], v[10:11], v[4:5]
	v_add_f64 v[4:5], v[82:83], v[52:53]
	v_mul_f64 v[52:53], v[10:11], v[14:15]
	v_mul_f64 v[54:55], v[8:9], v[14:15]
	v_fma_f64 v[52:53], v[8:9], v[12:13], -v[52:53]
	v_fmac_f64_e32 v[54:55], v[10:11], v[12:13]
	ds_read_b128 v[8:11], v67 offset:320
	ds_read_b128 v[12:15], v1 offset:10240
	v_add_f64 v[60:61], v[60:61], v[74:75]
	v_add_f64 v[74:75], v[48:49], v[52:53]
	v_add_f64 v[76:77], v[50:51], v[54:55]
	ds_read_b128 v[48:51], v1 offset:10496
	ds_read_b128 v[52:55], v67 offset:336
	v_add_f64 v[56:57], v[78:79], v[56:57]
	s_waitcnt lgkmcnt(2)
	v_mul_f64 v[78:79], v[10:11], v[14:15]
	v_add_f64 v[58:59], v[80:81], v[58:59]
	v_fma_f64 v[78:79], v[8:9], v[12:13], -v[78:79]
	v_mul_f64 v[80:81], v[8:9], v[14:15]
	v_fmac_f64_e32 v[80:81], v[10:11], v[12:13]
	v_add_f64 v[78:79], v[56:57], v[78:79]
	s_waitcnt lgkmcnt(1)
	v_mul_f64 v[56:57], v[10:11], v[50:51]
	v_add_f64 v[80:81], v[58:59], v[80:81]
	v_fma_f64 v[82:83], v[8:9], v[48:49], -v[56:57]
	ds_read_b128 v[56:59], v67 offset:8512
	v_mul_f64 v[8:9], v[8:9], v[50:51]
	v_fmac_f64_e32 v[8:9], v[10:11], v[48:49]
	v_add_f64 v[60:61], v[60:61], v[82:83]
	v_add_f64 v[62:63], v[62:63], v[8:9]
	ds_read_b128 v[8:11], v67 offset:8528
	s_waitcnt lgkmcnt(1)
	v_mul_f64 v[82:83], v[58:59], v[14:15]
	v_mul_f64 v[14:15], v[56:57], v[14:15]
	v_add_f64 v[6:7], v[84:85], v[6:7]
	v_fma_f64 v[82:83], v[56:57], v[12:13], -v[82:83]
	v_fmac_f64_e32 v[14:15], v[58:59], v[12:13]
	v_add_f64 v[82:83], v[4:5], v[82:83]
	v_add_f64 v[84:85], v[6:7], v[14:15]
	v_mul_f64 v[4:5], v[58:59], v[50:51]
	v_mul_f64 v[14:15], v[56:57], v[50:51]
	v_fma_f64 v[12:13], v[56:57], v[48:49], -v[4:5]
	v_fmac_f64_e32 v[14:15], v[58:59], v[48:49]
	ds_read_b128 v[4:7], v1 offset:10752
	v_add_f64 v[48:49], v[74:75], v[12:13]
	v_add_f64 v[50:51], v[76:77], v[14:15]
	ds_read_b128 v[12:15], v1 offset:11008
	s_waitcnt lgkmcnt(1)
	v_mul_f64 v[56:57], v[54:55], v[6:7]
	v_fma_f64 v[56:57], v[52:53], v[4:5], -v[56:57]
	v_mul_f64 v[58:59], v[52:53], v[6:7]
	s_waitcnt lgkmcnt(0)
	v_mul_f64 v[74:75], v[54:55], v[14:15]
	v_fma_f64 v[74:75], v[52:53], v[12:13], -v[74:75]
	v_mul_f64 v[52:53], v[52:53], v[14:15]
	v_fmac_f64_e32 v[52:53], v[54:55], v[12:13]
	v_add_f64 v[62:63], v[62:63], v[52:53]
	v_mul_f64 v[52:53], v[10:11], v[6:7]
	v_fma_f64 v[52:53], v[8:9], v[4:5], -v[52:53]
	v_mul_f64 v[6:7], v[8:9], v[6:7]
	v_fmac_f64_e32 v[58:59], v[54:55], v[4:5]
	v_fmac_f64_e32 v[6:7], v[10:11], v[4:5]
	v_add_f64 v[4:5], v[82:83], v[52:53]
	v_mul_f64 v[52:53], v[10:11], v[14:15]
	v_mul_f64 v[54:55], v[8:9], v[14:15]
	v_fma_f64 v[52:53], v[8:9], v[12:13], -v[52:53]
	v_fmac_f64_e32 v[54:55], v[10:11], v[12:13]
	ds_read_b128 v[8:11], v67 offset:352
	ds_read_b128 v[12:15], v1 offset:11264
	v_add_f64 v[60:61], v[60:61], v[74:75]
	v_add_f64 v[74:75], v[48:49], v[52:53]
	v_add_f64 v[76:77], v[50:51], v[54:55]
	ds_read_b128 v[48:51], v1 offset:11520
	ds_read_b128 v[52:55], v67 offset:368
	v_add_f64 v[56:57], v[78:79], v[56:57]
	s_waitcnt lgkmcnt(2)
	v_mul_f64 v[78:79], v[10:11], v[14:15]
	v_add_f64 v[58:59], v[80:81], v[58:59]
	v_fma_f64 v[78:79], v[8:9], v[12:13], -v[78:79]
	v_mul_f64 v[80:81], v[8:9], v[14:15]
	v_fmac_f64_e32 v[80:81], v[10:11], v[12:13]
	v_add_f64 v[78:79], v[56:57], v[78:79]
	s_waitcnt lgkmcnt(1)
	v_mul_f64 v[56:57], v[10:11], v[50:51]
	v_add_f64 v[80:81], v[58:59], v[80:81]
	v_fma_f64 v[82:83], v[8:9], v[48:49], -v[56:57]
	ds_read_b128 v[56:59], v67 offset:8544
	v_mul_f64 v[8:9], v[8:9], v[50:51]
	v_fmac_f64_e32 v[8:9], v[10:11], v[48:49]
	v_add_f64 v[60:61], v[60:61], v[82:83]
	v_add_f64 v[62:63], v[62:63], v[8:9]
	ds_read_b128 v[8:11], v67 offset:8560
	s_waitcnt lgkmcnt(1)
	v_mul_f64 v[82:83], v[58:59], v[14:15]
	v_mul_f64 v[14:15], v[56:57], v[14:15]
	v_add_f64 v[6:7], v[84:85], v[6:7]
	v_fma_f64 v[82:83], v[56:57], v[12:13], -v[82:83]
	v_fmac_f64_e32 v[14:15], v[58:59], v[12:13]
	v_add_f64 v[82:83], v[4:5], v[82:83]
	v_add_f64 v[84:85], v[6:7], v[14:15]
	v_mul_f64 v[4:5], v[58:59], v[50:51]
	v_mul_f64 v[14:15], v[56:57], v[50:51]
	v_fma_f64 v[12:13], v[56:57], v[48:49], -v[4:5]
	v_fmac_f64_e32 v[14:15], v[58:59], v[48:49]
	ds_read_b128 v[4:7], v1 offset:11776
	v_add_f64 v[48:49], v[74:75], v[12:13]
	v_add_f64 v[50:51], v[76:77], v[14:15]
	ds_read_b128 v[12:15], v1 offset:12032
	;; [unrolled: 61-line block ×5, first 2 shown]
	s_waitcnt lgkmcnt(1)
	v_mul_f64 v[56:57], v[54:55], v[6:7]
	v_fma_f64 v[56:57], v[52:53], v[4:5], -v[56:57]
	v_mul_f64 v[58:59], v[52:53], v[6:7]
	s_waitcnt lgkmcnt(0)
	v_mul_f64 v[74:75], v[54:55], v[14:15]
	v_fma_f64 v[74:75], v[52:53], v[12:13], -v[74:75]
	v_mul_f64 v[52:53], v[52:53], v[14:15]
	v_fmac_f64_e32 v[52:53], v[54:55], v[12:13]
	v_add_f64 v[62:63], v[62:63], v[52:53]
	v_mul_f64 v[52:53], v[10:11], v[6:7]
	v_fma_f64 v[52:53], v[8:9], v[4:5], -v[52:53]
	v_mul_f64 v[6:7], v[8:9], v[6:7]
	v_fmac_f64_e32 v[58:59], v[54:55], v[4:5]
	v_fmac_f64_e32 v[6:7], v[10:11], v[4:5]
	v_add_f64 v[4:5], v[82:83], v[52:53]
	v_mul_f64 v[52:53], v[10:11], v[14:15]
	v_mul_f64 v[54:55], v[8:9], v[14:15]
	v_fma_f64 v[52:53], v[8:9], v[12:13], -v[52:53]
	v_fmac_f64_e32 v[54:55], v[10:11], v[12:13]
	ds_read_b128 v[8:11], v67 offset:480
	ds_read_b128 v[12:15], v1 offset:15360
	v_add_f64 v[60:61], v[60:61], v[74:75]
	v_add_f64 v[74:75], v[48:49], v[52:53]
	;; [unrolled: 1-line block ×3, first 2 shown]
	ds_read_b128 v[48:51], v1 offset:15616
	ds_read_b128 v[52:55], v67 offset:496
	v_add_f64 v[56:57], v[78:79], v[56:57]
	s_waitcnt lgkmcnt(2)
	v_mul_f64 v[78:79], v[10:11], v[14:15]
	v_add_f64 v[58:59], v[80:81], v[58:59]
	v_fma_f64 v[78:79], v[8:9], v[12:13], -v[78:79]
	v_mul_f64 v[80:81], v[8:9], v[14:15]
	v_fmac_f64_e32 v[80:81], v[10:11], v[12:13]
	v_add_f64 v[78:79], v[56:57], v[78:79]
	s_waitcnt lgkmcnt(1)
	v_mul_f64 v[56:57], v[10:11], v[50:51]
	v_add_f64 v[80:81], v[58:59], v[80:81]
	v_fma_f64 v[82:83], v[8:9], v[48:49], -v[56:57]
	ds_read_b128 v[56:59], v67 offset:8672
	v_mul_f64 v[8:9], v[8:9], v[50:51]
	v_fmac_f64_e32 v[8:9], v[10:11], v[48:49]
	v_add_f64 v[6:7], v[84:85], v[6:7]
	v_add_f64 v[82:83], v[60:61], v[82:83]
	;; [unrolled: 1-line block ×3, first 2 shown]
	ds_read_b128 v[8:11], v67 offset:8688
	s_waitcnt lgkmcnt(1)
	v_mul_f64 v[60:61], v[58:59], v[14:15]
	v_fma_f64 v[60:61], v[56:57], v[12:13], -v[60:61]
	v_mul_f64 v[14:15], v[56:57], v[14:15]
	v_fmac_f64_e32 v[14:15], v[58:59], v[12:13]
	v_add_f64 v[86:87], v[4:5], v[60:61]
	v_mul_f64 v[4:5], v[58:59], v[50:51]
	v_add_f64 v[88:89], v[6:7], v[14:15]
	v_fma_f64 v[12:13], v[56:57], v[48:49], -v[4:5]
	v_mul_f64 v[14:15], v[56:57], v[50:51]
	ds_read_b128 v[4:7], v1 offset:15872
	v_fmac_f64_e32 v[14:15], v[58:59], v[48:49]
	v_add_f64 v[48:49], v[74:75], v[12:13]
	v_add_f64 v[74:75], v[76:77], v[14:15]
	ds_read_b128 v[12:15], v1 offset:16128
	s_waitcnt lgkmcnt(1)
	v_mul_f64 v[50:51], v[54:55], v[6:7]
	v_fma_f64 v[50:51], v[52:53], v[4:5], -v[50:51]
	v_mul_f64 v[56:57], v[52:53], v[6:7]
	v_add_f64 v[60:61], v[78:79], v[50:51]
	s_waitcnt lgkmcnt(0)
	v_mul_f64 v[50:51], v[54:55], v[14:15]
	v_fmac_f64_e32 v[56:57], v[54:55], v[4:5]
	v_fma_f64 v[50:51], v[52:53], v[12:13], -v[50:51]
	v_add_f64 v[62:63], v[80:81], v[56:57]
	v_add_f64 v[56:57], v[82:83], v[50:51]
	v_mul_f64 v[50:51], v[10:11], v[6:7]
	v_mul_f64 v[6:7], v[8:9], v[6:7]
	;; [unrolled: 1-line block ×3, first 2 shown]
	v_fma_f64 v[50:51], v[8:9], v[4:5], -v[50:51]
	v_fmac_f64_e32 v[6:7], v[10:11], v[4:5]
	v_mul_f64 v[4:5], v[10:11], v[14:15]
	v_fmac_f64_e32 v[52:53], v[54:55], v[12:13]
	v_fma_f64 v[4:5], v[8:9], v[12:13], -v[4:5]
	v_add_f64 v[58:59], v[84:85], v[52:53]
	v_add_f64 v[52:53], v[86:87], v[50:51]
	;; [unrolled: 1-line block ×3, first 2 shown]
	v_mov_b32_e32 v4, s43
	v_addc_co_u32_e32 v47, vcc, v47, v4, vcc
	v_add_co_u32_e32 v44, vcc, s42, v44
	v_add_f64 v[54:55], v[88:89], v[6:7]
	v_mul_f64 v[6:7], v[8:9], v[14:15]
	v_addc_co_u32_e32 v45, vcc, v45, v4, vcc
	v_fmac_f64_e32 v[6:7], v[10:11], v[12:13]
	v_add_co_u32_e32 v42, vcc, 0x200, v42
	v_add_f64 v[48:49], v[74:75], v[6:7]
	v_addc_co_u32_e32 v43, vcc, 0, v43, vcc
	s_barrier
	s_cbranch_scc1 .LBB109_55
.LBB109_7:                              ;   Parent Loop BB109_4 Depth=1
                                        ; =>  This Inner Loop Header: Depth=2
	v_mov_b32_e32 v4, s19
	v_add_co_u32_e32 v6, vcc, s18, v16
	v_addc_co_u32_e32 v7, vcc, 0, v4, vcc
	v_add_co_u32_e32 v8, vcc, v46, v34
	v_addc_co_u32_e32 v9, vcc, v47, v35, vcc
	v_cmp_eq_u64_e32 vcc, s[18:19], v[24:25]
	v_cmp_le_i64_e64 s[12:13], s[38:39], v[6:7]
	s_and_b64 s[22:23], s[36:37], vcc
	v_cmp_gt_i64_e32 vcc, v[6:7], v[18:19]
	s_or_b64 s[16:17], s[12:13], vcc
	s_or_b64 s[16:17], s[16:17], s[22:23]
	s_or_b64 s[16:17], s[0:1], s[16:17]
	s_xor_b64 s[16:17], s[16:17], -1
	s_and_saveexec_b64 s[20:21], s[16:17]
	s_xor_b64 s[16:17], exec, s[20:21]
	s_cbranch_execz .LBB109_9
; %bb.8:                                ;   in Loop: Header=BB109_7 Depth=2
	global_load_dwordx4 v[10:13], v[8:9], off offset:-256
	s_waitcnt vmcnt(0)
	ds_write2_b64 v17, v[10:11], v[12:13] offset1:1
.LBB109_9:                              ;   in Loop: Header=BB109_7 Depth=2
	s_or_saveexec_b64 s[16:17], s[16:17]
	s_xor_b64 s[20:21], s[22:23], -1
	s_xor_b64 exec, exec, s[16:17]
	s_cbranch_execz .LBB109_15
; %bb.10:                               ;   in Loop: Header=BB109_7 Depth=2
	s_and_saveexec_b64 s[26:27], s[20:21]
	s_xor_b64 s[26:27], exec, s[26:27]
	s_cbranch_execz .LBB109_12
; %bb.11:                               ;   in Loop: Header=BB109_7 Depth=2
	v_mov_b32_e32 v10, v2
	v_mov_b32_e32 v11, v2
	;; [unrolled: 1-line block ×4, first 2 shown]
	ds_write_b128 v17, v[10:13]
.LBB109_12:                             ;   in Loop: Header=BB109_7 Depth=2
	s_andn2_saveexec_b64 s[26:27], s[26:27]
	s_cbranch_execz .LBB109_14
; %bb.13:                               ;   in Loop: Header=BB109_7 Depth=2
	v_mov_b32_e32 v4, v2
	v_mov_b32_e32 v5, v2
	ds_write_b128 v17, v[2:5]
.LBB109_14:                             ;   in Loop: Header=BB109_7 Depth=2
	s_or_b64 exec, exec, s[26:27]
.LBB109_15:                             ;   in Loop: Header=BB109_7 Depth=2
	s_or_b64 exec, exec, s[16:17]
	v_cmp_eq_u64_e64 s[16:17], s[18:19], v[26:27]
	s_and_b64 s[26:27], s[36:37], s[16:17]
	v_cmp_lt_i64_e64 s[16:17], v[20:21], v[6:7]
	s_or_b64 s[12:13], s[12:13], s[16:17]
	s_or_b64 s[12:13], s[12:13], s[26:27]
	s_or_b64 s[12:13], s[2:3], s[12:13]
	s_xor_b64 s[12:13], s[12:13], -1
	s_and_saveexec_b64 s[16:17], s[12:13]
	s_xor_b64 s[12:13], exec, s[16:17]
	s_cbranch_execz .LBB109_17
; %bb.16:                               ;   in Loop: Header=BB109_7 Depth=2
	global_load_dwordx4 v[8:11], v[8:9], off
	s_waitcnt vmcnt(0)
	ds_write2_b64 v64, v[8:9], v[10:11] offset1:1
.LBB109_17:                             ;   in Loop: Header=BB109_7 Depth=2
	s_andn2_saveexec_b64 s[12:13], s[12:13]
	s_cbranch_execz .LBB109_23
; %bb.18:                               ;   in Loop: Header=BB109_7 Depth=2
	s_xor_b64 s[16:17], s[26:27], -1
	s_and_saveexec_b64 s[26:27], s[16:17]
	s_xor_b64 s[16:17], exec, s[26:27]
	s_cbranch_execz .LBB109_20
; %bb.19:                               ;   in Loop: Header=BB109_7 Depth=2
	v_mov_b32_e32 v8, v2
	v_mov_b32_e32 v9, v2
	;; [unrolled: 1-line block ×4, first 2 shown]
	ds_write_b128 v64, v[8:11]
.LBB109_20:                             ;   in Loop: Header=BB109_7 Depth=2
	s_andn2_saveexec_b64 s[16:17], s[16:17]
	s_cbranch_execz .LBB109_22
; %bb.21:                               ;   in Loop: Header=BB109_7 Depth=2
	v_mov_b32_e32 v4, v2
	v_mov_b32_e32 v5, v2
	ds_write_b128 v64, v[2:5]
.LBB109_22:                             ;   in Loop: Header=BB109_7 Depth=2
	s_or_b64 exec, exec, s[16:17]
.LBB109_23:                             ;   in Loop: Header=BB109_7 Depth=2
	s_or_b64 exec, exec, s[12:13]
	v_add_co_u32_e64 v4, s[12:13], 16, v6
	v_addc_co_u32_e64 v5, s[12:13], 0, v7, s[12:13]
	v_cmp_eq_u64_e64 s[16:17], s[18:19], v[28:29]
	v_cmp_le_i64_e64 s[12:13], s[38:39], v[4:5]
	s_and_b64 s[26:27], s[36:37], s[16:17]
	v_cmp_gt_i64_e64 s[16:17], v[4:5], v[18:19]
	s_or_b64 s[16:17], s[12:13], s[16:17]
	s_or_b64 s[16:17], s[16:17], s[26:27]
	;; [unrolled: 1-line block ×3, first 2 shown]
	s_xor_b64 s[16:17], s[16:17], -1
	s_and_saveexec_b64 s[30:31], s[16:17]
	s_xor_b64 s[30:31], exec, s[30:31]
	s_cbranch_execz .LBB109_25
; %bb.24:                               ;   in Loop: Header=BB109_7 Depth=2
	v_add_co_u32_e64 v4, s[16:17], v44, v34
	v_addc_co_u32_e64 v5, s[16:17], v45, v35, s[16:17]
	global_load_dwordx4 v[4:7], v[4:5], off
	s_waitcnt vmcnt(0)
	ds_write2_b64 v65, v[4:5], v[6:7] offset1:1
.LBB109_25:                             ;   in Loop: Header=BB109_7 Depth=2
	s_andn2_saveexec_b64 s[16:17], s[30:31]
	s_cbranch_execz .LBB109_31
; %bb.26:                               ;   in Loop: Header=BB109_7 Depth=2
	s_xor_b64 s[26:27], s[26:27], -1
	s_and_saveexec_b64 s[30:31], s[26:27]
	s_xor_b64 s[26:27], exec, s[30:31]
	s_cbranch_execz .LBB109_28
; %bb.27:                               ;   in Loop: Header=BB109_7 Depth=2
	v_mov_b32_e32 v4, v2
	v_mov_b32_e32 v5, v2
	;; [unrolled: 1-line block ×4, first 2 shown]
	ds_write_b128 v65, v[4:7]
.LBB109_28:                             ;   in Loop: Header=BB109_7 Depth=2
	s_andn2_saveexec_b64 s[26:27], s[26:27]
	s_cbranch_execz .LBB109_30
; %bb.29:                               ;   in Loop: Header=BB109_7 Depth=2
	v_mov_b32_e32 v4, v2
	v_mov_b32_e32 v5, v2
	ds_write_b128 v65, v[2:5]
.LBB109_30:                             ;   in Loop: Header=BB109_7 Depth=2
	s_or_b64 exec, exec, s[26:27]
.LBB109_31:                             ;   in Loop: Header=BB109_7 Depth=2
	s_or_b64 exec, exec, s[16:17]
	s_or_b64 s[12:13], s[12:13], vcc
	s_or_b64 s[12:13], s[12:13], s[22:23]
	s_or_b64 s[12:13], s[2:3], s[12:13]
	s_xor_b64 s[12:13], s[12:13], -1
	s_and_saveexec_b64 s[16:17], s[12:13]
	s_xor_b64 s[12:13], exec, s[16:17]
	s_cbranch_execz .LBB109_33
; %bb.32:                               ;   in Loop: Header=BB109_7 Depth=2
	v_add_co_u32_e32 v4, vcc, v44, v34
	v_addc_co_u32_e32 v5, vcc, v45, v35, vcc
	global_load_dwordx4 v[4:7], v[4:5], off offset:256
	s_waitcnt vmcnt(0)
	ds_write2_b64 v66, v[4:5], v[6:7] offset1:1
.LBB109_33:                             ;   in Loop: Header=BB109_7 Depth=2
	s_andn2_saveexec_b64 s[12:13], s[12:13]
	s_cbranch_execz .LBB109_39
; %bb.34:                               ;   in Loop: Header=BB109_7 Depth=2
	s_and_saveexec_b64 s[16:17], s[20:21]
	s_xor_b64 s[16:17], exec, s[16:17]
	s_cbranch_execz .LBB109_36
; %bb.35:                               ;   in Loop: Header=BB109_7 Depth=2
	v_mov_b32_e32 v4, v2
	v_mov_b32_e32 v5, v2
	;; [unrolled: 1-line block ×4, first 2 shown]
	ds_write_b128 v66, v[4:7]
.LBB109_36:                             ;   in Loop: Header=BB109_7 Depth=2
	s_andn2_saveexec_b64 s[16:17], s[16:17]
	s_cbranch_execz .LBB109_38
; %bb.37:                               ;   in Loop: Header=BB109_7 Depth=2
	v_mov_b32_e32 v4, v2
	v_mov_b32_e32 v5, v2
	ds_write_b128 v66, v[2:5]
.LBB109_38:                             ;   in Loop: Header=BB109_7 Depth=2
	s_or_b64 exec, exec, s[16:17]
.LBB109_39:                             ;   in Loop: Header=BB109_7 Depth=2
	s_or_b64 exec, exec, s[12:13]
	v_mov_b32_e32 v5, s19
	v_add_co_u32_e32 v4, vcc, s18, v0
	v_addc_co_u32_e32 v5, vcc, 0, v5, vcc
	v_cmp_gt_i64_e32 vcc, s[38:39], v[4:5]
	s_and_b64 s[12:13], s[8:9], vcc
	s_xor_b64 s[12:13], s[12:13], -1
	s_and_saveexec_b64 s[16:17], s[12:13]
	s_xor_b64 s[12:13], exec, s[16:17]
	s_cbranch_execz .LBB109_41
; %bb.40:                               ;   in Loop: Header=BB109_7 Depth=2
	v_mov_b32_e32 v6, v2
	v_mov_b32_e32 v7, v2
	;; [unrolled: 1-line block ×4, first 2 shown]
	ds_write_b128 v68, v[6:9]
.LBB109_41:                             ;   in Loop: Header=BB109_7 Depth=2
	s_andn2_saveexec_b64 s[12:13], s[12:13]
	s_cbranch_execz .LBB109_43
; %bb.42:                               ;   in Loop: Header=BB109_7 Depth=2
	global_load_dwordx4 v[6:9], v[40:41], off offset:-256
	s_waitcnt vmcnt(0)
	ds_write2_b64 v68, v[6:7], v[8:9] offset1:1
.LBB109_43:                             ;   in Loop: Header=BB109_7 Depth=2
	s_or_b64 exec, exec, s[12:13]
	v_cmp_gt_i64_e64 s[12:13], s[52:53], v[4:5]
	s_and_b64 s[16:17], s[8:9], s[12:13]
	s_xor_b64 s[16:17], s[16:17], -1
	s_and_saveexec_b64 s[20:21], s[16:17]
	s_xor_b64 s[16:17], exec, s[20:21]
	s_cbranch_execz .LBB109_45
; %bb.44:                               ;   in Loop: Header=BB109_7 Depth=2
	v_mov_b32_e32 v4, v2
	v_mov_b32_e32 v5, v2
	;; [unrolled: 1-line block ×4, first 2 shown]
	ds_write_b128 v69, v[4:7]
.LBB109_45:                             ;   in Loop: Header=BB109_7 Depth=2
	s_andn2_saveexec_b64 s[16:17], s[16:17]
	s_cbranch_execz .LBB109_47
; %bb.46:                               ;   in Loop: Header=BB109_7 Depth=2
	global_load_dwordx4 v[4:7], v[40:41], off
	s_waitcnt vmcnt(0)
	ds_write2_b64 v69, v[4:5], v[6:7] offset1:1
.LBB109_47:                             ;   in Loop: Header=BB109_7 Depth=2
	s_or_b64 exec, exec, s[16:17]
	s_and_b64 s[16:17], s[10:11], vcc
	s_xor_b64 s[16:17], s[16:17], -1
	s_and_saveexec_b64 s[20:21], s[16:17]
	s_xor_b64 s[16:17], exec, s[20:21]
	s_cbranch_execz .LBB109_49
; %bb.48:                               ;   in Loop: Header=BB109_7 Depth=2
	v_mov_b32_e32 v4, v2
	v_mov_b32_e32 v5, v2
	;; [unrolled: 1-line block ×4, first 2 shown]
	ds_write_b128 v70, v[4:7]
.LBB109_49:                             ;   in Loop: Header=BB109_7 Depth=2
	s_andn2_saveexec_b64 s[16:17], s[16:17]
	s_cbranch_execz .LBB109_51
; %bb.50:                               ;   in Loop: Header=BB109_7 Depth=2
	global_load_dwordx4 v[4:7], v[42:43], off offset:-256
	s_waitcnt vmcnt(0)
	ds_write2_b64 v70, v[4:5], v[6:7] offset1:1
.LBB109_51:                             ;   in Loop: Header=BB109_7 Depth=2
	s_or_b64 exec, exec, s[16:17]
	s_and_b64 s[12:13], s[10:11], s[12:13]
	s_xor_b64 s[12:13], s[12:13], -1
	s_and_saveexec_b64 s[16:17], s[12:13]
	s_xor_b64 s[12:13], exec, s[16:17]
	s_cbranch_execz .LBB109_53
; %bb.52:                               ;   in Loop: Header=BB109_7 Depth=2
	v_mov_b32_e32 v4, v2
	v_mov_b32_e32 v5, v2
	;; [unrolled: 1-line block ×4, first 2 shown]
	ds_write_b128 v71, v[4:7]
.LBB109_53:                             ;   in Loop: Header=BB109_7 Depth=2
	s_andn2_saveexec_b64 s[12:13], s[12:13]
	s_cbranch_execz .LBB109_6
; %bb.54:                               ;   in Loop: Header=BB109_7 Depth=2
	global_load_dwordx4 v[4:7], v[42:43], off
	s_waitcnt vmcnt(0)
	ds_write2_b64 v71, v[4:5], v[6:7] offset1:1
	s_branch .LBB109_6
.LBB109_55:                             ;   in Loop: Header=BB109_4 Depth=1
	v_mul_lo_u32 v6, v73, s40
	v_mul_lo_u32 v7, v72, s41
	v_mad_u64_u32 v[4:5], s[8:9], v72, s40, 0
	v_add3_u32 v5, v5, v7, v6
	v_lshlrev_b64 v[4:5], 4, v[4:5]
	v_mov_b32_e32 v6, s54
	v_add_co_u32_e64 v4, s[8:9], s51, v4
	v_cmp_gt_i32_e32 vcc, s50, v72
	v_addc_co_u32_e64 v5, s[8:9], v6, v5, s[8:9]
	s_and_b64 s[8:9], s[4:5], vcc
	s_and_saveexec_b64 s[10:11], s[8:9]
	s_cbranch_execz .LBB109_57
; %bb.56:                               ;   in Loop: Header=BB109_4 Depth=1
	v_add_co_u32_e64 v10, s[8:9], v4, v34
	v_addc_co_u32_e64 v11, s[8:9], v5, v35, s[8:9]
	global_load_dwordx4 v[6:9], v[10:11], off
	v_mul_f64 v[12:13], s[46:47], v[62:63]
	v_mul_f64 v[14:15], s[44:45], v[62:63]
	v_fma_f64 v[12:13], s[44:45], v[60:61], -v[12:13]
	v_fmac_f64_e32 v[14:15], s[46:47], v[60:61]
	s_waitcnt vmcnt(0)
	v_add_f64 v[6:7], v[6:7], v[12:13]
	v_add_f64 v[8:9], v[8:9], v[14:15]
	global_store_dwordx4 v[10:11], v[6:9], off
.LBB109_57:                             ;   in Loop: Header=BB109_4 Depth=1
	s_or_b64 exec, exec, s[10:11]
	s_and_b64 s[10:11], s[14:15], vcc
	s_and_saveexec_b64 s[8:9], s[10:11]
	s_cbranch_execz .LBB109_59
; %bb.58:                               ;   in Loop: Header=BB109_4 Depth=1
	v_lshlrev_b64 v[6:7], 4, v[22:23]
	v_add_co_u32_e32 v8, vcc, v4, v6
	v_addc_co_u32_e32 v9, vcc, v5, v7, vcc
	global_load_dwordx4 v[4:7], v[8:9], off
	v_mul_f64 v[10:11], s[46:47], v[58:59]
	v_mul_f64 v[12:13], s[44:45], v[58:59]
	v_fma_f64 v[10:11], s[44:45], v[56:57], -v[10:11]
	v_fmac_f64_e32 v[12:13], s[46:47], v[56:57]
	s_waitcnt vmcnt(0)
	v_add_f64 v[4:5], v[4:5], v[10:11]
	v_add_f64 v[6:7], v[6:7], v[12:13]
	global_store_dwordx4 v[8:9], v[4:7], off
.LBB109_59:                             ;   in Loop: Header=BB109_4 Depth=1
	s_or_b64 exec, exec, s[8:9]
	v_add_u32_e32 v4, 16, v72
	v_ashrrev_i32_e32 v5, 31, v4
	v_cmp_gt_i32_e32 vcc, s50, v4
	v_mul_lo_u32 v6, v5, s40
	v_mul_lo_u32 v7, v4, s41
	v_mad_u64_u32 v[4:5], s[8:9], v4, s40, 0
	v_add3_u32 v5, v5, v7, v6
	v_lshlrev_b64 v[4:5], 4, v[4:5]
	v_mov_b32_e32 v6, s54
	v_add_co_u32_e64 v4, s[8:9], s51, v4
	v_addc_co_u32_e64 v5, s[8:9], v6, v5, s[8:9]
	s_and_b64 s[8:9], s[4:5], vcc
	s_and_saveexec_b64 s[10:11], s[8:9]
	s_cbranch_execz .LBB109_61
; %bb.60:                               ;   in Loop: Header=BB109_4 Depth=1
	v_add_co_u32_e64 v10, s[8:9], v4, v34
	v_addc_co_u32_e64 v11, s[8:9], v5, v35, s[8:9]
	global_load_dwordx4 v[6:9], v[10:11], off
	v_mul_f64 v[12:13], s[46:47], v[54:55]
	v_mul_f64 v[14:15], s[44:45], v[54:55]
	v_fma_f64 v[12:13], s[44:45], v[52:53], -v[12:13]
	v_fmac_f64_e32 v[14:15], s[46:47], v[52:53]
	s_waitcnt vmcnt(0)
	v_add_f64 v[6:7], v[6:7], v[12:13]
	v_add_f64 v[8:9], v[8:9], v[14:15]
	global_store_dwordx4 v[10:11], v[6:9], off
.LBB109_61:                             ;   in Loop: Header=BB109_4 Depth=1
	s_or_b64 exec, exec, s[10:11]
	s_and_b64 s[10:11], s[14:15], vcc
	s_and_saveexec_b64 s[8:9], s[10:11]
	s_cbranch_execz .LBB109_3
; %bb.62:                               ;   in Loop: Header=BB109_4 Depth=1
	v_lshlrev_b64 v[6:7], 4, v[22:23]
	v_add_co_u32_e32 v8, vcc, v4, v6
	v_addc_co_u32_e32 v9, vcc, v5, v7, vcc
	global_load_dwordx4 v[4:7], v[8:9], off
	v_mul_f64 v[10:11], s[46:47], v[48:49]
	v_mul_f64 v[12:13], s[44:45], v[48:49]
	v_fma_f64 v[10:11], s[44:45], v[50:51], -v[10:11]
	v_fmac_f64_e32 v[12:13], s[46:47], v[50:51]
	s_waitcnt vmcnt(0)
	v_add_f64 v[4:5], v[4:5], v[10:11]
	v_add_f64 v[6:7], v[6:7], v[12:13]
	global_store_dwordx4 v[8:9], v[4:7], off
	s_branch .LBB109_3
.LBB109_63:
	s_endpgm
	.section	.rodata,"a",@progbits
	.p2align	6, 0x0
	.amdhsa_kernel _ZL30rocblas_trmm_outofplace_kernelI19rocblas_complex_numIdELi32ELi2ELb1ELb0ELb0ELb0ES1_KS1_S1_Ev17rocblas_diagonal_iiT6_lPT7_lllS6_lllPT8_llli
		.amdhsa_group_segment_fixed_size 32768
		.amdhsa_private_segment_fixed_size 0
		.amdhsa_kernarg_size 400
		.amdhsa_user_sgpr_count 6
		.amdhsa_user_sgpr_private_segment_buffer 1
		.amdhsa_user_sgpr_dispatch_ptr 0
		.amdhsa_user_sgpr_queue_ptr 0
		.amdhsa_user_sgpr_kernarg_segment_ptr 1
		.amdhsa_user_sgpr_dispatch_id 0
		.amdhsa_user_sgpr_flat_scratch_init 0
		.amdhsa_user_sgpr_kernarg_preload_length 0
		.amdhsa_user_sgpr_kernarg_preload_offset 0
		.amdhsa_user_sgpr_private_segment_size 0
		.amdhsa_uses_dynamic_stack 0
		.amdhsa_system_sgpr_private_segment_wavefront_offset 0
		.amdhsa_system_sgpr_workgroup_id_x 1
		.amdhsa_system_sgpr_workgroup_id_y 1
		.amdhsa_system_sgpr_workgroup_id_z 1
		.amdhsa_system_sgpr_workgroup_info 0
		.amdhsa_system_vgpr_workitem_id 1
		.amdhsa_next_free_vgpr 92
		.amdhsa_next_free_sgpr 57
		.amdhsa_accum_offset 92
		.amdhsa_reserve_vcc 1
		.amdhsa_reserve_flat_scratch 0
		.amdhsa_float_round_mode_32 0
		.amdhsa_float_round_mode_16_64 0
		.amdhsa_float_denorm_mode_32 3
		.amdhsa_float_denorm_mode_16_64 3
		.amdhsa_dx10_clamp 1
		.amdhsa_ieee_mode 1
		.amdhsa_fp16_overflow 0
		.amdhsa_tg_split 0
		.amdhsa_exception_fp_ieee_invalid_op 0
		.amdhsa_exception_fp_denorm_src 0
		.amdhsa_exception_fp_ieee_div_zero 0
		.amdhsa_exception_fp_ieee_overflow 0
		.amdhsa_exception_fp_ieee_underflow 0
		.amdhsa_exception_fp_ieee_inexact 0
		.amdhsa_exception_int_div_zero 0
	.end_amdhsa_kernel
	.section	.text._ZL30rocblas_trmm_outofplace_kernelI19rocblas_complex_numIdELi32ELi2ELb1ELb0ELb0ELb0ES1_KS1_S1_Ev17rocblas_diagonal_iiT6_lPT7_lllS6_lllPT8_llli,"axG",@progbits,_ZL30rocblas_trmm_outofplace_kernelI19rocblas_complex_numIdELi32ELi2ELb1ELb0ELb0ELb0ES1_KS1_S1_Ev17rocblas_diagonal_iiT6_lPT7_lllS6_lllPT8_llli,comdat
.Lfunc_end109:
	.size	_ZL30rocblas_trmm_outofplace_kernelI19rocblas_complex_numIdELi32ELi2ELb1ELb0ELb0ELb0ES1_KS1_S1_Ev17rocblas_diagonal_iiT6_lPT7_lllS6_lllPT8_llli, .Lfunc_end109-_ZL30rocblas_trmm_outofplace_kernelI19rocblas_complex_numIdELi32ELi2ELb1ELb0ELb0ELb0ES1_KS1_S1_Ev17rocblas_diagonal_iiT6_lPT7_lllS6_lllPT8_llli
                                        ; -- End function
	.section	.AMDGPU.csdata,"",@progbits
; Kernel info:
; codeLenInByte = 9464
; NumSgprs: 61
; NumVgprs: 92
; NumAgprs: 0
; TotalNumVgprs: 92
; ScratchSize: 0
; MemoryBound: 0
; FloatMode: 240
; IeeeMode: 1
; LDSByteSize: 32768 bytes/workgroup (compile time only)
; SGPRBlocks: 7
; VGPRBlocks: 11
; NumSGPRsForWavesPerEU: 61
; NumVGPRsForWavesPerEU: 92
; AccumOffset: 92
; Occupancy: 5
; WaveLimiterHint : 0
; COMPUTE_PGM_RSRC2:SCRATCH_EN: 0
; COMPUTE_PGM_RSRC2:USER_SGPR: 6
; COMPUTE_PGM_RSRC2:TRAP_HANDLER: 0
; COMPUTE_PGM_RSRC2:TGID_X_EN: 1
; COMPUTE_PGM_RSRC2:TGID_Y_EN: 1
; COMPUTE_PGM_RSRC2:TGID_Z_EN: 1
; COMPUTE_PGM_RSRC2:TIDIG_COMP_CNT: 1
; COMPUTE_PGM_RSRC3_GFX90A:ACCUM_OFFSET: 22
; COMPUTE_PGM_RSRC3_GFX90A:TG_SPLIT: 0
	.section	.text._ZL30rocblas_trmm_outofplace_kernelI19rocblas_complex_numIdELi32ELi2ELb1ELb1ELb0ELb0EPKS1_S2_S1_Ev17rocblas_diagonal_iiT6_lPT7_lllS7_lllPT8_llli,"axG",@progbits,_ZL30rocblas_trmm_outofplace_kernelI19rocblas_complex_numIdELi32ELi2ELb1ELb1ELb0ELb0EPKS1_S2_S1_Ev17rocblas_diagonal_iiT6_lPT7_lllS7_lllPT8_llli,comdat
	.globl	_ZL30rocblas_trmm_outofplace_kernelI19rocblas_complex_numIdELi32ELi2ELb1ELb1ELb0ELb0EPKS1_S2_S1_Ev17rocblas_diagonal_iiT6_lPT7_lllS7_lllPT8_llli ; -- Begin function _ZL30rocblas_trmm_outofplace_kernelI19rocblas_complex_numIdELi32ELi2ELb1ELb1ELb0ELb0EPKS1_S2_S1_Ev17rocblas_diagonal_iiT6_lPT7_lllS7_lllPT8_llli
	.p2align	8
	.type	_ZL30rocblas_trmm_outofplace_kernelI19rocblas_complex_numIdELi32ELi2ELb1ELb1ELb0ELb0EPKS1_S2_S1_Ev17rocblas_diagonal_iiT6_lPT7_lllS7_lllPT8_llli,@function
_ZL30rocblas_trmm_outofplace_kernelI19rocblas_complex_numIdELi32ELi2ELb1ELb1ELb0ELb0EPKS1_S2_S1_Ev17rocblas_diagonal_iiT6_lPT7_lllS7_lllPT8_llli: ; @_ZL30rocblas_trmm_outofplace_kernelI19rocblas_complex_numIdELi32ELi2ELb1ELb1ELb0ELb0EPKS1_S2_S1_Ev17rocblas_diagonal_iiT6_lPT7_lllS7_lllPT8_llli
; %bb.0:
	s_load_dwordx16 s[12:27], s[4:5], 0x10
	s_waitcnt lgkmcnt(0)
	s_mul_i32 s0, s8, s15
	s_mul_hi_u32 s1, s8, s14
	s_add_i32 s1, s1, s0
	s_mul_i32 s0, s8, s14
	s_lshl_b64 s[0:1], s[0:1], 4
	s_add_u32 s0, s12, s0
	s_addc_u32 s1, s13, s1
	s_load_dwordx4 s[28:31], s[0:1], 0x0
	s_waitcnt lgkmcnt(0)
	v_cmp_eq_f64_e64 s[0:1], s[28:29], 0
	v_cmp_eq_f64_e64 s[2:3], s[30:31], 0
	s_and_b64 s[0:1], s[0:1], s[2:3]
	s_and_b64 vcc, exec, s[0:1]
	s_cbranch_vccnz .LBB110_63
; %bb.1:
	s_load_dwordx4 s[44:47], s[4:5], 0x0
	s_waitcnt lgkmcnt(0)
	s_add_i32 s0, s46, -1
	s_ashr_i32 s1, s0, 31
	s_lshr_b32 s1, s1, 27
	s_add_i32 s0, s0, s1
	s_ashr_i32 s33, s0, 5
	s_cmp_gt_i32 s7, s33
	s_cbranch_scc1 .LBB110_63
; %bb.2:
	s_load_dwordx4 s[48:51], s[4:5], 0x70
	s_load_dwordx8 s[36:43], s[4:5], 0x50
	s_load_dword s47, s[4:5], 0x8c
	v_bfe_u32 v60, v0, 10, 10
	v_and_b32_e32 v0, 0x3ff, v0
	v_lshlrev_b32_e32 v1, 9, v60
	s_waitcnt lgkmcnt(0)
	s_mul_i32 s0, s8, s51
	s_mul_hi_u32 s1, s8, s50
	s_add_i32 s1, s1, s0
	s_mul_i32 s0, s8, s50
	s_lshl_b64 s[0:1], s[0:1], 4
	s_add_u32 s2, s40, s0
	s_addc_u32 s3, s41, s1
	s_lshl_b64 s[0:1], s[42:43], 4
	s_add_u32 s54, s2, s0
	s_addc_u32 s55, s3, s1
	s_lshl_b32 s0, s6, 5
	s_sub_i32 s6, s45, s0
	s_cmp_gt_i32 s6, 0
	s_cselect_b64 s[34:35], -1, 0
	s_cmpk_eq_i32 s44, 0x84
	s_cselect_b64 s[40:41], -1, 0
	s_ashr_i32 s43, s45, 31
	s_ashr_i32 s56, s46, 31
	s_lshl_b64 s[50:51], s[20:21], 9
	s_add_u32 s52, s45, -16
	s_mul_i32 s9, s39, s8
	s_mul_hi_u32 s10, s38, s8
	s_addc_u32 s53, s43, -1
	s_add_i32 s11, s10, s9
	s_mul_i32 s10, s38, s8
	s_lshl_b64 s[10:11], s[10:11], 4
	s_lshl_b64 s[12:13], s[26:27], 4
	s_add_u32 s9, s10, s12
	s_addc_u32 s10, s11, s13
	s_add_u32 s9, s9, s24
	s_addc_u32 s10, s10, s25
	v_add_u32_e32 v14, s0, v60
	v_add_u32_e32 v16, s0, v0
	v_lshlrev_b32_e32 v61, 4, v0
	s_add_u32 s24, s9, 0x100
	v_ashrrev_i32_e32 v17, 31, v16
	v_add_u32_e32 v62, v61, v1
	v_add_co_u32_e32 v18, vcc, 16, v16
	v_add_u32_e32 v66, 0x4000, v1
	s_addc_u32 s25, s10, 0
	v_mad_u64_u32 v[0:1], s[10:11], s20, v14, 0
	v_addc_co_u32_e32 v19, vcc, 0, v17, vcc
	s_mul_i32 s9, s23, s8
	s_mul_hi_u32 s10, s22, s8
	v_ashrrev_i32_e32 v15, 31, v14
	v_sub_co_u32_e32 v22, vcc, v16, v14
	s_add_i32 s9, s10, s9
	s_mul_i32 s8, s22, s8
	v_subb_co_u32_e32 v23, vcc, v17, v15, vcc
	s_lshl_b64 s[26:27], s[36:37], 4
	s_lshl_b32 s57, s47, 5
	s_lshl_b64 s[8:9], s[8:9], 4
	s_lshl_b64 s[10:11], s[18:19], 4
	v_add_co_u32_e32 v24, vcc, 16, v22
	s_add_u32 s10, s16, s10
	v_addc_co_u32_e32 v25, vcc, 0, v23, vcc
	v_mul_lo_u32 v2, s20, v15
	v_mul_lo_u32 v3, s21, v14
	s_addc_u32 s11, s17, s11
	v_add_co_u32_e32 v26, vcc, -16, v22
	v_add3_u32 v1, v1, v2, v3
	s_add_u32 s8, s10, s8
	v_addc_co_u32_e32 v27, vcc, -1, v23, vcc
	v_lshlrev_b64 v[0:1], 4, v[0:1]
	s_addc_u32 s9, s11, s9
	v_mov_b32_e32 v2, s9
	v_add_co_u32_e32 v0, vcc, s8, v0
	s_movk_i32 s44, 0x100
	v_addc_co_u32_e32 v1, vcc, v2, v1, vcc
	v_add_co_u32_e32 v32, vcc, s44, v0
	v_addc_co_u32_e32 v33, vcc, 0, v1, vcc
	v_lshlrev_b64 v[0:1], 4, v[14:15]
	v_add_co_u32_e32 v2, vcc, s44, v0
	v_addc_co_u32_e32 v3, vcc, 0, v1, vcc
	v_pk_mov_b32 v[0:1], s[8:9], s[8:9] op_sel:[0,1]
	s_mov_b32 s42, s45
	v_add_u32_e32 v67, v66, v61
	v_add_u32_e32 v20, 16, v16
	v_mad_u64_u32 v[34:35], s[8:9], s20, v2, v[0:1]
	v_mul_lo_u32 v0, s20, v3
	v_mul_lo_u32 v1, s21, v2
	v_cmp_le_i32_e64 s[0:1], s45, v16
	v_cmp_le_i64_e64 s[2:3], s[42:43], v[18:19]
	v_add_u32_e32 v63, 0x100, v62
	v_add_u32_e32 v64, 0x2000, v62
	;; [unrolled: 1-line block ×6, first 2 shown]
	v_cmp_gt_i32_e64 s[4:5], s45, v16
	v_cmp_gt_i32_e64 s[14:15], s45, v20
	v_ashrrev_i32_e32 v21, 31, v20
	v_lshlrev_b64 v[28:29], 4, v[16:17]
	v_lshl_add_u32 v30, s7, 5, v60
	v_add3_u32 v35, v1, v35, v0
	v_mov_b32_e32 v0, 0
	v_mov_b32_e32 v1, 0x3ff00000
	s_movk_i32 s58, 0x200
	s_branch .LBB110_4
.LBB110_3:                              ;   in Loop: Header=BB110_4 Depth=1
	s_or_b64 exec, exec, s[8:9]
	s_add_i32 s7, s47, s7
	s_cmp_le_i32 s7, s33
	v_add_u32_e32 v30, s57, v30
	s_cbranch_scc0 .LBB110_63
.LBB110_4:                              ; =>This Loop Header: Depth=1
                                        ;     Child Loop BB110_7 Depth 2
	v_lshl_add_u32 v71, s7, 5, v60
	v_pk_mov_b32 v[56:57], 0, 0
	v_ashrrev_i32_e32 v72, 31, v71
	s_mov_b64 s[18:19], 0
	s_andn2_b64 vcc, exec, s[34:35]
	v_pk_mov_b32 v[58:59], v[56:57], v[56:57] op_sel:[0,1]
	v_pk_mov_b32 v[52:53], v[56:57], v[56:57] op_sel:[0,1]
	;; [unrolled: 1-line block ×7, first 2 shown]
	s_cbranch_vccnz .LBB110_55
; %bb.5:                                ;   in Loop: Header=BB110_4 Depth=1
	v_ashrrev_i32_e32 v31, 31, v30
	v_pk_mov_b32 v[2:3], s[24:25], s[24:25] op_sel:[0,1]
	v_mad_u64_u32 v[36:37], s[8:9], s26, v30, v[2:3]
	v_mul_lo_u32 v4, s27, v30
	v_mul_lo_u32 v5, s26, v31
	v_add3_u32 v37, v4, v37, v5
	v_lshlrev_b64 v[4:5], 4, v[30:31]
	v_add_co_u32_e32 v4, vcc, 0x100, v4
	v_addc_co_u32_e32 v5, vcc, 0, v5, vcc
	v_mad_u64_u32 v[38:39], s[8:9], s36, v4, v[2:3]
	v_mov_b32_e32 v3, s56
	v_sub_co_u32_e32 v2, vcc, s46, v71
	v_mul_lo_u32 v5, s36, v5
	v_mul_lo_u32 v6, s37, v4
	v_subb_co_u32_e32 v3, vcc, v3, v72, vcc
	v_pk_mov_b32 v[44:45], 0, 0
	v_add3_u32 v39, v6, v39, v5
	v_cmp_lt_i64_e64 s[8:9], 0, v[2:3]
	v_cmp_lt_i64_e64 s[10:11], 16, v[2:3]
	v_pk_mov_b32 v[40:41], v[34:35], v[34:35] op_sel:[0,1]
	v_pk_mov_b32 v[42:43], v[32:33], v[32:33] op_sel:[0,1]
	;; [unrolled: 1-line block ×9, first 2 shown]
	s_branch .LBB110_7
.LBB110_6:                              ;   in Loop: Header=BB110_7 Depth=2
	s_or_b64 exec, exec, s[12:13]
	s_waitcnt lgkmcnt(0)
	s_barrier
	ds_read_b128 v[74:77], v61
	ds_read_b128 v[78:81], v66
	ds_read_b128 v[10:13], v66 offset:16
	ds_read_b128 v[6:9], v66 offset:32
	;; [unrolled: 1-line block ×4, first 2 shown]
	s_waitcnt lgkmcnt(4)
	v_mul_f64 v[86:87], v[80:81], v[76:77]
	v_fma_f64 v[86:87], v[78:79], v[74:75], -v[86:87]
	v_mul_f64 v[88:89], v[78:79], v[76:77]
	v_fmac_f64_e32 v[88:89], v[80:81], v[74:75]
	v_add_f64 v[86:87], v[56:57], v[86:87]
	s_waitcnt lgkmcnt(0)
	v_mul_f64 v[56:57], v[80:81], v[84:85]
	v_add_f64 v[88:89], v[58:59], v[88:89]
	v_fma_f64 v[90:91], v[78:79], v[82:83], -v[56:57]
	ds_read_b128 v[56:59], v66 offset:8192
	v_mul_f64 v[78:79], v[78:79], v[84:85]
	v_fmac_f64_e32 v[78:79], v[80:81], v[82:83]
	v_add_f64 v[80:81], v[52:53], v[90:91]
	v_add_f64 v[78:79], v[54:55], v[78:79]
	ds_read_b128 v[52:55], v66 offset:8208
	s_waitcnt lgkmcnt(1)
	v_mul_f64 v[90:91], v[58:59], v[76:77]
	v_fma_f64 v[90:91], v[56:57], v[74:75], -v[90:91]
	v_mul_f64 v[76:77], v[56:57], v[76:77]
	v_fmac_f64_e32 v[76:77], v[58:59], v[74:75]
	v_add_f64 v[74:75], v[48:49], v[90:91]
	v_mul_f64 v[48:49], v[58:59], v[84:85]
	v_add_f64 v[76:77], v[50:51], v[76:77]
	v_fma_f64 v[90:91], v[56:57], v[82:83], -v[48:49]
	v_mul_f64 v[56:57], v[56:57], v[84:85]
	ds_read_b128 v[48:51], v61 offset:512
	v_fmac_f64_e32 v[56:57], v[58:59], v[82:83]
	v_add_f64 v[58:59], v[46:47], v[90:91]
	v_add_f64 v[56:57], v[44:45], v[56:57]
	ds_read_b128 v[44:47], v61 offset:768
	s_waitcnt lgkmcnt(1)
	v_mul_f64 v[82:83], v[12:13], v[50:51]
	v_fma_f64 v[82:83], v[10:11], v[48:49], -v[82:83]
	v_add_f64 v[82:83], v[86:87], v[82:83]
	v_mul_f64 v[84:85], v[10:11], v[50:51]
	s_waitcnt lgkmcnt(0)
	v_mul_f64 v[86:87], v[12:13], v[46:47]
	v_fma_f64 v[86:87], v[10:11], v[44:45], -v[86:87]
	v_mul_f64 v[10:11], v[10:11], v[46:47]
	v_fmac_f64_e32 v[10:11], v[12:13], v[44:45]
	v_fmac_f64_e32 v[84:85], v[12:13], v[48:49]
	v_add_f64 v[78:79], v[78:79], v[10:11]
	v_mul_f64 v[10:11], v[54:55], v[50:51]
	v_mul_f64 v[12:13], v[52:53], v[50:51]
	v_fma_f64 v[10:11], v[52:53], v[48:49], -v[10:11]
	v_fmac_f64_e32 v[12:13], v[54:55], v[48:49]
	v_mul_f64 v[48:49], v[54:55], v[46:47]
	v_fma_f64 v[50:51], v[52:53], v[44:45], -v[48:49]
	v_mul_f64 v[52:53], v[52:53], v[46:47]
	ds_read_b128 v[46:49], v61 offset:1024
	v_fmac_f64_e32 v[52:53], v[54:55], v[44:45]
	v_add_f64 v[44:45], v[58:59], v[50:51]
	v_add_f64 v[58:59], v[56:57], v[52:53]
	ds_read_b128 v[50:53], v61 offset:1280
	s_waitcnt lgkmcnt(1)
	v_mul_f64 v[54:55], v[8:9], v[48:49]
	v_fma_f64 v[54:55], v[6:7], v[46:47], -v[54:55]
	v_mul_f64 v[56:57], v[6:7], v[48:49]
	v_add_f64 v[84:85], v[88:89], v[84:85]
	v_add_f64 v[10:11], v[74:75], v[10:11]
	v_fmac_f64_e32 v[56:57], v[8:9], v[46:47]
	v_add_f64 v[74:75], v[82:83], v[54:55]
	s_waitcnt lgkmcnt(0)
	v_mul_f64 v[54:55], v[8:9], v[52:53]
	v_add_f64 v[12:13], v[76:77], v[12:13]
	v_add_f64 v[76:77], v[84:85], v[56:57]
	v_fma_f64 v[82:83], v[6:7], v[50:51], -v[54:55]
	ds_read_b128 v[54:57], v66 offset:8224
	v_mul_f64 v[6:7], v[6:7], v[52:53]
	v_add_f64 v[80:81], v[80:81], v[86:87]
	v_fmac_f64_e32 v[6:7], v[8:9], v[50:51]
	v_add_f64 v[80:81], v[80:81], v[82:83]
	v_add_f64 v[78:79], v[78:79], v[6:7]
	ds_read_b128 v[6:9], v66 offset:8240
	s_waitcnt lgkmcnt(1)
	v_mul_f64 v[82:83], v[56:57], v[48:49]
	v_fma_f64 v[82:83], v[54:55], v[46:47], -v[82:83]
	v_mul_f64 v[48:49], v[54:55], v[48:49]
	v_add_f64 v[82:83], v[10:11], v[82:83]
	v_mul_f64 v[10:11], v[56:57], v[52:53]
	v_fmac_f64_e32 v[48:49], v[56:57], v[46:47]
	v_fma_f64 v[46:47], v[54:55], v[50:51], -v[10:11]
	v_mul_f64 v[52:53], v[54:55], v[52:53]
	v_add_f64 v[48:49], v[12:13], v[48:49]
	ds_read_b128 v[10:13], v61 offset:1536
	v_fmac_f64_e32 v[52:53], v[56:57], v[50:51]
	v_add_f64 v[50:51], v[44:45], v[46:47]
	ds_read_b128 v[44:47], v61 offset:1792
	v_add_f64 v[52:53], v[58:59], v[52:53]
	s_waitcnt lgkmcnt(1)
	v_mul_f64 v[54:55], v[4:5], v[12:13]
	v_fma_f64 v[54:55], v[2:3], v[10:11], -v[54:55]
	v_mul_f64 v[56:57], v[2:3], v[12:13]
	s_waitcnt lgkmcnt(0)
	v_mul_f64 v[58:59], v[4:5], v[46:47]
	v_fma_f64 v[58:59], v[2:3], v[44:45], -v[58:59]
	v_mul_f64 v[2:3], v[2:3], v[46:47]
	v_fmac_f64_e32 v[2:3], v[4:5], v[44:45]
	v_fmac_f64_e32 v[56:57], v[4:5], v[10:11]
	v_add_f64 v[54:55], v[74:75], v[54:55]
	v_add_f64 v[74:75], v[78:79], v[2:3]
	v_mul_f64 v[2:3], v[8:9], v[12:13]
	v_mul_f64 v[4:5], v[6:7], v[12:13]
	v_fma_f64 v[2:3], v[6:7], v[10:11], -v[2:3]
	v_fmac_f64_e32 v[4:5], v[8:9], v[10:11]
	v_mul_f64 v[10:11], v[8:9], v[46:47]
	v_mul_f64 v[46:47], v[6:7], v[46:47]
	v_add_f64 v[4:5], v[48:49], v[4:5]
	v_fma_f64 v[48:49], v[6:7], v[44:45], -v[10:11]
	v_fmac_f64_e32 v[46:47], v[8:9], v[44:45]
	ds_read_b128 v[6:9], v66 offset:64
	ds_read_b128 v[10:13], v61 offset:2048
	v_add_f64 v[56:57], v[76:77], v[56:57]
	v_add_f64 v[76:77], v[50:51], v[48:49]
	v_add_f64 v[78:79], v[52:53], v[46:47]
	ds_read_b128 v[44:47], v61 offset:2304
	ds_read_b128 v[48:51], v66 offset:80
	s_waitcnt lgkmcnt(2)
	v_mul_f64 v[52:53], v[8:9], v[12:13]
	v_add_f64 v[58:59], v[80:81], v[58:59]
	v_fma_f64 v[52:53], v[6:7], v[10:11], -v[52:53]
	v_mul_f64 v[80:81], v[6:7], v[12:13]
	v_add_f64 v[2:3], v[82:83], v[2:3]
	v_fmac_f64_e32 v[80:81], v[8:9], v[10:11]
	v_add_f64 v[82:83], v[54:55], v[52:53]
	s_waitcnt lgkmcnt(1)
	v_mul_f64 v[52:53], v[8:9], v[46:47]
	v_add_f64 v[56:57], v[56:57], v[80:81]
	v_fma_f64 v[80:81], v[6:7], v[44:45], -v[52:53]
	ds_read_b128 v[52:55], v66 offset:8256
	v_mul_f64 v[6:7], v[6:7], v[46:47]
	v_fmac_f64_e32 v[6:7], v[8:9], v[44:45]
	v_add_f64 v[58:59], v[58:59], v[80:81]
	v_add_f64 v[74:75], v[74:75], v[6:7]
	ds_read_b128 v[6:9], v66 offset:8272
	s_waitcnt lgkmcnt(1)
	v_mul_f64 v[80:81], v[54:55], v[12:13]
	v_fma_f64 v[80:81], v[52:53], v[10:11], -v[80:81]
	v_mul_f64 v[12:13], v[52:53], v[12:13]
	v_fmac_f64_e32 v[12:13], v[54:55], v[10:11]
	v_add_f64 v[80:81], v[2:3], v[80:81]
	v_mul_f64 v[2:3], v[54:55], v[46:47]
	v_add_f64 v[84:85], v[4:5], v[12:13]
	v_fma_f64 v[10:11], v[52:53], v[44:45], -v[2:3]
	v_mul_f64 v[12:13], v[52:53], v[46:47]
	ds_read_b128 v[2:5], v61 offset:2560
	v_fmac_f64_e32 v[12:13], v[54:55], v[44:45]
	v_add_f64 v[44:45], v[76:77], v[10:11]
	v_add_f64 v[46:47], v[78:79], v[12:13]
	ds_read_b128 v[10:13], v61 offset:2816
	s_waitcnt lgkmcnt(1)
	v_mul_f64 v[54:55], v[48:49], v[4:5]
	v_fmac_f64_e32 v[54:55], v[50:51], v[2:3]
	v_mul_f64 v[52:53], v[50:51], v[4:5]
	v_add_f64 v[54:55], v[56:57], v[54:55]
	s_waitcnt lgkmcnt(0)
	v_mul_f64 v[56:57], v[50:51], v[12:13]
	v_fma_f64 v[52:53], v[48:49], v[2:3], -v[52:53]
	v_fma_f64 v[56:57], v[48:49], v[10:11], -v[56:57]
	v_mul_f64 v[48:49], v[48:49], v[12:13]
	v_fmac_f64_e32 v[48:49], v[50:51], v[10:11]
	v_add_f64 v[56:57], v[58:59], v[56:57]
	v_add_f64 v[58:59], v[74:75], v[48:49]
	v_mul_f64 v[48:49], v[8:9], v[4:5]
	v_fma_f64 v[48:49], v[6:7], v[2:3], -v[48:49]
	v_mul_f64 v[4:5], v[6:7], v[4:5]
	v_fmac_f64_e32 v[4:5], v[8:9], v[2:3]
	v_add_f64 v[2:3], v[80:81], v[48:49]
	v_mul_f64 v[48:49], v[8:9], v[12:13]
	v_mul_f64 v[50:51], v[6:7], v[12:13]
	v_fma_f64 v[48:49], v[6:7], v[10:11], -v[48:49]
	v_fmac_f64_e32 v[50:51], v[8:9], v[10:11]
	ds_read_b128 v[6:9], v66 offset:96
	ds_read_b128 v[10:13], v61 offset:3072
	v_add_f64 v[74:75], v[44:45], v[48:49]
	v_add_f64 v[76:77], v[46:47], v[50:51]
	ds_read_b128 v[44:47], v61 offset:3328
	ds_read_b128 v[48:51], v66 offset:112
	v_add_f64 v[52:53], v[82:83], v[52:53]
	s_waitcnt lgkmcnt(2)
	v_mul_f64 v[78:79], v[8:9], v[12:13]
	v_fma_f64 v[78:79], v[6:7], v[10:11], -v[78:79]
	v_mul_f64 v[80:81], v[6:7], v[12:13]
	v_fmac_f64_e32 v[80:81], v[8:9], v[10:11]
	v_add_f64 v[78:79], v[52:53], v[78:79]
	s_waitcnt lgkmcnt(1)
	v_mul_f64 v[52:53], v[8:9], v[46:47]
	v_add_f64 v[80:81], v[54:55], v[80:81]
	v_fma_f64 v[82:83], v[6:7], v[44:45], -v[52:53]
	ds_read_b128 v[52:55], v66 offset:8288
	v_mul_f64 v[6:7], v[6:7], v[46:47]
	v_fmac_f64_e32 v[6:7], v[8:9], v[44:45]
	v_add_f64 v[56:57], v[56:57], v[82:83]
	v_add_f64 v[58:59], v[58:59], v[6:7]
	ds_read_b128 v[6:9], v66 offset:8304
	s_waitcnt lgkmcnt(1)
	v_mul_f64 v[82:83], v[54:55], v[12:13]
	v_mul_f64 v[12:13], v[52:53], v[12:13]
	v_add_f64 v[4:5], v[84:85], v[4:5]
	v_fma_f64 v[82:83], v[52:53], v[10:11], -v[82:83]
	v_fmac_f64_e32 v[12:13], v[54:55], v[10:11]
	v_add_f64 v[82:83], v[2:3], v[82:83]
	v_add_f64 v[84:85], v[4:5], v[12:13]
	v_mul_f64 v[2:3], v[54:55], v[46:47]
	v_mul_f64 v[12:13], v[52:53], v[46:47]
	v_fma_f64 v[10:11], v[52:53], v[44:45], -v[2:3]
	v_fmac_f64_e32 v[12:13], v[54:55], v[44:45]
	ds_read_b128 v[2:5], v61 offset:3584
	v_add_f64 v[44:45], v[74:75], v[10:11]
	v_add_f64 v[46:47], v[76:77], v[12:13]
	ds_read_b128 v[10:13], v61 offset:3840
	v_add_co_u32_e32 v36, vcc, s58, v36
	s_waitcnt lgkmcnt(1)
	v_mul_f64 v[52:53], v[50:51], v[4:5]
	v_fma_f64 v[52:53], v[48:49], v[2:3], -v[52:53]
	s_waitcnt lgkmcnt(0)
	v_mul_f64 v[74:75], v[50:51], v[12:13]
	v_mul_f64 v[54:55], v[48:49], v[4:5]
	v_fma_f64 v[74:75], v[48:49], v[10:11], -v[74:75]
	v_mul_f64 v[48:49], v[48:49], v[12:13]
	v_fmac_f64_e32 v[48:49], v[50:51], v[10:11]
	v_add_f64 v[58:59], v[58:59], v[48:49]
	v_mul_f64 v[48:49], v[8:9], v[4:5]
	v_fma_f64 v[48:49], v[6:7], v[2:3], -v[48:49]
	v_mul_f64 v[4:5], v[6:7], v[4:5]
	v_fmac_f64_e32 v[54:55], v[50:51], v[2:3]
	v_fmac_f64_e32 v[4:5], v[8:9], v[2:3]
	v_add_f64 v[2:3], v[82:83], v[48:49]
	v_mul_f64 v[48:49], v[8:9], v[12:13]
	v_mul_f64 v[50:51], v[6:7], v[12:13]
	v_fma_f64 v[48:49], v[6:7], v[10:11], -v[48:49]
	v_fmac_f64_e32 v[50:51], v[8:9], v[10:11]
	ds_read_b128 v[6:9], v66 offset:128
	ds_read_b128 v[10:13], v61 offset:4096
	v_add_f64 v[56:57], v[56:57], v[74:75]
	v_add_f64 v[74:75], v[44:45], v[48:49]
	;; [unrolled: 1-line block ×3, first 2 shown]
	ds_read_b128 v[44:47], v61 offset:4352
	ds_read_b128 v[48:51], v66 offset:144
	v_add_f64 v[52:53], v[78:79], v[52:53]
	s_waitcnt lgkmcnt(2)
	v_mul_f64 v[78:79], v[8:9], v[12:13]
	v_add_f64 v[54:55], v[80:81], v[54:55]
	v_fma_f64 v[78:79], v[6:7], v[10:11], -v[78:79]
	v_mul_f64 v[80:81], v[6:7], v[12:13]
	v_fmac_f64_e32 v[80:81], v[8:9], v[10:11]
	v_add_f64 v[78:79], v[52:53], v[78:79]
	s_waitcnt lgkmcnt(1)
	v_mul_f64 v[52:53], v[8:9], v[46:47]
	v_add_f64 v[80:81], v[54:55], v[80:81]
	v_fma_f64 v[82:83], v[6:7], v[44:45], -v[52:53]
	ds_read_b128 v[52:55], v66 offset:8320
	v_mul_f64 v[6:7], v[6:7], v[46:47]
	v_fmac_f64_e32 v[6:7], v[8:9], v[44:45]
	v_add_f64 v[56:57], v[56:57], v[82:83]
	v_add_f64 v[58:59], v[58:59], v[6:7]
	ds_read_b128 v[6:9], v66 offset:8336
	s_waitcnt lgkmcnt(1)
	v_mul_f64 v[82:83], v[54:55], v[12:13]
	v_mul_f64 v[12:13], v[52:53], v[12:13]
	v_add_f64 v[4:5], v[84:85], v[4:5]
	v_fma_f64 v[82:83], v[52:53], v[10:11], -v[82:83]
	v_fmac_f64_e32 v[12:13], v[54:55], v[10:11]
	v_add_f64 v[82:83], v[2:3], v[82:83]
	v_add_f64 v[84:85], v[4:5], v[12:13]
	v_mul_f64 v[2:3], v[54:55], v[46:47]
	v_mul_f64 v[12:13], v[52:53], v[46:47]
	v_fma_f64 v[10:11], v[52:53], v[44:45], -v[2:3]
	v_fmac_f64_e32 v[12:13], v[54:55], v[44:45]
	ds_read_b128 v[2:5], v61 offset:4608
	v_add_f64 v[44:45], v[74:75], v[10:11]
	v_add_f64 v[46:47], v[76:77], v[12:13]
	ds_read_b128 v[10:13], v61 offset:4864
	v_addc_co_u32_e32 v37, vcc, 0, v37, vcc
	s_waitcnt lgkmcnt(1)
	v_mul_f64 v[52:53], v[50:51], v[4:5]
	v_fma_f64 v[52:53], v[48:49], v[2:3], -v[52:53]
	s_waitcnt lgkmcnt(0)
	v_mul_f64 v[74:75], v[50:51], v[12:13]
	v_mul_f64 v[54:55], v[48:49], v[4:5]
	v_fma_f64 v[74:75], v[48:49], v[10:11], -v[74:75]
	v_mul_f64 v[48:49], v[48:49], v[12:13]
	v_fmac_f64_e32 v[48:49], v[50:51], v[10:11]
	v_add_f64 v[58:59], v[58:59], v[48:49]
	v_mul_f64 v[48:49], v[8:9], v[4:5]
	v_fma_f64 v[48:49], v[6:7], v[2:3], -v[48:49]
	v_mul_f64 v[4:5], v[6:7], v[4:5]
	v_fmac_f64_e32 v[54:55], v[50:51], v[2:3]
	v_fmac_f64_e32 v[4:5], v[8:9], v[2:3]
	v_add_f64 v[2:3], v[82:83], v[48:49]
	v_mul_f64 v[48:49], v[8:9], v[12:13]
	v_mul_f64 v[50:51], v[6:7], v[12:13]
	v_fma_f64 v[48:49], v[6:7], v[10:11], -v[48:49]
	v_fmac_f64_e32 v[50:51], v[8:9], v[10:11]
	ds_read_b128 v[6:9], v66 offset:160
	ds_read_b128 v[10:13], v61 offset:5120
	v_add_f64 v[56:57], v[56:57], v[74:75]
	v_add_f64 v[74:75], v[44:45], v[48:49]
	;; [unrolled: 1-line block ×3, first 2 shown]
	ds_read_b128 v[44:47], v61 offset:5376
	ds_read_b128 v[48:51], v66 offset:176
	v_add_f64 v[52:53], v[78:79], v[52:53]
	s_waitcnt lgkmcnt(2)
	v_mul_f64 v[78:79], v[8:9], v[12:13]
	v_add_f64 v[54:55], v[80:81], v[54:55]
	v_fma_f64 v[78:79], v[6:7], v[10:11], -v[78:79]
	v_mul_f64 v[80:81], v[6:7], v[12:13]
	v_fmac_f64_e32 v[80:81], v[8:9], v[10:11]
	v_add_f64 v[78:79], v[52:53], v[78:79]
	s_waitcnt lgkmcnt(1)
	v_mul_f64 v[52:53], v[8:9], v[46:47]
	v_add_f64 v[80:81], v[54:55], v[80:81]
	v_fma_f64 v[82:83], v[6:7], v[44:45], -v[52:53]
	ds_read_b128 v[52:55], v66 offset:8352
	v_mul_f64 v[6:7], v[6:7], v[46:47]
	v_fmac_f64_e32 v[6:7], v[8:9], v[44:45]
	v_add_f64 v[56:57], v[56:57], v[82:83]
	v_add_f64 v[58:59], v[58:59], v[6:7]
	ds_read_b128 v[6:9], v66 offset:8368
	s_waitcnt lgkmcnt(1)
	v_mul_f64 v[82:83], v[54:55], v[12:13]
	v_mul_f64 v[12:13], v[52:53], v[12:13]
	v_add_f64 v[4:5], v[84:85], v[4:5]
	v_fma_f64 v[82:83], v[52:53], v[10:11], -v[82:83]
	v_fmac_f64_e32 v[12:13], v[54:55], v[10:11]
	v_add_f64 v[82:83], v[2:3], v[82:83]
	v_add_f64 v[84:85], v[4:5], v[12:13]
	v_mul_f64 v[2:3], v[54:55], v[46:47]
	v_mul_f64 v[12:13], v[52:53], v[46:47]
	v_fma_f64 v[10:11], v[52:53], v[44:45], -v[2:3]
	v_fmac_f64_e32 v[12:13], v[54:55], v[44:45]
	ds_read_b128 v[2:5], v61 offset:5632
	v_add_f64 v[44:45], v[74:75], v[10:11]
	v_add_f64 v[46:47], v[76:77], v[12:13]
	ds_read_b128 v[10:13], v61 offset:5888
	v_add_co_u32_e32 v42, vcc, s50, v42
	s_waitcnt lgkmcnt(1)
	v_mul_f64 v[52:53], v[50:51], v[4:5]
	v_fma_f64 v[52:53], v[48:49], v[2:3], -v[52:53]
	s_waitcnt lgkmcnt(0)
	v_mul_f64 v[74:75], v[50:51], v[12:13]
	v_mul_f64 v[54:55], v[48:49], v[4:5]
	v_fma_f64 v[74:75], v[48:49], v[10:11], -v[74:75]
	v_mul_f64 v[48:49], v[48:49], v[12:13]
	v_fmac_f64_e32 v[48:49], v[50:51], v[10:11]
	v_add_f64 v[58:59], v[58:59], v[48:49]
	v_mul_f64 v[48:49], v[8:9], v[4:5]
	v_fma_f64 v[48:49], v[6:7], v[2:3], -v[48:49]
	v_mul_f64 v[4:5], v[6:7], v[4:5]
	v_fmac_f64_e32 v[54:55], v[50:51], v[2:3]
	v_fmac_f64_e32 v[4:5], v[8:9], v[2:3]
	v_add_f64 v[2:3], v[82:83], v[48:49]
	v_mul_f64 v[48:49], v[8:9], v[12:13]
	v_mul_f64 v[50:51], v[6:7], v[12:13]
	v_fma_f64 v[48:49], v[6:7], v[10:11], -v[48:49]
	v_fmac_f64_e32 v[50:51], v[8:9], v[10:11]
	ds_read_b128 v[6:9], v66 offset:192
	ds_read_b128 v[10:13], v61 offset:6144
	v_add_f64 v[56:57], v[56:57], v[74:75]
	v_add_f64 v[74:75], v[44:45], v[48:49]
	;; [unrolled: 1-line block ×3, first 2 shown]
	ds_read_b128 v[44:47], v61 offset:6400
	ds_read_b128 v[48:51], v66 offset:208
	v_add_f64 v[52:53], v[78:79], v[52:53]
	s_waitcnt lgkmcnt(2)
	v_mul_f64 v[78:79], v[8:9], v[12:13]
	v_add_f64 v[54:55], v[80:81], v[54:55]
	v_fma_f64 v[78:79], v[6:7], v[10:11], -v[78:79]
	v_mul_f64 v[80:81], v[6:7], v[12:13]
	v_fmac_f64_e32 v[80:81], v[8:9], v[10:11]
	v_add_f64 v[78:79], v[52:53], v[78:79]
	s_waitcnt lgkmcnt(1)
	v_mul_f64 v[52:53], v[8:9], v[46:47]
	v_add_f64 v[80:81], v[54:55], v[80:81]
	v_fma_f64 v[82:83], v[6:7], v[44:45], -v[52:53]
	ds_read_b128 v[52:55], v66 offset:8384
	v_mul_f64 v[6:7], v[6:7], v[46:47]
	v_fmac_f64_e32 v[6:7], v[8:9], v[44:45]
	v_add_f64 v[56:57], v[56:57], v[82:83]
	v_add_f64 v[58:59], v[58:59], v[6:7]
	ds_read_b128 v[6:9], v66 offset:8400
	s_waitcnt lgkmcnt(1)
	v_mul_f64 v[82:83], v[54:55], v[12:13]
	v_mul_f64 v[12:13], v[52:53], v[12:13]
	v_add_f64 v[4:5], v[84:85], v[4:5]
	v_fma_f64 v[82:83], v[52:53], v[10:11], -v[82:83]
	v_fmac_f64_e32 v[12:13], v[54:55], v[10:11]
	v_add_f64 v[82:83], v[2:3], v[82:83]
	v_add_f64 v[84:85], v[4:5], v[12:13]
	v_mul_f64 v[2:3], v[54:55], v[46:47]
	v_mul_f64 v[12:13], v[52:53], v[46:47]
	v_fma_f64 v[10:11], v[52:53], v[44:45], -v[2:3]
	v_fmac_f64_e32 v[12:13], v[54:55], v[44:45]
	ds_read_b128 v[2:5], v61 offset:6656
	v_add_f64 v[44:45], v[74:75], v[10:11]
	v_add_f64 v[46:47], v[76:77], v[12:13]
	ds_read_b128 v[10:13], v61 offset:6912
	s_add_u32 s18, s18, 32
	s_waitcnt lgkmcnt(1)
	v_mul_f64 v[52:53], v[50:51], v[4:5]
	v_fma_f64 v[52:53], v[48:49], v[2:3], -v[52:53]
	v_mul_f64 v[54:55], v[48:49], v[4:5]
	s_waitcnt lgkmcnt(0)
	v_mul_f64 v[74:75], v[50:51], v[12:13]
	v_fma_f64 v[74:75], v[48:49], v[10:11], -v[74:75]
	v_mul_f64 v[48:49], v[48:49], v[12:13]
	v_fmac_f64_e32 v[48:49], v[50:51], v[10:11]
	v_add_f64 v[58:59], v[58:59], v[48:49]
	v_mul_f64 v[48:49], v[8:9], v[4:5]
	v_fma_f64 v[48:49], v[6:7], v[2:3], -v[48:49]
	v_mul_f64 v[4:5], v[6:7], v[4:5]
	v_fmac_f64_e32 v[54:55], v[50:51], v[2:3]
	v_fmac_f64_e32 v[4:5], v[8:9], v[2:3]
	v_add_f64 v[2:3], v[82:83], v[48:49]
	v_mul_f64 v[48:49], v[8:9], v[12:13]
	v_mul_f64 v[50:51], v[6:7], v[12:13]
	v_fma_f64 v[48:49], v[6:7], v[10:11], -v[48:49]
	v_fmac_f64_e32 v[50:51], v[8:9], v[10:11]
	ds_read_b128 v[6:9], v66 offset:224
	ds_read_b128 v[10:13], v61 offset:7168
	v_add_f64 v[56:57], v[56:57], v[74:75]
	v_add_f64 v[74:75], v[44:45], v[48:49]
	;; [unrolled: 1-line block ×3, first 2 shown]
	ds_read_b128 v[44:47], v61 offset:7424
	ds_read_b128 v[48:51], v66 offset:240
	v_add_f64 v[52:53], v[78:79], v[52:53]
	s_waitcnt lgkmcnt(2)
	v_mul_f64 v[78:79], v[8:9], v[12:13]
	v_add_f64 v[54:55], v[80:81], v[54:55]
	v_fma_f64 v[78:79], v[6:7], v[10:11], -v[78:79]
	v_mul_f64 v[80:81], v[6:7], v[12:13]
	v_fmac_f64_e32 v[80:81], v[8:9], v[10:11]
	v_add_f64 v[78:79], v[52:53], v[78:79]
	s_waitcnt lgkmcnt(1)
	v_mul_f64 v[52:53], v[8:9], v[46:47]
	v_add_f64 v[80:81], v[54:55], v[80:81]
	v_fma_f64 v[82:83], v[6:7], v[44:45], -v[52:53]
	ds_read_b128 v[52:55], v66 offset:8416
	v_mul_f64 v[6:7], v[6:7], v[46:47]
	v_fmac_f64_e32 v[6:7], v[8:9], v[44:45]
	v_add_f64 v[56:57], v[56:57], v[82:83]
	v_add_f64 v[58:59], v[58:59], v[6:7]
	ds_read_b128 v[6:9], v66 offset:8432
	s_waitcnt lgkmcnt(1)
	v_mul_f64 v[82:83], v[54:55], v[12:13]
	v_mul_f64 v[12:13], v[52:53], v[12:13]
	v_add_f64 v[4:5], v[84:85], v[4:5]
	v_fma_f64 v[82:83], v[52:53], v[10:11], -v[82:83]
	v_fmac_f64_e32 v[12:13], v[54:55], v[10:11]
	v_add_f64 v[82:83], v[2:3], v[82:83]
	v_add_f64 v[84:85], v[4:5], v[12:13]
	v_mul_f64 v[2:3], v[54:55], v[46:47]
	v_mul_f64 v[12:13], v[52:53], v[46:47]
	v_fma_f64 v[10:11], v[52:53], v[44:45], -v[2:3]
	v_fmac_f64_e32 v[12:13], v[54:55], v[44:45]
	ds_read_b128 v[2:5], v61 offset:7680
	v_add_f64 v[44:45], v[74:75], v[10:11]
	v_add_f64 v[46:47], v[76:77], v[12:13]
	ds_read_b128 v[10:13], v61 offset:7936
	s_addc_u32 s19, s19, 0
	s_waitcnt lgkmcnt(1)
	v_mul_f64 v[52:53], v[50:51], v[4:5]
	v_fma_f64 v[52:53], v[48:49], v[2:3], -v[52:53]
	v_mul_f64 v[54:55], v[48:49], v[4:5]
	s_waitcnt lgkmcnt(0)
	v_mul_f64 v[74:75], v[50:51], v[12:13]
	v_fma_f64 v[74:75], v[48:49], v[10:11], -v[74:75]
	v_mul_f64 v[48:49], v[48:49], v[12:13]
	v_fmac_f64_e32 v[48:49], v[50:51], v[10:11]
	v_add_f64 v[58:59], v[58:59], v[48:49]
	v_mul_f64 v[48:49], v[8:9], v[4:5]
	v_fma_f64 v[48:49], v[6:7], v[2:3], -v[48:49]
	v_mul_f64 v[4:5], v[6:7], v[4:5]
	v_fmac_f64_e32 v[54:55], v[50:51], v[2:3]
	v_fmac_f64_e32 v[4:5], v[8:9], v[2:3]
	v_add_f64 v[2:3], v[82:83], v[48:49]
	v_mul_f64 v[48:49], v[8:9], v[12:13]
	v_mul_f64 v[50:51], v[6:7], v[12:13]
	v_fma_f64 v[48:49], v[6:7], v[10:11], -v[48:49]
	v_fmac_f64_e32 v[50:51], v[8:9], v[10:11]
	ds_read_b128 v[6:9], v66 offset:256
	ds_read_b128 v[10:13], v61 offset:8192
	v_add_f64 v[56:57], v[56:57], v[74:75]
	v_add_f64 v[74:75], v[44:45], v[48:49]
	;; [unrolled: 1-line block ×3, first 2 shown]
	ds_read_b128 v[44:47], v61 offset:8448
	ds_read_b128 v[48:51], v66 offset:272
	v_add_f64 v[52:53], v[78:79], v[52:53]
	s_waitcnt lgkmcnt(2)
	v_mul_f64 v[78:79], v[8:9], v[12:13]
	v_add_f64 v[54:55], v[80:81], v[54:55]
	v_fma_f64 v[78:79], v[6:7], v[10:11], -v[78:79]
	v_mul_f64 v[80:81], v[6:7], v[12:13]
	v_fmac_f64_e32 v[80:81], v[8:9], v[10:11]
	v_add_f64 v[78:79], v[52:53], v[78:79]
	s_waitcnt lgkmcnt(1)
	v_mul_f64 v[52:53], v[8:9], v[46:47]
	v_add_f64 v[80:81], v[54:55], v[80:81]
	v_fma_f64 v[82:83], v[6:7], v[44:45], -v[52:53]
	ds_read_b128 v[52:55], v66 offset:8448
	v_mul_f64 v[6:7], v[6:7], v[46:47]
	v_fmac_f64_e32 v[6:7], v[8:9], v[44:45]
	v_add_f64 v[56:57], v[56:57], v[82:83]
	v_add_f64 v[58:59], v[58:59], v[6:7]
	ds_read_b128 v[6:9], v66 offset:8464
	s_waitcnt lgkmcnt(1)
	v_mul_f64 v[82:83], v[54:55], v[12:13]
	v_mul_f64 v[12:13], v[52:53], v[12:13]
	v_add_f64 v[4:5], v[84:85], v[4:5]
	v_fma_f64 v[82:83], v[52:53], v[10:11], -v[82:83]
	v_fmac_f64_e32 v[12:13], v[54:55], v[10:11]
	v_add_f64 v[82:83], v[2:3], v[82:83]
	v_add_f64 v[84:85], v[4:5], v[12:13]
	v_mul_f64 v[2:3], v[54:55], v[46:47]
	v_mul_f64 v[12:13], v[52:53], v[46:47]
	v_fma_f64 v[10:11], v[52:53], v[44:45], -v[2:3]
	v_fmac_f64_e32 v[12:13], v[54:55], v[44:45]
	ds_read_b128 v[2:5], v61 offset:8704
	v_add_f64 v[44:45], v[74:75], v[10:11]
	v_add_f64 v[46:47], v[76:77], v[12:13]
	ds_read_b128 v[10:13], v61 offset:8960
	s_cmp_ge_i32 s18, s6
	s_waitcnt lgkmcnt(1)
	v_mul_f64 v[52:53], v[50:51], v[4:5]
	v_fma_f64 v[52:53], v[48:49], v[2:3], -v[52:53]
	v_mul_f64 v[54:55], v[48:49], v[4:5]
	s_waitcnt lgkmcnt(0)
	v_mul_f64 v[74:75], v[50:51], v[12:13]
	v_fma_f64 v[74:75], v[48:49], v[10:11], -v[74:75]
	v_mul_f64 v[48:49], v[48:49], v[12:13]
	v_fmac_f64_e32 v[48:49], v[50:51], v[10:11]
	v_add_f64 v[58:59], v[58:59], v[48:49]
	v_mul_f64 v[48:49], v[8:9], v[4:5]
	v_fma_f64 v[48:49], v[6:7], v[2:3], -v[48:49]
	v_mul_f64 v[4:5], v[6:7], v[4:5]
	v_fmac_f64_e32 v[54:55], v[50:51], v[2:3]
	v_fmac_f64_e32 v[4:5], v[8:9], v[2:3]
	v_add_f64 v[2:3], v[82:83], v[48:49]
	v_mul_f64 v[48:49], v[8:9], v[12:13]
	v_mul_f64 v[50:51], v[6:7], v[12:13]
	v_fma_f64 v[48:49], v[6:7], v[10:11], -v[48:49]
	v_fmac_f64_e32 v[50:51], v[8:9], v[10:11]
	ds_read_b128 v[6:9], v66 offset:288
	ds_read_b128 v[10:13], v61 offset:9216
	v_add_f64 v[56:57], v[56:57], v[74:75]
	v_add_f64 v[74:75], v[44:45], v[48:49]
	v_add_f64 v[76:77], v[46:47], v[50:51]
	ds_read_b128 v[44:47], v61 offset:9472
	ds_read_b128 v[48:51], v66 offset:304
	v_add_f64 v[52:53], v[78:79], v[52:53]
	s_waitcnt lgkmcnt(2)
	v_mul_f64 v[78:79], v[8:9], v[12:13]
	v_add_f64 v[54:55], v[80:81], v[54:55]
	v_fma_f64 v[78:79], v[6:7], v[10:11], -v[78:79]
	v_mul_f64 v[80:81], v[6:7], v[12:13]
	v_fmac_f64_e32 v[80:81], v[8:9], v[10:11]
	v_add_f64 v[78:79], v[52:53], v[78:79]
	s_waitcnt lgkmcnt(1)
	v_mul_f64 v[52:53], v[8:9], v[46:47]
	v_add_f64 v[80:81], v[54:55], v[80:81]
	v_fma_f64 v[82:83], v[6:7], v[44:45], -v[52:53]
	ds_read_b128 v[52:55], v66 offset:8480
	v_mul_f64 v[6:7], v[6:7], v[46:47]
	v_fmac_f64_e32 v[6:7], v[8:9], v[44:45]
	v_add_f64 v[56:57], v[56:57], v[82:83]
	v_add_f64 v[58:59], v[58:59], v[6:7]
	ds_read_b128 v[6:9], v66 offset:8496
	s_waitcnt lgkmcnt(1)
	v_mul_f64 v[82:83], v[54:55], v[12:13]
	v_mul_f64 v[12:13], v[52:53], v[12:13]
	v_add_f64 v[4:5], v[84:85], v[4:5]
	v_fma_f64 v[82:83], v[52:53], v[10:11], -v[82:83]
	v_fmac_f64_e32 v[12:13], v[54:55], v[10:11]
	v_add_f64 v[82:83], v[2:3], v[82:83]
	v_add_f64 v[84:85], v[4:5], v[12:13]
	v_mul_f64 v[2:3], v[54:55], v[46:47]
	v_mul_f64 v[12:13], v[52:53], v[46:47]
	v_fma_f64 v[10:11], v[52:53], v[44:45], -v[2:3]
	v_fmac_f64_e32 v[12:13], v[54:55], v[44:45]
	ds_read_b128 v[2:5], v61 offset:9728
	v_add_f64 v[44:45], v[74:75], v[10:11]
	v_add_f64 v[46:47], v[76:77], v[12:13]
	ds_read_b128 v[10:13], v61 offset:9984
	s_waitcnt lgkmcnt(1)
	v_mul_f64 v[52:53], v[50:51], v[4:5]
	v_fma_f64 v[52:53], v[48:49], v[2:3], -v[52:53]
	v_mul_f64 v[54:55], v[48:49], v[4:5]
	s_waitcnt lgkmcnt(0)
	v_mul_f64 v[74:75], v[50:51], v[12:13]
	v_fma_f64 v[74:75], v[48:49], v[10:11], -v[74:75]
	v_mul_f64 v[48:49], v[48:49], v[12:13]
	v_fmac_f64_e32 v[48:49], v[50:51], v[10:11]
	v_add_f64 v[58:59], v[58:59], v[48:49]
	v_mul_f64 v[48:49], v[8:9], v[4:5]
	v_fma_f64 v[48:49], v[6:7], v[2:3], -v[48:49]
	v_mul_f64 v[4:5], v[6:7], v[4:5]
	v_fmac_f64_e32 v[54:55], v[50:51], v[2:3]
	v_fmac_f64_e32 v[4:5], v[8:9], v[2:3]
	v_add_f64 v[2:3], v[82:83], v[48:49]
	v_mul_f64 v[48:49], v[8:9], v[12:13]
	v_mul_f64 v[50:51], v[6:7], v[12:13]
	v_fma_f64 v[48:49], v[6:7], v[10:11], -v[48:49]
	v_fmac_f64_e32 v[50:51], v[8:9], v[10:11]
	ds_read_b128 v[6:9], v66 offset:320
	ds_read_b128 v[10:13], v61 offset:10240
	v_add_f64 v[56:57], v[56:57], v[74:75]
	v_add_f64 v[74:75], v[44:45], v[48:49]
	v_add_f64 v[76:77], v[46:47], v[50:51]
	ds_read_b128 v[44:47], v61 offset:10496
	ds_read_b128 v[48:51], v66 offset:336
	v_add_f64 v[52:53], v[78:79], v[52:53]
	s_waitcnt lgkmcnt(2)
	v_mul_f64 v[78:79], v[8:9], v[12:13]
	v_add_f64 v[54:55], v[80:81], v[54:55]
	v_fma_f64 v[78:79], v[6:7], v[10:11], -v[78:79]
	v_mul_f64 v[80:81], v[6:7], v[12:13]
	v_fmac_f64_e32 v[80:81], v[8:9], v[10:11]
	v_add_f64 v[78:79], v[52:53], v[78:79]
	s_waitcnt lgkmcnt(1)
	v_mul_f64 v[52:53], v[8:9], v[46:47]
	v_add_f64 v[80:81], v[54:55], v[80:81]
	v_fma_f64 v[82:83], v[6:7], v[44:45], -v[52:53]
	ds_read_b128 v[52:55], v66 offset:8512
	v_mul_f64 v[6:7], v[6:7], v[46:47]
	v_fmac_f64_e32 v[6:7], v[8:9], v[44:45]
	v_add_f64 v[56:57], v[56:57], v[82:83]
	v_add_f64 v[58:59], v[58:59], v[6:7]
	ds_read_b128 v[6:9], v66 offset:8528
	s_waitcnt lgkmcnt(1)
	v_mul_f64 v[82:83], v[54:55], v[12:13]
	v_mul_f64 v[12:13], v[52:53], v[12:13]
	v_add_f64 v[4:5], v[84:85], v[4:5]
	v_fma_f64 v[82:83], v[52:53], v[10:11], -v[82:83]
	v_fmac_f64_e32 v[12:13], v[54:55], v[10:11]
	v_add_f64 v[82:83], v[2:3], v[82:83]
	v_add_f64 v[84:85], v[4:5], v[12:13]
	v_mul_f64 v[2:3], v[54:55], v[46:47]
	v_mul_f64 v[12:13], v[52:53], v[46:47]
	v_fma_f64 v[10:11], v[52:53], v[44:45], -v[2:3]
	v_fmac_f64_e32 v[12:13], v[54:55], v[44:45]
	ds_read_b128 v[2:5], v61 offset:10752
	v_add_f64 v[44:45], v[74:75], v[10:11]
	v_add_f64 v[46:47], v[76:77], v[12:13]
	ds_read_b128 v[10:13], v61 offset:11008
	;; [unrolled: 61-line block ×6, first 2 shown]
	s_waitcnt lgkmcnt(1)
	v_mul_f64 v[52:53], v[50:51], v[4:5]
	v_fma_f64 v[52:53], v[48:49], v[2:3], -v[52:53]
	v_mul_f64 v[54:55], v[48:49], v[4:5]
	s_waitcnt lgkmcnt(0)
	v_mul_f64 v[74:75], v[50:51], v[12:13]
	v_fma_f64 v[74:75], v[48:49], v[10:11], -v[74:75]
	v_mul_f64 v[48:49], v[48:49], v[12:13]
	v_fmac_f64_e32 v[48:49], v[50:51], v[10:11]
	v_add_f64 v[58:59], v[58:59], v[48:49]
	v_mul_f64 v[48:49], v[8:9], v[4:5]
	v_fma_f64 v[48:49], v[6:7], v[2:3], -v[48:49]
	v_mul_f64 v[4:5], v[6:7], v[4:5]
	v_fmac_f64_e32 v[54:55], v[50:51], v[2:3]
	v_fmac_f64_e32 v[4:5], v[8:9], v[2:3]
	v_add_f64 v[2:3], v[82:83], v[48:49]
	v_mul_f64 v[48:49], v[8:9], v[12:13]
	v_mul_f64 v[50:51], v[6:7], v[12:13]
	v_fma_f64 v[48:49], v[6:7], v[10:11], -v[48:49]
	v_fmac_f64_e32 v[50:51], v[8:9], v[10:11]
	ds_read_b128 v[6:9], v66 offset:480
	ds_read_b128 v[10:13], v61 offset:15360
	v_add_f64 v[56:57], v[56:57], v[74:75]
	v_add_f64 v[74:75], v[44:45], v[48:49]
	;; [unrolled: 1-line block ×3, first 2 shown]
	ds_read_b128 v[44:47], v61 offset:15616
	ds_read_b128 v[48:51], v66 offset:496
	v_add_f64 v[52:53], v[78:79], v[52:53]
	s_waitcnt lgkmcnt(2)
	v_mul_f64 v[78:79], v[8:9], v[12:13]
	v_add_f64 v[54:55], v[80:81], v[54:55]
	v_fma_f64 v[78:79], v[6:7], v[10:11], -v[78:79]
	v_mul_f64 v[80:81], v[6:7], v[12:13]
	v_fmac_f64_e32 v[80:81], v[8:9], v[10:11]
	v_add_f64 v[78:79], v[52:53], v[78:79]
	s_waitcnt lgkmcnt(1)
	v_mul_f64 v[52:53], v[8:9], v[46:47]
	v_add_f64 v[80:81], v[54:55], v[80:81]
	v_fma_f64 v[82:83], v[6:7], v[44:45], -v[52:53]
	ds_read_b128 v[52:55], v66 offset:8672
	v_mul_f64 v[6:7], v[6:7], v[46:47]
	v_fmac_f64_e32 v[6:7], v[8:9], v[44:45]
	v_add_f64 v[4:5], v[84:85], v[4:5]
	v_add_f64 v[82:83], v[56:57], v[82:83]
	;; [unrolled: 1-line block ×3, first 2 shown]
	ds_read_b128 v[6:9], v66 offset:8688
	s_waitcnt lgkmcnt(1)
	v_mul_f64 v[56:57], v[54:55], v[12:13]
	v_fma_f64 v[56:57], v[52:53], v[10:11], -v[56:57]
	v_mul_f64 v[12:13], v[52:53], v[12:13]
	v_fmac_f64_e32 v[12:13], v[54:55], v[10:11]
	v_add_f64 v[86:87], v[2:3], v[56:57]
	v_mul_f64 v[2:3], v[54:55], v[46:47]
	v_add_f64 v[88:89], v[4:5], v[12:13]
	v_fma_f64 v[10:11], v[52:53], v[44:45], -v[2:3]
	v_mul_f64 v[12:13], v[52:53], v[46:47]
	ds_read_b128 v[2:5], v61 offset:15872
	v_fmac_f64_e32 v[12:13], v[54:55], v[44:45]
	v_add_f64 v[44:45], v[74:75], v[10:11]
	v_add_f64 v[74:75], v[76:77], v[12:13]
	ds_read_b128 v[10:13], v61 offset:16128
	s_waitcnt lgkmcnt(1)
	v_mul_f64 v[46:47], v[50:51], v[4:5]
	v_fma_f64 v[46:47], v[48:49], v[2:3], -v[46:47]
	v_mul_f64 v[52:53], v[48:49], v[4:5]
	v_add_f64 v[56:57], v[78:79], v[46:47]
	s_waitcnt lgkmcnt(0)
	v_mul_f64 v[46:47], v[50:51], v[12:13]
	v_fmac_f64_e32 v[52:53], v[50:51], v[2:3]
	v_fma_f64 v[46:47], v[48:49], v[10:11], -v[46:47]
	v_add_f64 v[58:59], v[80:81], v[52:53]
	v_add_f64 v[52:53], v[82:83], v[46:47]
	v_mul_f64 v[46:47], v[8:9], v[4:5]
	v_mul_f64 v[4:5], v[6:7], v[4:5]
	;; [unrolled: 1-line block ×3, first 2 shown]
	v_fma_f64 v[46:47], v[6:7], v[2:3], -v[46:47]
	v_fmac_f64_e32 v[4:5], v[8:9], v[2:3]
	v_mul_f64 v[2:3], v[8:9], v[12:13]
	v_fmac_f64_e32 v[48:49], v[50:51], v[10:11]
	v_fma_f64 v[2:3], v[6:7], v[10:11], -v[2:3]
	v_add_f64 v[54:55], v[84:85], v[48:49]
	v_add_f64 v[48:49], v[86:87], v[46:47]
	;; [unrolled: 1-line block ×3, first 2 shown]
	v_mov_b32_e32 v2, s51
	v_addc_co_u32_e32 v43, vcc, v43, v2, vcc
	v_add_co_u32_e32 v40, vcc, s50, v40
	v_add_f64 v[50:51], v[88:89], v[4:5]
	v_mul_f64 v[4:5], v[6:7], v[12:13]
	v_addc_co_u32_e32 v41, vcc, v41, v2, vcc
	v_fmac_f64_e32 v[4:5], v[8:9], v[10:11]
	v_add_co_u32_e32 v38, vcc, 0x200, v38
	v_add_f64 v[44:45], v[74:75], v[4:5]
	v_addc_co_u32_e32 v39, vcc, 0, v39, vcc
	s_barrier
	s_cbranch_scc1 .LBB110_55
.LBB110_7:                              ;   Parent Loop BB110_4 Depth=1
                                        ; =>  This Inner Loop Header: Depth=2
	v_mov_b32_e32 v2, s19
	v_add_co_u32_e32 v4, vcc, s18, v14
	v_addc_co_u32_e32 v5, vcc, v15, v2, vcc
	v_add_co_u32_e32 v6, vcc, v42, v28
	v_addc_co_u32_e32 v7, vcc, v43, v29, vcc
	v_cmp_eq_u64_e32 vcc, s[18:19], v[22:23]
	v_cmp_le_i64_e64 s[12:13], s[42:43], v[4:5]
	s_and_b64 s[22:23], s[40:41], vcc
	v_cmp_lt_i64_e32 vcc, v[4:5], v[16:17]
	s_or_b64 s[16:17], s[12:13], vcc
	s_or_b64 s[16:17], s[16:17], s[22:23]
	s_or_b64 s[16:17], s[0:1], s[16:17]
	s_xor_b64 s[16:17], s[16:17], -1
	s_and_saveexec_b64 s[20:21], s[16:17]
	s_xor_b64 s[16:17], exec, s[20:21]
	s_cbranch_execz .LBB110_9
; %bb.8:                                ;   in Loop: Header=BB110_7 Depth=2
	global_load_dwordx4 v[8:11], v[6:7], off offset:-256
	s_waitcnt vmcnt(0)
	ds_write2_b64 v62, v[8:9], v[10:11] offset1:1
.LBB110_9:                              ;   in Loop: Header=BB110_7 Depth=2
	s_or_saveexec_b64 s[16:17], s[16:17]
	s_xor_b64 s[20:21], s[22:23], -1
	s_xor_b64 exec, exec, s[16:17]
	s_cbranch_execz .LBB110_15
; %bb.10:                               ;   in Loop: Header=BB110_7 Depth=2
	s_and_saveexec_b64 s[38:39], s[20:21]
	s_xor_b64 s[38:39], exec, s[38:39]
	s_cbranch_execz .LBB110_12
; %bb.11:                               ;   in Loop: Header=BB110_7 Depth=2
	v_mov_b32_e32 v8, v0
	v_mov_b32_e32 v9, v0
	;; [unrolled: 1-line block ×4, first 2 shown]
	ds_write_b128 v62, v[8:11]
.LBB110_12:                             ;   in Loop: Header=BB110_7 Depth=2
	s_andn2_saveexec_b64 s[38:39], s[38:39]
	s_cbranch_execz .LBB110_14
; %bb.13:                               ;   in Loop: Header=BB110_7 Depth=2
	v_mov_b32_e32 v2, v0
	v_mov_b32_e32 v3, v0
	ds_write_b128 v62, v[0:3]
.LBB110_14:                             ;   in Loop: Header=BB110_7 Depth=2
	s_or_b64 exec, exec, s[38:39]
.LBB110_15:                             ;   in Loop: Header=BB110_7 Depth=2
	s_or_b64 exec, exec, s[16:17]
	v_cmp_eq_u64_e64 s[16:17], s[18:19], v[24:25]
	s_and_b64 s[38:39], s[40:41], s[16:17]
	v_cmp_gt_i64_e64 s[16:17], v[18:19], v[4:5]
	s_or_b64 s[12:13], s[12:13], s[16:17]
	s_or_b64 s[12:13], s[12:13], s[38:39]
	;; [unrolled: 1-line block ×3, first 2 shown]
	s_xor_b64 s[12:13], s[12:13], -1
	s_and_saveexec_b64 s[16:17], s[12:13]
	s_xor_b64 s[12:13], exec, s[16:17]
	s_cbranch_execz .LBB110_17
; %bb.16:                               ;   in Loop: Header=BB110_7 Depth=2
	global_load_dwordx4 v[6:9], v[6:7], off
	s_waitcnt vmcnt(0)
	ds_write2_b64 v63, v[6:7], v[8:9] offset1:1
.LBB110_17:                             ;   in Loop: Header=BB110_7 Depth=2
	s_andn2_saveexec_b64 s[12:13], s[12:13]
	s_cbranch_execz .LBB110_23
; %bb.18:                               ;   in Loop: Header=BB110_7 Depth=2
	s_xor_b64 s[16:17], s[38:39], -1
	s_and_saveexec_b64 s[38:39], s[16:17]
	s_xor_b64 s[16:17], exec, s[38:39]
	s_cbranch_execz .LBB110_20
; %bb.19:                               ;   in Loop: Header=BB110_7 Depth=2
	v_mov_b32_e32 v6, v0
	v_mov_b32_e32 v7, v0
	;; [unrolled: 1-line block ×4, first 2 shown]
	ds_write_b128 v63, v[6:9]
.LBB110_20:                             ;   in Loop: Header=BB110_7 Depth=2
	s_andn2_saveexec_b64 s[16:17], s[16:17]
	s_cbranch_execz .LBB110_22
; %bb.21:                               ;   in Loop: Header=BB110_7 Depth=2
	v_mov_b32_e32 v2, v0
	v_mov_b32_e32 v3, v0
	ds_write_b128 v63, v[0:3]
.LBB110_22:                             ;   in Loop: Header=BB110_7 Depth=2
	s_or_b64 exec, exec, s[16:17]
.LBB110_23:                             ;   in Loop: Header=BB110_7 Depth=2
	s_or_b64 exec, exec, s[12:13]
	v_add_co_u32_e64 v2, s[12:13], 16, v4
	v_addc_co_u32_e64 v3, s[12:13], 0, v5, s[12:13]
	v_cmp_eq_u64_e64 s[16:17], s[18:19], v[26:27]
	v_cmp_le_i64_e64 s[12:13], s[42:43], v[2:3]
	s_and_b64 s[38:39], s[40:41], s[16:17]
	v_cmp_lt_i64_e64 s[16:17], v[2:3], v[16:17]
	s_or_b64 s[16:17], s[12:13], s[16:17]
	s_or_b64 s[16:17], s[16:17], s[38:39]
	;; [unrolled: 1-line block ×3, first 2 shown]
	s_xor_b64 s[16:17], s[16:17], -1
	s_and_saveexec_b64 s[44:45], s[16:17]
	s_xor_b64 s[44:45], exec, s[44:45]
	s_cbranch_execz .LBB110_25
; %bb.24:                               ;   in Loop: Header=BB110_7 Depth=2
	v_add_co_u32_e64 v2, s[16:17], v40, v28
	v_addc_co_u32_e64 v3, s[16:17], v41, v29, s[16:17]
	global_load_dwordx4 v[2:5], v[2:3], off
	s_waitcnt vmcnt(0)
	ds_write2_b64 v64, v[2:3], v[4:5] offset1:1
.LBB110_25:                             ;   in Loop: Header=BB110_7 Depth=2
	s_andn2_saveexec_b64 s[16:17], s[44:45]
	s_cbranch_execz .LBB110_31
; %bb.26:                               ;   in Loop: Header=BB110_7 Depth=2
	s_xor_b64 s[38:39], s[38:39], -1
	s_and_saveexec_b64 s[44:45], s[38:39]
	s_xor_b64 s[38:39], exec, s[44:45]
	s_cbranch_execz .LBB110_28
; %bb.27:                               ;   in Loop: Header=BB110_7 Depth=2
	v_mov_b32_e32 v2, v0
	v_mov_b32_e32 v3, v0
	;; [unrolled: 1-line block ×4, first 2 shown]
	ds_write_b128 v64, v[2:5]
.LBB110_28:                             ;   in Loop: Header=BB110_7 Depth=2
	s_andn2_saveexec_b64 s[38:39], s[38:39]
	s_cbranch_execz .LBB110_30
; %bb.29:                               ;   in Loop: Header=BB110_7 Depth=2
	v_mov_b32_e32 v2, v0
	v_mov_b32_e32 v3, v0
	ds_write_b128 v64, v[0:3]
.LBB110_30:                             ;   in Loop: Header=BB110_7 Depth=2
	s_or_b64 exec, exec, s[38:39]
.LBB110_31:                             ;   in Loop: Header=BB110_7 Depth=2
	s_or_b64 exec, exec, s[16:17]
	s_or_b64 s[12:13], s[12:13], vcc
	s_or_b64 s[12:13], s[12:13], s[22:23]
	s_or_b64 s[12:13], s[2:3], s[12:13]
	s_xor_b64 s[12:13], s[12:13], -1
	s_and_saveexec_b64 s[16:17], s[12:13]
	s_xor_b64 s[12:13], exec, s[16:17]
	s_cbranch_execz .LBB110_33
; %bb.32:                               ;   in Loop: Header=BB110_7 Depth=2
	v_add_co_u32_e32 v2, vcc, v40, v28
	v_addc_co_u32_e32 v3, vcc, v41, v29, vcc
	global_load_dwordx4 v[2:5], v[2:3], off offset:256
	s_waitcnt vmcnt(0)
	ds_write2_b64 v65, v[2:3], v[4:5] offset1:1
.LBB110_33:                             ;   in Loop: Header=BB110_7 Depth=2
	s_andn2_saveexec_b64 s[12:13], s[12:13]
	s_cbranch_execz .LBB110_39
; %bb.34:                               ;   in Loop: Header=BB110_7 Depth=2
	s_and_saveexec_b64 s[16:17], s[20:21]
	s_xor_b64 s[16:17], exec, s[16:17]
	s_cbranch_execz .LBB110_36
; %bb.35:                               ;   in Loop: Header=BB110_7 Depth=2
	v_mov_b32_e32 v2, v0
	v_mov_b32_e32 v3, v0
	;; [unrolled: 1-line block ×4, first 2 shown]
	ds_write_b128 v65, v[2:5]
.LBB110_36:                             ;   in Loop: Header=BB110_7 Depth=2
	s_andn2_saveexec_b64 s[16:17], s[16:17]
	s_cbranch_execz .LBB110_38
; %bb.37:                               ;   in Loop: Header=BB110_7 Depth=2
	v_mov_b32_e32 v2, v0
	v_mov_b32_e32 v3, v0
	ds_write_b128 v65, v[0:3]
.LBB110_38:                             ;   in Loop: Header=BB110_7 Depth=2
	s_or_b64 exec, exec, s[16:17]
.LBB110_39:                             ;   in Loop: Header=BB110_7 Depth=2
	s_or_b64 exec, exec, s[12:13]
	v_mov_b32_e32 v3, s19
	v_add_co_u32_e32 v2, vcc, s18, v16
	v_addc_co_u32_e32 v3, vcc, v17, v3, vcc
	v_cmp_gt_i64_e32 vcc, s[42:43], v[2:3]
	s_and_b64 s[12:13], s[8:9], vcc
	s_xor_b64 s[12:13], s[12:13], -1
	s_and_saveexec_b64 s[16:17], s[12:13]
	s_xor_b64 s[12:13], exec, s[16:17]
	s_cbranch_execz .LBB110_41
; %bb.40:                               ;   in Loop: Header=BB110_7 Depth=2
	v_mov_b32_e32 v4, v0
	v_mov_b32_e32 v5, v0
	v_mov_b32_e32 v6, v0
	v_mov_b32_e32 v7, v0
	ds_write_b128 v67, v[4:7]
.LBB110_41:                             ;   in Loop: Header=BB110_7 Depth=2
	s_or_saveexec_b64 s[16:17], s[12:13]
	v_add_co_u32_e64 v4, s[12:13], v36, v28
	v_addc_co_u32_e64 v5, s[12:13], v37, v29, s[12:13]
	s_xor_b64 exec, exec, s[16:17]
	s_cbranch_execz .LBB110_43
; %bb.42:                               ;   in Loop: Header=BB110_7 Depth=2
	global_load_dwordx4 v[6:9], v[4:5], off offset:-256
	s_waitcnt vmcnt(0)
	ds_write2_b64 v67, v[6:7], v[8:9] offset1:1
.LBB110_43:                             ;   in Loop: Header=BB110_7 Depth=2
	s_or_b64 exec, exec, s[16:17]
	v_cmp_gt_i64_e64 s[12:13], s[52:53], v[2:3]
	s_and_b64 s[16:17], s[8:9], s[12:13]
	s_xor_b64 s[16:17], s[16:17], -1
	s_and_saveexec_b64 s[20:21], s[16:17]
	s_xor_b64 s[16:17], exec, s[20:21]
	s_cbranch_execz .LBB110_45
; %bb.44:                               ;   in Loop: Header=BB110_7 Depth=2
	v_mov_b32_e32 v2, v0
	v_mov_b32_e32 v3, v0
	;; [unrolled: 1-line block ×4, first 2 shown]
	ds_write_b128 v68, v[2:5]
                                        ; implicit-def: $vgpr4_vgpr5
.LBB110_45:                             ;   in Loop: Header=BB110_7 Depth=2
	s_andn2_saveexec_b64 s[16:17], s[16:17]
	s_cbranch_execz .LBB110_47
; %bb.46:                               ;   in Loop: Header=BB110_7 Depth=2
	global_load_dwordx4 v[2:5], v[4:5], off
	s_waitcnt vmcnt(0)
	ds_write2_b64 v68, v[2:3], v[4:5] offset1:1
.LBB110_47:                             ;   in Loop: Header=BB110_7 Depth=2
	s_or_b64 exec, exec, s[16:17]
	s_and_b64 s[16:17], s[10:11], vcc
	s_xor_b64 s[16:17], s[16:17], -1
	s_and_saveexec_b64 s[20:21], s[16:17]
	s_xor_b64 s[16:17], exec, s[20:21]
	s_cbranch_execz .LBB110_49
; %bb.48:                               ;   in Loop: Header=BB110_7 Depth=2
	v_mov_b32_e32 v2, v0
	v_mov_b32_e32 v3, v0
	;; [unrolled: 1-line block ×4, first 2 shown]
	ds_write_b128 v69, v[2:5]
.LBB110_49:                             ;   in Loop: Header=BB110_7 Depth=2
	s_andn2_saveexec_b64 s[16:17], s[16:17]
	s_cbranch_execz .LBB110_51
; %bb.50:                               ;   in Loop: Header=BB110_7 Depth=2
	v_add_co_u32_e32 v2, vcc, v38, v28
	v_addc_co_u32_e32 v3, vcc, v39, v29, vcc
	global_load_dwordx4 v[2:5], v[2:3], off offset:-256
	s_waitcnt vmcnt(0)
	ds_write2_b64 v69, v[2:3], v[4:5] offset1:1
.LBB110_51:                             ;   in Loop: Header=BB110_7 Depth=2
	s_or_b64 exec, exec, s[16:17]
	s_and_b64 s[12:13], s[10:11], s[12:13]
	s_xor_b64 s[12:13], s[12:13], -1
	s_and_saveexec_b64 s[16:17], s[12:13]
	s_xor_b64 s[12:13], exec, s[16:17]
	s_cbranch_execz .LBB110_53
; %bb.52:                               ;   in Loop: Header=BB110_7 Depth=2
	v_mov_b32_e32 v2, v0
	v_mov_b32_e32 v3, v0
	v_mov_b32_e32 v4, v0
	v_mov_b32_e32 v5, v0
	ds_write_b128 v70, v[2:5]
.LBB110_53:                             ;   in Loop: Header=BB110_7 Depth=2
	s_andn2_saveexec_b64 s[12:13], s[12:13]
	s_cbranch_execz .LBB110_6
; %bb.54:                               ;   in Loop: Header=BB110_7 Depth=2
	v_add_co_u32_e32 v2, vcc, v38, v28
	v_addc_co_u32_e32 v3, vcc, v39, v29, vcc
	global_load_dwordx4 v[2:5], v[2:3], off
	s_waitcnt vmcnt(0)
	ds_write2_b64 v70, v[2:3], v[4:5] offset1:1
	s_branch .LBB110_6
.LBB110_55:                             ;   in Loop: Header=BB110_4 Depth=1
	v_mul_lo_u32 v4, v72, s48
	v_mul_lo_u32 v5, v71, s49
	v_mad_u64_u32 v[2:3], s[8:9], v71, s48, 0
	v_add3_u32 v3, v3, v5, v4
	v_lshlrev_b64 v[2:3], 4, v[2:3]
	v_mov_b32_e32 v4, s55
	v_add_co_u32_e64 v2, s[8:9], s54, v2
	v_cmp_gt_i32_e32 vcc, s46, v71
	v_addc_co_u32_e64 v3, s[8:9], v4, v3, s[8:9]
	s_and_b64 s[8:9], s[4:5], vcc
	s_and_saveexec_b64 s[10:11], s[8:9]
	s_cbranch_execz .LBB110_57
; %bb.56:                               ;   in Loop: Header=BB110_4 Depth=1
	v_add_co_u32_e64 v8, s[8:9], v2, v28
	v_addc_co_u32_e64 v9, s[8:9], v3, v29, s[8:9]
	global_load_dwordx4 v[4:7], v[8:9], off
	v_mul_f64 v[10:11], s[30:31], v[58:59]
	v_mul_f64 v[12:13], s[28:29], v[58:59]
	v_fma_f64 v[10:11], s[28:29], v[56:57], -v[10:11]
	v_fmac_f64_e32 v[12:13], s[30:31], v[56:57]
	s_waitcnt vmcnt(0)
	v_add_f64 v[4:5], v[4:5], v[10:11]
	v_add_f64 v[6:7], v[6:7], v[12:13]
	global_store_dwordx4 v[8:9], v[4:7], off
.LBB110_57:                             ;   in Loop: Header=BB110_4 Depth=1
	s_or_b64 exec, exec, s[10:11]
	s_and_b64 s[10:11], s[14:15], vcc
	s_and_saveexec_b64 s[8:9], s[10:11]
	s_cbranch_execz .LBB110_59
; %bb.58:                               ;   in Loop: Header=BB110_4 Depth=1
	v_lshlrev_b64 v[4:5], 4, v[20:21]
	v_add_co_u32_e32 v6, vcc, v2, v4
	v_addc_co_u32_e32 v7, vcc, v3, v5, vcc
	global_load_dwordx4 v[2:5], v[6:7], off
	v_mul_f64 v[8:9], s[30:31], v[54:55]
	v_mul_f64 v[10:11], s[28:29], v[54:55]
	v_fma_f64 v[8:9], s[28:29], v[52:53], -v[8:9]
	v_fmac_f64_e32 v[10:11], s[30:31], v[52:53]
	s_waitcnt vmcnt(0)
	v_add_f64 v[2:3], v[2:3], v[8:9]
	v_add_f64 v[4:5], v[4:5], v[10:11]
	global_store_dwordx4 v[6:7], v[2:5], off
.LBB110_59:                             ;   in Loop: Header=BB110_4 Depth=1
	s_or_b64 exec, exec, s[8:9]
	v_add_u32_e32 v2, 16, v71
	v_ashrrev_i32_e32 v3, 31, v2
	v_cmp_gt_i32_e32 vcc, s46, v2
	v_mul_lo_u32 v4, v3, s48
	v_mul_lo_u32 v5, v2, s49
	v_mad_u64_u32 v[2:3], s[8:9], v2, s48, 0
	v_add3_u32 v3, v3, v5, v4
	v_lshlrev_b64 v[2:3], 4, v[2:3]
	v_mov_b32_e32 v4, s55
	v_add_co_u32_e64 v2, s[8:9], s54, v2
	v_addc_co_u32_e64 v3, s[8:9], v4, v3, s[8:9]
	s_and_b64 s[8:9], s[4:5], vcc
	s_and_saveexec_b64 s[10:11], s[8:9]
	s_cbranch_execz .LBB110_61
; %bb.60:                               ;   in Loop: Header=BB110_4 Depth=1
	v_add_co_u32_e64 v8, s[8:9], v2, v28
	v_addc_co_u32_e64 v9, s[8:9], v3, v29, s[8:9]
	global_load_dwordx4 v[4:7], v[8:9], off
	v_mul_f64 v[10:11], s[30:31], v[50:51]
	v_mul_f64 v[12:13], s[28:29], v[50:51]
	v_fma_f64 v[10:11], s[28:29], v[48:49], -v[10:11]
	v_fmac_f64_e32 v[12:13], s[30:31], v[48:49]
	s_waitcnt vmcnt(0)
	v_add_f64 v[4:5], v[4:5], v[10:11]
	v_add_f64 v[6:7], v[6:7], v[12:13]
	global_store_dwordx4 v[8:9], v[4:7], off
.LBB110_61:                             ;   in Loop: Header=BB110_4 Depth=1
	s_or_b64 exec, exec, s[10:11]
	s_and_b64 s[10:11], s[14:15], vcc
	s_and_saveexec_b64 s[8:9], s[10:11]
	s_cbranch_execz .LBB110_3
; %bb.62:                               ;   in Loop: Header=BB110_4 Depth=1
	v_lshlrev_b64 v[4:5], 4, v[20:21]
	v_add_co_u32_e32 v6, vcc, v2, v4
	v_addc_co_u32_e32 v7, vcc, v3, v5, vcc
	global_load_dwordx4 v[2:5], v[6:7], off
	v_mul_f64 v[8:9], s[30:31], v[44:45]
	v_mul_f64 v[10:11], s[28:29], v[44:45]
	v_fma_f64 v[8:9], s[28:29], v[46:47], -v[8:9]
	v_fmac_f64_e32 v[10:11], s[30:31], v[46:47]
	s_waitcnt vmcnt(0)
	v_add_f64 v[2:3], v[2:3], v[8:9]
	v_add_f64 v[4:5], v[4:5], v[10:11]
	global_store_dwordx4 v[6:7], v[2:5], off
	s_branch .LBB110_3
.LBB110_63:
	s_endpgm
	.section	.rodata,"a",@progbits
	.p2align	6, 0x0
	.amdhsa_kernel _ZL30rocblas_trmm_outofplace_kernelI19rocblas_complex_numIdELi32ELi2ELb1ELb1ELb0ELb0EPKS1_S2_S1_Ev17rocblas_diagonal_iiT6_lPT7_lllS7_lllPT8_llli
		.amdhsa_group_segment_fixed_size 32768
		.amdhsa_private_segment_fixed_size 0
		.amdhsa_kernarg_size 392
		.amdhsa_user_sgpr_count 6
		.amdhsa_user_sgpr_private_segment_buffer 1
		.amdhsa_user_sgpr_dispatch_ptr 0
		.amdhsa_user_sgpr_queue_ptr 0
		.amdhsa_user_sgpr_kernarg_segment_ptr 1
		.amdhsa_user_sgpr_dispatch_id 0
		.amdhsa_user_sgpr_flat_scratch_init 0
		.amdhsa_user_sgpr_kernarg_preload_length 0
		.amdhsa_user_sgpr_kernarg_preload_offset 0
		.amdhsa_user_sgpr_private_segment_size 0
		.amdhsa_uses_dynamic_stack 0
		.amdhsa_system_sgpr_private_segment_wavefront_offset 0
		.amdhsa_system_sgpr_workgroup_id_x 1
		.amdhsa_system_sgpr_workgroup_id_y 1
		.amdhsa_system_sgpr_workgroup_id_z 1
		.amdhsa_system_sgpr_workgroup_info 0
		.amdhsa_system_vgpr_workitem_id 1
		.amdhsa_next_free_vgpr 92
		.amdhsa_next_free_sgpr 59
		.amdhsa_accum_offset 92
		.amdhsa_reserve_vcc 1
		.amdhsa_reserve_flat_scratch 0
		.amdhsa_float_round_mode_32 0
		.amdhsa_float_round_mode_16_64 0
		.amdhsa_float_denorm_mode_32 3
		.amdhsa_float_denorm_mode_16_64 3
		.amdhsa_dx10_clamp 1
		.amdhsa_ieee_mode 1
		.amdhsa_fp16_overflow 0
		.amdhsa_tg_split 0
		.amdhsa_exception_fp_ieee_invalid_op 0
		.amdhsa_exception_fp_denorm_src 0
		.amdhsa_exception_fp_ieee_div_zero 0
		.amdhsa_exception_fp_ieee_overflow 0
		.amdhsa_exception_fp_ieee_underflow 0
		.amdhsa_exception_fp_ieee_inexact 0
		.amdhsa_exception_int_div_zero 0
	.end_amdhsa_kernel
	.section	.text._ZL30rocblas_trmm_outofplace_kernelI19rocblas_complex_numIdELi32ELi2ELb1ELb1ELb0ELb0EPKS1_S2_S1_Ev17rocblas_diagonal_iiT6_lPT7_lllS7_lllPT8_llli,"axG",@progbits,_ZL30rocblas_trmm_outofplace_kernelI19rocblas_complex_numIdELi32ELi2ELb1ELb1ELb0ELb0EPKS1_S2_S1_Ev17rocblas_diagonal_iiT6_lPT7_lllS7_lllPT8_llli,comdat
.Lfunc_end110:
	.size	_ZL30rocblas_trmm_outofplace_kernelI19rocblas_complex_numIdELi32ELi2ELb1ELb1ELb0ELb0EPKS1_S2_S1_Ev17rocblas_diagonal_iiT6_lPT7_lllS7_lllPT8_llli, .Lfunc_end110-_ZL30rocblas_trmm_outofplace_kernelI19rocblas_complex_numIdELi32ELi2ELb1ELb1ELb0ELb0EPKS1_S2_S1_Ev17rocblas_diagonal_iiT6_lPT7_lllS7_lllPT8_llli
                                        ; -- End function
	.section	.AMDGPU.csdata,"",@progbits
; Kernel info:
; codeLenInByte = 9560
; NumSgprs: 63
; NumVgprs: 92
; NumAgprs: 0
; TotalNumVgprs: 92
; ScratchSize: 0
; MemoryBound: 0
; FloatMode: 240
; IeeeMode: 1
; LDSByteSize: 32768 bytes/workgroup (compile time only)
; SGPRBlocks: 7
; VGPRBlocks: 11
; NumSGPRsForWavesPerEU: 63
; NumVGPRsForWavesPerEU: 92
; AccumOffset: 92
; Occupancy: 5
; WaveLimiterHint : 0
; COMPUTE_PGM_RSRC2:SCRATCH_EN: 0
; COMPUTE_PGM_RSRC2:USER_SGPR: 6
; COMPUTE_PGM_RSRC2:TRAP_HANDLER: 0
; COMPUTE_PGM_RSRC2:TGID_X_EN: 1
; COMPUTE_PGM_RSRC2:TGID_Y_EN: 1
; COMPUTE_PGM_RSRC2:TGID_Z_EN: 1
; COMPUTE_PGM_RSRC2:TIDIG_COMP_CNT: 1
; COMPUTE_PGM_RSRC3_GFX90A:ACCUM_OFFSET: 22
; COMPUTE_PGM_RSRC3_GFX90A:TG_SPLIT: 0
	.section	.text._ZL30rocblas_trmm_outofplace_kernelI19rocblas_complex_numIdELi32ELi2ELb1ELb1ELb0ELb0ES1_KS1_S1_Ev17rocblas_diagonal_iiT6_lPT7_lllS6_lllPT8_llli,"axG",@progbits,_ZL30rocblas_trmm_outofplace_kernelI19rocblas_complex_numIdELi32ELi2ELb1ELb1ELb0ELb0ES1_KS1_S1_Ev17rocblas_diagonal_iiT6_lPT7_lllS6_lllPT8_llli,comdat
	.globl	_ZL30rocblas_trmm_outofplace_kernelI19rocblas_complex_numIdELi32ELi2ELb1ELb1ELb0ELb0ES1_KS1_S1_Ev17rocblas_diagonal_iiT6_lPT7_lllS6_lllPT8_llli ; -- Begin function _ZL30rocblas_trmm_outofplace_kernelI19rocblas_complex_numIdELi32ELi2ELb1ELb1ELb0ELb0ES1_KS1_S1_Ev17rocblas_diagonal_iiT6_lPT7_lllS6_lllPT8_llli
	.p2align	8
	.type	_ZL30rocblas_trmm_outofplace_kernelI19rocblas_complex_numIdELi32ELi2ELb1ELb1ELb0ELb0ES1_KS1_S1_Ev17rocblas_diagonal_iiT6_lPT7_lllS6_lllPT8_llli,@function
_ZL30rocblas_trmm_outofplace_kernelI19rocblas_complex_numIdELi32ELi2ELb1ELb1ELb0ELb0ES1_KS1_S1_Ev17rocblas_diagonal_iiT6_lPT7_lllS6_lllPT8_llli: ; @_ZL30rocblas_trmm_outofplace_kernelI19rocblas_complex_numIdELi32ELi2ELb1ELb1ELb0ELb0ES1_KS1_S1_Ev17rocblas_diagonal_iiT6_lPT7_lllS6_lllPT8_llli
; %bb.0:
	s_load_dwordx4 s[44:47], s[4:5], 0x10
	s_waitcnt lgkmcnt(0)
	v_cmp_eq_f64_e64 s[0:1], s[44:45], 0
	v_cmp_eq_f64_e64 s[2:3], s[46:47], 0
	s_and_b64 s[0:1], s[0:1], s[2:3]
	s_and_b64 vcc, exec, s[0:1]
	s_cbranch_vccnz .LBB111_63
; %bb.1:
	s_load_dwordx4 s[48:51], s[4:5], 0x0
	s_waitcnt lgkmcnt(0)
	s_add_i32 s0, s50, -1
	s_ashr_i32 s1, s0, 31
	s_lshr_b32 s1, s1, 27
	s_add_i32 s0, s0, s1
	s_ashr_i32 s33, s0, 5
	s_cmp_gt_i32 s7, s33
	s_cbranch_scc1 .LBB111_63
; %bb.2:
	s_load_dwordx8 s[36:43], s[4:5], 0x68
	s_load_dwordx16 s[16:31], s[4:5], 0x28
	v_bfe_u32 v60, v0, 10, 10
	v_and_b32_e32 v0, 0x3ff, v0
	s_load_dword s56, s[4:5], 0x94
	s_waitcnt lgkmcnt(0)
	s_mul_i32 s1, s8, s43
	s_mul_hi_u32 s2, s8, s42
	s_mul_i32 s0, s8, s42
	s_add_i32 s1, s2, s1
	s_lshl_b64 s[0:1], s[0:1], 4
	s_add_u32 s2, s36, s0
	s_addc_u32 s3, s37, s1
	s_lshl_b64 s[0:1], s[38:39], 4
	s_add_u32 s51, s2, s0
	s_addc_u32 s54, s3, s1
	s_lshl_b32 s0, s6, 5
	s_sub_i32 s6, s49, s0
	s_cmp_gt_i32 s6, 0
	s_cselect_b64 s[34:35], -1, 0
	s_cmpk_eq_i32 s48, 0x84
	s_cselect_b64 s[36:37], -1, 0
	s_ashr_i32 s39, s49, 31
	s_ashr_i32 s55, s50, 31
	s_lshl_b64 s[42:43], s[20:21], 9
	s_add_u32 s52, s49, -16
	s_mul_i32 s9, s31, s8
	s_mul_hi_u32 s10, s30, s8
	s_addc_u32 s53, s39, -1
	s_add_i32 s11, s10, s9
	s_mul_i32 s10, s30, s8
	s_lshl_b64 s[10:11], s[10:11], 4
	s_lshl_b64 s[12:13], s[26:27], 4
	s_add_u32 s9, s10, s12
	s_addc_u32 s10, s11, s13
	s_add_u32 s9, s9, s24
	s_addc_u32 s10, s10, s25
	v_add_u32_e32 v14, s0, v60
	v_add_u32_e32 v16, s0, v0
	v_lshlrev_b32_e32 v1, 9, v60
	v_lshlrev_b32_e32 v61, 4, v0
	s_add_u32 s24, s9, 0x100
	v_ashrrev_i32_e32 v17, 31, v16
	v_add_u32_e32 v62, v61, v1
	v_add_co_u32_e32 v18, vcc, 16, v16
	v_add_u32_e32 v66, 0x4000, v1
	s_addc_u32 s25, s10, 0
	v_mad_u64_u32 v[0:1], s[10:11], s20, v14, 0
	v_addc_co_u32_e32 v19, vcc, 0, v17, vcc
	s_mul_i32 s9, s23, s8
	s_mul_hi_u32 s10, s22, s8
	v_ashrrev_i32_e32 v15, 31, v14
	v_sub_co_u32_e32 v22, vcc, v16, v14
	s_add_i32 s9, s10, s9
	s_mul_i32 s8, s22, s8
	v_subb_co_u32_e32 v23, vcc, v17, v15, vcc
	s_lshl_b64 s[26:27], s[28:29], 4
	s_lshl_b32 s57, s56, 5
	s_lshl_b64 s[8:9], s[8:9], 4
	s_lshl_b64 s[10:11], s[18:19], 4
	v_add_co_u32_e32 v24, vcc, 16, v22
	s_add_u32 s10, s16, s10
	v_addc_co_u32_e32 v25, vcc, 0, v23, vcc
	v_mul_lo_u32 v2, s20, v15
	v_mul_lo_u32 v3, s21, v14
	s_addc_u32 s11, s17, s11
	v_add_co_u32_e32 v26, vcc, -16, v22
	v_add3_u32 v1, v1, v2, v3
	s_add_u32 s8, s10, s8
	v_addc_co_u32_e32 v27, vcc, -1, v23, vcc
	v_lshlrev_b64 v[0:1], 4, v[0:1]
	s_addc_u32 s9, s11, s9
	v_mov_b32_e32 v2, s9
	v_add_co_u32_e32 v0, vcc, s8, v0
	s_movk_i32 s48, 0x100
	v_addc_co_u32_e32 v1, vcc, v2, v1, vcc
	v_add_co_u32_e32 v32, vcc, s48, v0
	v_addc_co_u32_e32 v33, vcc, 0, v1, vcc
	v_lshlrev_b64 v[0:1], 4, v[14:15]
	v_add_co_u32_e32 v2, vcc, s48, v0
	v_addc_co_u32_e32 v3, vcc, 0, v1, vcc
	v_pk_mov_b32 v[0:1], s[8:9], s[8:9] op_sel:[0,1]
	s_mov_b32 s38, s49
	v_add_u32_e32 v67, v66, v61
	v_add_u32_e32 v20, 16, v16
	v_mad_u64_u32 v[34:35], s[8:9], s20, v2, v[0:1]
	v_mul_lo_u32 v0, s20, v3
	v_mul_lo_u32 v1, s21, v2
	v_cmp_le_i32_e64 s[0:1], s49, v16
	v_cmp_le_i64_e64 s[2:3], s[38:39], v[18:19]
	v_add_u32_e32 v63, 0x100, v62
	v_add_u32_e32 v64, 0x2000, v62
	;; [unrolled: 1-line block ×6, first 2 shown]
	v_cmp_gt_i32_e64 s[4:5], s49, v16
	v_cmp_gt_i32_e64 s[14:15], s49, v20
	v_ashrrev_i32_e32 v21, 31, v20
	v_lshlrev_b64 v[28:29], 4, v[16:17]
	v_lshl_add_u32 v30, s7, 5, v60
	v_add3_u32 v35, v1, v35, v0
	v_mov_b32_e32 v0, 0
	v_mov_b32_e32 v1, 0x3ff00000
	s_movk_i32 s58, 0x200
	s_branch .LBB111_4
.LBB111_3:                              ;   in Loop: Header=BB111_4 Depth=1
	s_or_b64 exec, exec, s[8:9]
	s_add_i32 s7, s56, s7
	s_cmp_le_i32 s7, s33
	v_add_u32_e32 v30, s57, v30
	s_cbranch_scc0 .LBB111_63
.LBB111_4:                              ; =>This Loop Header: Depth=1
                                        ;     Child Loop BB111_7 Depth 2
	v_lshl_add_u32 v71, s7, 5, v60
	v_pk_mov_b32 v[56:57], 0, 0
	v_ashrrev_i32_e32 v72, 31, v71
	s_mov_b64 s[18:19], 0
	s_andn2_b64 vcc, exec, s[34:35]
	v_pk_mov_b32 v[58:59], v[56:57], v[56:57] op_sel:[0,1]
	v_pk_mov_b32 v[52:53], v[56:57], v[56:57] op_sel:[0,1]
	v_pk_mov_b32 v[54:55], v[56:57], v[56:57] op_sel:[0,1]
	v_pk_mov_b32 v[48:49], v[56:57], v[56:57] op_sel:[0,1]
	v_pk_mov_b32 v[50:51], v[56:57], v[56:57] op_sel:[0,1]
	v_pk_mov_b32 v[46:47], v[56:57], v[56:57] op_sel:[0,1]
	v_pk_mov_b32 v[44:45], v[56:57], v[56:57] op_sel:[0,1]
	s_cbranch_vccnz .LBB111_55
; %bb.5:                                ;   in Loop: Header=BB111_4 Depth=1
	v_ashrrev_i32_e32 v31, 31, v30
	v_pk_mov_b32 v[2:3], s[24:25], s[24:25] op_sel:[0,1]
	v_mad_u64_u32 v[36:37], s[8:9], s26, v30, v[2:3]
	v_mul_lo_u32 v4, s27, v30
	v_mul_lo_u32 v5, s26, v31
	v_add3_u32 v37, v4, v37, v5
	v_lshlrev_b64 v[4:5], 4, v[30:31]
	v_add_co_u32_e32 v4, vcc, 0x100, v4
	v_addc_co_u32_e32 v5, vcc, 0, v5, vcc
	v_mad_u64_u32 v[38:39], s[8:9], s28, v4, v[2:3]
	v_mov_b32_e32 v3, s55
	v_sub_co_u32_e32 v2, vcc, s50, v71
	v_mul_lo_u32 v5, s28, v5
	v_mul_lo_u32 v6, s29, v4
	v_subb_co_u32_e32 v3, vcc, v3, v72, vcc
	v_pk_mov_b32 v[44:45], 0, 0
	v_add3_u32 v39, v6, v39, v5
	v_cmp_lt_i64_e64 s[8:9], 0, v[2:3]
	v_cmp_lt_i64_e64 s[10:11], 16, v[2:3]
	v_pk_mov_b32 v[40:41], v[34:35], v[34:35] op_sel:[0,1]
	v_pk_mov_b32 v[42:43], v[32:33], v[32:33] op_sel:[0,1]
	;; [unrolled: 1-line block ×9, first 2 shown]
	s_branch .LBB111_7
.LBB111_6:                              ;   in Loop: Header=BB111_7 Depth=2
	s_or_b64 exec, exec, s[12:13]
	s_waitcnt lgkmcnt(0)
	s_barrier
	ds_read_b128 v[74:77], v61
	ds_read_b128 v[78:81], v66
	ds_read_b128 v[10:13], v66 offset:16
	ds_read_b128 v[6:9], v66 offset:32
	;; [unrolled: 1-line block ×4, first 2 shown]
	s_waitcnt lgkmcnt(4)
	v_mul_f64 v[86:87], v[80:81], v[76:77]
	v_fma_f64 v[86:87], v[78:79], v[74:75], -v[86:87]
	v_mul_f64 v[88:89], v[78:79], v[76:77]
	v_fmac_f64_e32 v[88:89], v[80:81], v[74:75]
	v_add_f64 v[86:87], v[56:57], v[86:87]
	s_waitcnt lgkmcnt(0)
	v_mul_f64 v[56:57], v[80:81], v[84:85]
	v_add_f64 v[88:89], v[58:59], v[88:89]
	v_fma_f64 v[90:91], v[78:79], v[82:83], -v[56:57]
	ds_read_b128 v[56:59], v66 offset:8192
	v_mul_f64 v[78:79], v[78:79], v[84:85]
	v_fmac_f64_e32 v[78:79], v[80:81], v[82:83]
	v_add_f64 v[80:81], v[52:53], v[90:91]
	v_add_f64 v[78:79], v[54:55], v[78:79]
	ds_read_b128 v[52:55], v66 offset:8208
	s_waitcnt lgkmcnt(1)
	v_mul_f64 v[90:91], v[58:59], v[76:77]
	v_fma_f64 v[90:91], v[56:57], v[74:75], -v[90:91]
	v_mul_f64 v[76:77], v[56:57], v[76:77]
	v_fmac_f64_e32 v[76:77], v[58:59], v[74:75]
	v_add_f64 v[74:75], v[48:49], v[90:91]
	v_mul_f64 v[48:49], v[58:59], v[84:85]
	v_add_f64 v[76:77], v[50:51], v[76:77]
	v_fma_f64 v[90:91], v[56:57], v[82:83], -v[48:49]
	v_mul_f64 v[56:57], v[56:57], v[84:85]
	ds_read_b128 v[48:51], v61 offset:512
	v_fmac_f64_e32 v[56:57], v[58:59], v[82:83]
	v_add_f64 v[58:59], v[46:47], v[90:91]
	v_add_f64 v[56:57], v[44:45], v[56:57]
	ds_read_b128 v[44:47], v61 offset:768
	s_waitcnt lgkmcnt(1)
	v_mul_f64 v[82:83], v[12:13], v[50:51]
	v_fma_f64 v[82:83], v[10:11], v[48:49], -v[82:83]
	v_add_f64 v[82:83], v[86:87], v[82:83]
	v_mul_f64 v[84:85], v[10:11], v[50:51]
	s_waitcnt lgkmcnt(0)
	v_mul_f64 v[86:87], v[12:13], v[46:47]
	v_fma_f64 v[86:87], v[10:11], v[44:45], -v[86:87]
	v_mul_f64 v[10:11], v[10:11], v[46:47]
	v_fmac_f64_e32 v[10:11], v[12:13], v[44:45]
	v_fmac_f64_e32 v[84:85], v[12:13], v[48:49]
	v_add_f64 v[78:79], v[78:79], v[10:11]
	v_mul_f64 v[10:11], v[54:55], v[50:51]
	v_mul_f64 v[12:13], v[52:53], v[50:51]
	v_fma_f64 v[10:11], v[52:53], v[48:49], -v[10:11]
	v_fmac_f64_e32 v[12:13], v[54:55], v[48:49]
	v_mul_f64 v[48:49], v[54:55], v[46:47]
	v_fma_f64 v[50:51], v[52:53], v[44:45], -v[48:49]
	v_mul_f64 v[52:53], v[52:53], v[46:47]
	ds_read_b128 v[46:49], v61 offset:1024
	v_fmac_f64_e32 v[52:53], v[54:55], v[44:45]
	v_add_f64 v[44:45], v[58:59], v[50:51]
	v_add_f64 v[58:59], v[56:57], v[52:53]
	ds_read_b128 v[50:53], v61 offset:1280
	s_waitcnt lgkmcnt(1)
	v_mul_f64 v[54:55], v[8:9], v[48:49]
	v_fma_f64 v[54:55], v[6:7], v[46:47], -v[54:55]
	v_mul_f64 v[56:57], v[6:7], v[48:49]
	v_add_f64 v[84:85], v[88:89], v[84:85]
	v_add_f64 v[10:11], v[74:75], v[10:11]
	v_fmac_f64_e32 v[56:57], v[8:9], v[46:47]
	v_add_f64 v[74:75], v[82:83], v[54:55]
	s_waitcnt lgkmcnt(0)
	v_mul_f64 v[54:55], v[8:9], v[52:53]
	v_add_f64 v[12:13], v[76:77], v[12:13]
	v_add_f64 v[76:77], v[84:85], v[56:57]
	v_fma_f64 v[82:83], v[6:7], v[50:51], -v[54:55]
	ds_read_b128 v[54:57], v66 offset:8224
	v_mul_f64 v[6:7], v[6:7], v[52:53]
	v_add_f64 v[80:81], v[80:81], v[86:87]
	v_fmac_f64_e32 v[6:7], v[8:9], v[50:51]
	v_add_f64 v[80:81], v[80:81], v[82:83]
	v_add_f64 v[78:79], v[78:79], v[6:7]
	ds_read_b128 v[6:9], v66 offset:8240
	s_waitcnt lgkmcnt(1)
	v_mul_f64 v[82:83], v[56:57], v[48:49]
	v_fma_f64 v[82:83], v[54:55], v[46:47], -v[82:83]
	v_mul_f64 v[48:49], v[54:55], v[48:49]
	v_add_f64 v[82:83], v[10:11], v[82:83]
	v_mul_f64 v[10:11], v[56:57], v[52:53]
	v_fmac_f64_e32 v[48:49], v[56:57], v[46:47]
	v_fma_f64 v[46:47], v[54:55], v[50:51], -v[10:11]
	v_mul_f64 v[52:53], v[54:55], v[52:53]
	v_add_f64 v[48:49], v[12:13], v[48:49]
	ds_read_b128 v[10:13], v61 offset:1536
	v_fmac_f64_e32 v[52:53], v[56:57], v[50:51]
	v_add_f64 v[50:51], v[44:45], v[46:47]
	ds_read_b128 v[44:47], v61 offset:1792
	v_add_f64 v[52:53], v[58:59], v[52:53]
	s_waitcnt lgkmcnt(1)
	v_mul_f64 v[54:55], v[4:5], v[12:13]
	v_fma_f64 v[54:55], v[2:3], v[10:11], -v[54:55]
	v_mul_f64 v[56:57], v[2:3], v[12:13]
	s_waitcnt lgkmcnt(0)
	v_mul_f64 v[58:59], v[4:5], v[46:47]
	v_fma_f64 v[58:59], v[2:3], v[44:45], -v[58:59]
	v_mul_f64 v[2:3], v[2:3], v[46:47]
	v_fmac_f64_e32 v[2:3], v[4:5], v[44:45]
	v_fmac_f64_e32 v[56:57], v[4:5], v[10:11]
	v_add_f64 v[54:55], v[74:75], v[54:55]
	v_add_f64 v[74:75], v[78:79], v[2:3]
	v_mul_f64 v[2:3], v[8:9], v[12:13]
	v_mul_f64 v[4:5], v[6:7], v[12:13]
	v_fma_f64 v[2:3], v[6:7], v[10:11], -v[2:3]
	v_fmac_f64_e32 v[4:5], v[8:9], v[10:11]
	v_mul_f64 v[10:11], v[8:9], v[46:47]
	v_mul_f64 v[46:47], v[6:7], v[46:47]
	v_add_f64 v[4:5], v[48:49], v[4:5]
	v_fma_f64 v[48:49], v[6:7], v[44:45], -v[10:11]
	v_fmac_f64_e32 v[46:47], v[8:9], v[44:45]
	ds_read_b128 v[6:9], v66 offset:64
	ds_read_b128 v[10:13], v61 offset:2048
	v_add_f64 v[56:57], v[76:77], v[56:57]
	v_add_f64 v[76:77], v[50:51], v[48:49]
	;; [unrolled: 1-line block ×3, first 2 shown]
	ds_read_b128 v[44:47], v61 offset:2304
	ds_read_b128 v[48:51], v66 offset:80
	s_waitcnt lgkmcnt(2)
	v_mul_f64 v[52:53], v[8:9], v[12:13]
	v_add_f64 v[58:59], v[80:81], v[58:59]
	v_fma_f64 v[52:53], v[6:7], v[10:11], -v[52:53]
	v_mul_f64 v[80:81], v[6:7], v[12:13]
	v_add_f64 v[2:3], v[82:83], v[2:3]
	v_fmac_f64_e32 v[80:81], v[8:9], v[10:11]
	v_add_f64 v[82:83], v[54:55], v[52:53]
	s_waitcnt lgkmcnt(1)
	v_mul_f64 v[52:53], v[8:9], v[46:47]
	v_add_f64 v[56:57], v[56:57], v[80:81]
	v_fma_f64 v[80:81], v[6:7], v[44:45], -v[52:53]
	ds_read_b128 v[52:55], v66 offset:8256
	v_mul_f64 v[6:7], v[6:7], v[46:47]
	v_fmac_f64_e32 v[6:7], v[8:9], v[44:45]
	v_add_f64 v[58:59], v[58:59], v[80:81]
	v_add_f64 v[74:75], v[74:75], v[6:7]
	ds_read_b128 v[6:9], v66 offset:8272
	s_waitcnt lgkmcnt(1)
	v_mul_f64 v[80:81], v[54:55], v[12:13]
	v_fma_f64 v[80:81], v[52:53], v[10:11], -v[80:81]
	v_mul_f64 v[12:13], v[52:53], v[12:13]
	v_fmac_f64_e32 v[12:13], v[54:55], v[10:11]
	v_add_f64 v[80:81], v[2:3], v[80:81]
	v_mul_f64 v[2:3], v[54:55], v[46:47]
	v_add_f64 v[84:85], v[4:5], v[12:13]
	v_fma_f64 v[10:11], v[52:53], v[44:45], -v[2:3]
	v_mul_f64 v[12:13], v[52:53], v[46:47]
	ds_read_b128 v[2:5], v61 offset:2560
	v_fmac_f64_e32 v[12:13], v[54:55], v[44:45]
	v_add_f64 v[44:45], v[76:77], v[10:11]
	v_add_f64 v[46:47], v[78:79], v[12:13]
	ds_read_b128 v[10:13], v61 offset:2816
	s_waitcnt lgkmcnt(1)
	v_mul_f64 v[54:55], v[48:49], v[4:5]
	v_fmac_f64_e32 v[54:55], v[50:51], v[2:3]
	v_mul_f64 v[52:53], v[50:51], v[4:5]
	v_add_f64 v[54:55], v[56:57], v[54:55]
	s_waitcnt lgkmcnt(0)
	v_mul_f64 v[56:57], v[50:51], v[12:13]
	v_fma_f64 v[52:53], v[48:49], v[2:3], -v[52:53]
	v_fma_f64 v[56:57], v[48:49], v[10:11], -v[56:57]
	v_mul_f64 v[48:49], v[48:49], v[12:13]
	v_fmac_f64_e32 v[48:49], v[50:51], v[10:11]
	v_add_f64 v[56:57], v[58:59], v[56:57]
	v_add_f64 v[58:59], v[74:75], v[48:49]
	v_mul_f64 v[48:49], v[8:9], v[4:5]
	v_fma_f64 v[48:49], v[6:7], v[2:3], -v[48:49]
	v_mul_f64 v[4:5], v[6:7], v[4:5]
	v_fmac_f64_e32 v[4:5], v[8:9], v[2:3]
	v_add_f64 v[2:3], v[80:81], v[48:49]
	v_mul_f64 v[48:49], v[8:9], v[12:13]
	v_mul_f64 v[50:51], v[6:7], v[12:13]
	v_fma_f64 v[48:49], v[6:7], v[10:11], -v[48:49]
	v_fmac_f64_e32 v[50:51], v[8:9], v[10:11]
	ds_read_b128 v[6:9], v66 offset:96
	ds_read_b128 v[10:13], v61 offset:3072
	v_add_f64 v[74:75], v[44:45], v[48:49]
	v_add_f64 v[76:77], v[46:47], v[50:51]
	ds_read_b128 v[44:47], v61 offset:3328
	ds_read_b128 v[48:51], v66 offset:112
	v_add_f64 v[52:53], v[82:83], v[52:53]
	s_waitcnt lgkmcnt(2)
	v_mul_f64 v[78:79], v[8:9], v[12:13]
	v_fma_f64 v[78:79], v[6:7], v[10:11], -v[78:79]
	v_mul_f64 v[80:81], v[6:7], v[12:13]
	v_fmac_f64_e32 v[80:81], v[8:9], v[10:11]
	v_add_f64 v[78:79], v[52:53], v[78:79]
	s_waitcnt lgkmcnt(1)
	v_mul_f64 v[52:53], v[8:9], v[46:47]
	v_add_f64 v[80:81], v[54:55], v[80:81]
	v_fma_f64 v[82:83], v[6:7], v[44:45], -v[52:53]
	ds_read_b128 v[52:55], v66 offset:8288
	v_mul_f64 v[6:7], v[6:7], v[46:47]
	v_fmac_f64_e32 v[6:7], v[8:9], v[44:45]
	v_add_f64 v[56:57], v[56:57], v[82:83]
	v_add_f64 v[58:59], v[58:59], v[6:7]
	ds_read_b128 v[6:9], v66 offset:8304
	s_waitcnt lgkmcnt(1)
	v_mul_f64 v[82:83], v[54:55], v[12:13]
	v_mul_f64 v[12:13], v[52:53], v[12:13]
	v_add_f64 v[4:5], v[84:85], v[4:5]
	v_fma_f64 v[82:83], v[52:53], v[10:11], -v[82:83]
	v_fmac_f64_e32 v[12:13], v[54:55], v[10:11]
	v_add_f64 v[82:83], v[2:3], v[82:83]
	v_add_f64 v[84:85], v[4:5], v[12:13]
	v_mul_f64 v[2:3], v[54:55], v[46:47]
	v_mul_f64 v[12:13], v[52:53], v[46:47]
	v_fma_f64 v[10:11], v[52:53], v[44:45], -v[2:3]
	v_fmac_f64_e32 v[12:13], v[54:55], v[44:45]
	ds_read_b128 v[2:5], v61 offset:3584
	v_add_f64 v[44:45], v[74:75], v[10:11]
	v_add_f64 v[46:47], v[76:77], v[12:13]
	ds_read_b128 v[10:13], v61 offset:3840
	v_add_co_u32_e32 v36, vcc, s58, v36
	s_waitcnt lgkmcnt(1)
	v_mul_f64 v[52:53], v[50:51], v[4:5]
	v_fma_f64 v[52:53], v[48:49], v[2:3], -v[52:53]
	s_waitcnt lgkmcnt(0)
	v_mul_f64 v[74:75], v[50:51], v[12:13]
	v_mul_f64 v[54:55], v[48:49], v[4:5]
	v_fma_f64 v[74:75], v[48:49], v[10:11], -v[74:75]
	v_mul_f64 v[48:49], v[48:49], v[12:13]
	v_fmac_f64_e32 v[48:49], v[50:51], v[10:11]
	v_add_f64 v[58:59], v[58:59], v[48:49]
	v_mul_f64 v[48:49], v[8:9], v[4:5]
	v_fma_f64 v[48:49], v[6:7], v[2:3], -v[48:49]
	v_mul_f64 v[4:5], v[6:7], v[4:5]
	v_fmac_f64_e32 v[54:55], v[50:51], v[2:3]
	v_fmac_f64_e32 v[4:5], v[8:9], v[2:3]
	v_add_f64 v[2:3], v[82:83], v[48:49]
	v_mul_f64 v[48:49], v[8:9], v[12:13]
	v_mul_f64 v[50:51], v[6:7], v[12:13]
	v_fma_f64 v[48:49], v[6:7], v[10:11], -v[48:49]
	v_fmac_f64_e32 v[50:51], v[8:9], v[10:11]
	ds_read_b128 v[6:9], v66 offset:128
	ds_read_b128 v[10:13], v61 offset:4096
	v_add_f64 v[56:57], v[56:57], v[74:75]
	v_add_f64 v[74:75], v[44:45], v[48:49]
	v_add_f64 v[76:77], v[46:47], v[50:51]
	ds_read_b128 v[44:47], v61 offset:4352
	ds_read_b128 v[48:51], v66 offset:144
	v_add_f64 v[52:53], v[78:79], v[52:53]
	s_waitcnt lgkmcnt(2)
	v_mul_f64 v[78:79], v[8:9], v[12:13]
	v_add_f64 v[54:55], v[80:81], v[54:55]
	v_fma_f64 v[78:79], v[6:7], v[10:11], -v[78:79]
	v_mul_f64 v[80:81], v[6:7], v[12:13]
	v_fmac_f64_e32 v[80:81], v[8:9], v[10:11]
	v_add_f64 v[78:79], v[52:53], v[78:79]
	s_waitcnt lgkmcnt(1)
	v_mul_f64 v[52:53], v[8:9], v[46:47]
	v_add_f64 v[80:81], v[54:55], v[80:81]
	v_fma_f64 v[82:83], v[6:7], v[44:45], -v[52:53]
	ds_read_b128 v[52:55], v66 offset:8320
	v_mul_f64 v[6:7], v[6:7], v[46:47]
	v_fmac_f64_e32 v[6:7], v[8:9], v[44:45]
	v_add_f64 v[56:57], v[56:57], v[82:83]
	v_add_f64 v[58:59], v[58:59], v[6:7]
	ds_read_b128 v[6:9], v66 offset:8336
	s_waitcnt lgkmcnt(1)
	v_mul_f64 v[82:83], v[54:55], v[12:13]
	v_mul_f64 v[12:13], v[52:53], v[12:13]
	v_add_f64 v[4:5], v[84:85], v[4:5]
	v_fma_f64 v[82:83], v[52:53], v[10:11], -v[82:83]
	v_fmac_f64_e32 v[12:13], v[54:55], v[10:11]
	v_add_f64 v[82:83], v[2:3], v[82:83]
	v_add_f64 v[84:85], v[4:5], v[12:13]
	v_mul_f64 v[2:3], v[54:55], v[46:47]
	v_mul_f64 v[12:13], v[52:53], v[46:47]
	v_fma_f64 v[10:11], v[52:53], v[44:45], -v[2:3]
	v_fmac_f64_e32 v[12:13], v[54:55], v[44:45]
	ds_read_b128 v[2:5], v61 offset:4608
	v_add_f64 v[44:45], v[74:75], v[10:11]
	v_add_f64 v[46:47], v[76:77], v[12:13]
	ds_read_b128 v[10:13], v61 offset:4864
	v_addc_co_u32_e32 v37, vcc, 0, v37, vcc
	s_waitcnt lgkmcnt(1)
	v_mul_f64 v[52:53], v[50:51], v[4:5]
	v_fma_f64 v[52:53], v[48:49], v[2:3], -v[52:53]
	s_waitcnt lgkmcnt(0)
	v_mul_f64 v[74:75], v[50:51], v[12:13]
	v_mul_f64 v[54:55], v[48:49], v[4:5]
	v_fma_f64 v[74:75], v[48:49], v[10:11], -v[74:75]
	v_mul_f64 v[48:49], v[48:49], v[12:13]
	v_fmac_f64_e32 v[48:49], v[50:51], v[10:11]
	v_add_f64 v[58:59], v[58:59], v[48:49]
	v_mul_f64 v[48:49], v[8:9], v[4:5]
	v_fma_f64 v[48:49], v[6:7], v[2:3], -v[48:49]
	v_mul_f64 v[4:5], v[6:7], v[4:5]
	v_fmac_f64_e32 v[54:55], v[50:51], v[2:3]
	v_fmac_f64_e32 v[4:5], v[8:9], v[2:3]
	v_add_f64 v[2:3], v[82:83], v[48:49]
	v_mul_f64 v[48:49], v[8:9], v[12:13]
	v_mul_f64 v[50:51], v[6:7], v[12:13]
	v_fma_f64 v[48:49], v[6:7], v[10:11], -v[48:49]
	v_fmac_f64_e32 v[50:51], v[8:9], v[10:11]
	ds_read_b128 v[6:9], v66 offset:160
	ds_read_b128 v[10:13], v61 offset:5120
	v_add_f64 v[56:57], v[56:57], v[74:75]
	v_add_f64 v[74:75], v[44:45], v[48:49]
	;; [unrolled: 1-line block ×3, first 2 shown]
	ds_read_b128 v[44:47], v61 offset:5376
	ds_read_b128 v[48:51], v66 offset:176
	v_add_f64 v[52:53], v[78:79], v[52:53]
	s_waitcnt lgkmcnt(2)
	v_mul_f64 v[78:79], v[8:9], v[12:13]
	v_add_f64 v[54:55], v[80:81], v[54:55]
	v_fma_f64 v[78:79], v[6:7], v[10:11], -v[78:79]
	v_mul_f64 v[80:81], v[6:7], v[12:13]
	v_fmac_f64_e32 v[80:81], v[8:9], v[10:11]
	v_add_f64 v[78:79], v[52:53], v[78:79]
	s_waitcnt lgkmcnt(1)
	v_mul_f64 v[52:53], v[8:9], v[46:47]
	v_add_f64 v[80:81], v[54:55], v[80:81]
	v_fma_f64 v[82:83], v[6:7], v[44:45], -v[52:53]
	ds_read_b128 v[52:55], v66 offset:8352
	v_mul_f64 v[6:7], v[6:7], v[46:47]
	v_fmac_f64_e32 v[6:7], v[8:9], v[44:45]
	v_add_f64 v[56:57], v[56:57], v[82:83]
	v_add_f64 v[58:59], v[58:59], v[6:7]
	ds_read_b128 v[6:9], v66 offset:8368
	s_waitcnt lgkmcnt(1)
	v_mul_f64 v[82:83], v[54:55], v[12:13]
	v_mul_f64 v[12:13], v[52:53], v[12:13]
	v_add_f64 v[4:5], v[84:85], v[4:5]
	v_fma_f64 v[82:83], v[52:53], v[10:11], -v[82:83]
	v_fmac_f64_e32 v[12:13], v[54:55], v[10:11]
	v_add_f64 v[82:83], v[2:3], v[82:83]
	v_add_f64 v[84:85], v[4:5], v[12:13]
	v_mul_f64 v[2:3], v[54:55], v[46:47]
	v_mul_f64 v[12:13], v[52:53], v[46:47]
	v_fma_f64 v[10:11], v[52:53], v[44:45], -v[2:3]
	v_fmac_f64_e32 v[12:13], v[54:55], v[44:45]
	ds_read_b128 v[2:5], v61 offset:5632
	v_add_f64 v[44:45], v[74:75], v[10:11]
	v_add_f64 v[46:47], v[76:77], v[12:13]
	ds_read_b128 v[10:13], v61 offset:5888
	v_add_co_u32_e32 v42, vcc, s42, v42
	s_waitcnt lgkmcnt(1)
	v_mul_f64 v[52:53], v[50:51], v[4:5]
	v_fma_f64 v[52:53], v[48:49], v[2:3], -v[52:53]
	s_waitcnt lgkmcnt(0)
	v_mul_f64 v[74:75], v[50:51], v[12:13]
	v_mul_f64 v[54:55], v[48:49], v[4:5]
	v_fma_f64 v[74:75], v[48:49], v[10:11], -v[74:75]
	v_mul_f64 v[48:49], v[48:49], v[12:13]
	v_fmac_f64_e32 v[48:49], v[50:51], v[10:11]
	v_add_f64 v[58:59], v[58:59], v[48:49]
	v_mul_f64 v[48:49], v[8:9], v[4:5]
	v_fma_f64 v[48:49], v[6:7], v[2:3], -v[48:49]
	v_mul_f64 v[4:5], v[6:7], v[4:5]
	v_fmac_f64_e32 v[54:55], v[50:51], v[2:3]
	v_fmac_f64_e32 v[4:5], v[8:9], v[2:3]
	v_add_f64 v[2:3], v[82:83], v[48:49]
	v_mul_f64 v[48:49], v[8:9], v[12:13]
	v_mul_f64 v[50:51], v[6:7], v[12:13]
	v_fma_f64 v[48:49], v[6:7], v[10:11], -v[48:49]
	v_fmac_f64_e32 v[50:51], v[8:9], v[10:11]
	ds_read_b128 v[6:9], v66 offset:192
	ds_read_b128 v[10:13], v61 offset:6144
	v_add_f64 v[56:57], v[56:57], v[74:75]
	v_add_f64 v[74:75], v[44:45], v[48:49]
	;; [unrolled: 1-line block ×3, first 2 shown]
	ds_read_b128 v[44:47], v61 offset:6400
	ds_read_b128 v[48:51], v66 offset:208
	v_add_f64 v[52:53], v[78:79], v[52:53]
	s_waitcnt lgkmcnt(2)
	v_mul_f64 v[78:79], v[8:9], v[12:13]
	v_add_f64 v[54:55], v[80:81], v[54:55]
	v_fma_f64 v[78:79], v[6:7], v[10:11], -v[78:79]
	v_mul_f64 v[80:81], v[6:7], v[12:13]
	v_fmac_f64_e32 v[80:81], v[8:9], v[10:11]
	v_add_f64 v[78:79], v[52:53], v[78:79]
	s_waitcnt lgkmcnt(1)
	v_mul_f64 v[52:53], v[8:9], v[46:47]
	v_add_f64 v[80:81], v[54:55], v[80:81]
	v_fma_f64 v[82:83], v[6:7], v[44:45], -v[52:53]
	ds_read_b128 v[52:55], v66 offset:8384
	v_mul_f64 v[6:7], v[6:7], v[46:47]
	v_fmac_f64_e32 v[6:7], v[8:9], v[44:45]
	v_add_f64 v[56:57], v[56:57], v[82:83]
	v_add_f64 v[58:59], v[58:59], v[6:7]
	ds_read_b128 v[6:9], v66 offset:8400
	s_waitcnt lgkmcnt(1)
	v_mul_f64 v[82:83], v[54:55], v[12:13]
	v_mul_f64 v[12:13], v[52:53], v[12:13]
	v_add_f64 v[4:5], v[84:85], v[4:5]
	v_fma_f64 v[82:83], v[52:53], v[10:11], -v[82:83]
	v_fmac_f64_e32 v[12:13], v[54:55], v[10:11]
	v_add_f64 v[82:83], v[2:3], v[82:83]
	v_add_f64 v[84:85], v[4:5], v[12:13]
	v_mul_f64 v[2:3], v[54:55], v[46:47]
	v_mul_f64 v[12:13], v[52:53], v[46:47]
	v_fma_f64 v[10:11], v[52:53], v[44:45], -v[2:3]
	v_fmac_f64_e32 v[12:13], v[54:55], v[44:45]
	ds_read_b128 v[2:5], v61 offset:6656
	v_add_f64 v[44:45], v[74:75], v[10:11]
	v_add_f64 v[46:47], v[76:77], v[12:13]
	ds_read_b128 v[10:13], v61 offset:6912
	s_add_u32 s18, s18, 32
	s_waitcnt lgkmcnt(1)
	v_mul_f64 v[52:53], v[50:51], v[4:5]
	v_fma_f64 v[52:53], v[48:49], v[2:3], -v[52:53]
	v_mul_f64 v[54:55], v[48:49], v[4:5]
	s_waitcnt lgkmcnt(0)
	v_mul_f64 v[74:75], v[50:51], v[12:13]
	v_fma_f64 v[74:75], v[48:49], v[10:11], -v[74:75]
	v_mul_f64 v[48:49], v[48:49], v[12:13]
	v_fmac_f64_e32 v[48:49], v[50:51], v[10:11]
	v_add_f64 v[58:59], v[58:59], v[48:49]
	v_mul_f64 v[48:49], v[8:9], v[4:5]
	v_fma_f64 v[48:49], v[6:7], v[2:3], -v[48:49]
	v_mul_f64 v[4:5], v[6:7], v[4:5]
	v_fmac_f64_e32 v[54:55], v[50:51], v[2:3]
	v_fmac_f64_e32 v[4:5], v[8:9], v[2:3]
	v_add_f64 v[2:3], v[82:83], v[48:49]
	v_mul_f64 v[48:49], v[8:9], v[12:13]
	v_mul_f64 v[50:51], v[6:7], v[12:13]
	v_fma_f64 v[48:49], v[6:7], v[10:11], -v[48:49]
	v_fmac_f64_e32 v[50:51], v[8:9], v[10:11]
	ds_read_b128 v[6:9], v66 offset:224
	ds_read_b128 v[10:13], v61 offset:7168
	v_add_f64 v[56:57], v[56:57], v[74:75]
	v_add_f64 v[74:75], v[44:45], v[48:49]
	v_add_f64 v[76:77], v[46:47], v[50:51]
	ds_read_b128 v[44:47], v61 offset:7424
	ds_read_b128 v[48:51], v66 offset:240
	v_add_f64 v[52:53], v[78:79], v[52:53]
	s_waitcnt lgkmcnt(2)
	v_mul_f64 v[78:79], v[8:9], v[12:13]
	v_add_f64 v[54:55], v[80:81], v[54:55]
	v_fma_f64 v[78:79], v[6:7], v[10:11], -v[78:79]
	v_mul_f64 v[80:81], v[6:7], v[12:13]
	v_fmac_f64_e32 v[80:81], v[8:9], v[10:11]
	v_add_f64 v[78:79], v[52:53], v[78:79]
	s_waitcnt lgkmcnt(1)
	v_mul_f64 v[52:53], v[8:9], v[46:47]
	v_add_f64 v[80:81], v[54:55], v[80:81]
	v_fma_f64 v[82:83], v[6:7], v[44:45], -v[52:53]
	ds_read_b128 v[52:55], v66 offset:8416
	v_mul_f64 v[6:7], v[6:7], v[46:47]
	v_fmac_f64_e32 v[6:7], v[8:9], v[44:45]
	v_add_f64 v[56:57], v[56:57], v[82:83]
	v_add_f64 v[58:59], v[58:59], v[6:7]
	ds_read_b128 v[6:9], v66 offset:8432
	s_waitcnt lgkmcnt(1)
	v_mul_f64 v[82:83], v[54:55], v[12:13]
	v_mul_f64 v[12:13], v[52:53], v[12:13]
	v_add_f64 v[4:5], v[84:85], v[4:5]
	v_fma_f64 v[82:83], v[52:53], v[10:11], -v[82:83]
	v_fmac_f64_e32 v[12:13], v[54:55], v[10:11]
	v_add_f64 v[82:83], v[2:3], v[82:83]
	v_add_f64 v[84:85], v[4:5], v[12:13]
	v_mul_f64 v[2:3], v[54:55], v[46:47]
	v_mul_f64 v[12:13], v[52:53], v[46:47]
	v_fma_f64 v[10:11], v[52:53], v[44:45], -v[2:3]
	v_fmac_f64_e32 v[12:13], v[54:55], v[44:45]
	ds_read_b128 v[2:5], v61 offset:7680
	v_add_f64 v[44:45], v[74:75], v[10:11]
	v_add_f64 v[46:47], v[76:77], v[12:13]
	ds_read_b128 v[10:13], v61 offset:7936
	s_addc_u32 s19, s19, 0
	s_waitcnt lgkmcnt(1)
	v_mul_f64 v[52:53], v[50:51], v[4:5]
	v_fma_f64 v[52:53], v[48:49], v[2:3], -v[52:53]
	v_mul_f64 v[54:55], v[48:49], v[4:5]
	s_waitcnt lgkmcnt(0)
	v_mul_f64 v[74:75], v[50:51], v[12:13]
	v_fma_f64 v[74:75], v[48:49], v[10:11], -v[74:75]
	v_mul_f64 v[48:49], v[48:49], v[12:13]
	v_fmac_f64_e32 v[48:49], v[50:51], v[10:11]
	v_add_f64 v[58:59], v[58:59], v[48:49]
	v_mul_f64 v[48:49], v[8:9], v[4:5]
	v_fma_f64 v[48:49], v[6:7], v[2:3], -v[48:49]
	v_mul_f64 v[4:5], v[6:7], v[4:5]
	v_fmac_f64_e32 v[54:55], v[50:51], v[2:3]
	v_fmac_f64_e32 v[4:5], v[8:9], v[2:3]
	v_add_f64 v[2:3], v[82:83], v[48:49]
	v_mul_f64 v[48:49], v[8:9], v[12:13]
	v_mul_f64 v[50:51], v[6:7], v[12:13]
	v_fma_f64 v[48:49], v[6:7], v[10:11], -v[48:49]
	v_fmac_f64_e32 v[50:51], v[8:9], v[10:11]
	ds_read_b128 v[6:9], v66 offset:256
	ds_read_b128 v[10:13], v61 offset:8192
	v_add_f64 v[56:57], v[56:57], v[74:75]
	v_add_f64 v[74:75], v[44:45], v[48:49]
	;; [unrolled: 1-line block ×3, first 2 shown]
	ds_read_b128 v[44:47], v61 offset:8448
	ds_read_b128 v[48:51], v66 offset:272
	v_add_f64 v[52:53], v[78:79], v[52:53]
	s_waitcnt lgkmcnt(2)
	v_mul_f64 v[78:79], v[8:9], v[12:13]
	v_add_f64 v[54:55], v[80:81], v[54:55]
	v_fma_f64 v[78:79], v[6:7], v[10:11], -v[78:79]
	v_mul_f64 v[80:81], v[6:7], v[12:13]
	v_fmac_f64_e32 v[80:81], v[8:9], v[10:11]
	v_add_f64 v[78:79], v[52:53], v[78:79]
	s_waitcnt lgkmcnt(1)
	v_mul_f64 v[52:53], v[8:9], v[46:47]
	v_add_f64 v[80:81], v[54:55], v[80:81]
	v_fma_f64 v[82:83], v[6:7], v[44:45], -v[52:53]
	ds_read_b128 v[52:55], v66 offset:8448
	v_mul_f64 v[6:7], v[6:7], v[46:47]
	v_fmac_f64_e32 v[6:7], v[8:9], v[44:45]
	v_add_f64 v[56:57], v[56:57], v[82:83]
	v_add_f64 v[58:59], v[58:59], v[6:7]
	ds_read_b128 v[6:9], v66 offset:8464
	s_waitcnt lgkmcnt(1)
	v_mul_f64 v[82:83], v[54:55], v[12:13]
	v_mul_f64 v[12:13], v[52:53], v[12:13]
	v_add_f64 v[4:5], v[84:85], v[4:5]
	v_fma_f64 v[82:83], v[52:53], v[10:11], -v[82:83]
	v_fmac_f64_e32 v[12:13], v[54:55], v[10:11]
	v_add_f64 v[82:83], v[2:3], v[82:83]
	v_add_f64 v[84:85], v[4:5], v[12:13]
	v_mul_f64 v[2:3], v[54:55], v[46:47]
	v_mul_f64 v[12:13], v[52:53], v[46:47]
	v_fma_f64 v[10:11], v[52:53], v[44:45], -v[2:3]
	v_fmac_f64_e32 v[12:13], v[54:55], v[44:45]
	ds_read_b128 v[2:5], v61 offset:8704
	v_add_f64 v[44:45], v[74:75], v[10:11]
	v_add_f64 v[46:47], v[76:77], v[12:13]
	ds_read_b128 v[10:13], v61 offset:8960
	s_cmp_ge_i32 s18, s6
	s_waitcnt lgkmcnt(1)
	v_mul_f64 v[52:53], v[50:51], v[4:5]
	v_fma_f64 v[52:53], v[48:49], v[2:3], -v[52:53]
	v_mul_f64 v[54:55], v[48:49], v[4:5]
	s_waitcnt lgkmcnt(0)
	v_mul_f64 v[74:75], v[50:51], v[12:13]
	v_fma_f64 v[74:75], v[48:49], v[10:11], -v[74:75]
	v_mul_f64 v[48:49], v[48:49], v[12:13]
	v_fmac_f64_e32 v[48:49], v[50:51], v[10:11]
	v_add_f64 v[58:59], v[58:59], v[48:49]
	v_mul_f64 v[48:49], v[8:9], v[4:5]
	v_fma_f64 v[48:49], v[6:7], v[2:3], -v[48:49]
	v_mul_f64 v[4:5], v[6:7], v[4:5]
	v_fmac_f64_e32 v[54:55], v[50:51], v[2:3]
	v_fmac_f64_e32 v[4:5], v[8:9], v[2:3]
	v_add_f64 v[2:3], v[82:83], v[48:49]
	v_mul_f64 v[48:49], v[8:9], v[12:13]
	v_mul_f64 v[50:51], v[6:7], v[12:13]
	v_fma_f64 v[48:49], v[6:7], v[10:11], -v[48:49]
	v_fmac_f64_e32 v[50:51], v[8:9], v[10:11]
	ds_read_b128 v[6:9], v66 offset:288
	ds_read_b128 v[10:13], v61 offset:9216
	v_add_f64 v[56:57], v[56:57], v[74:75]
	v_add_f64 v[74:75], v[44:45], v[48:49]
	v_add_f64 v[76:77], v[46:47], v[50:51]
	ds_read_b128 v[44:47], v61 offset:9472
	ds_read_b128 v[48:51], v66 offset:304
	v_add_f64 v[52:53], v[78:79], v[52:53]
	s_waitcnt lgkmcnt(2)
	v_mul_f64 v[78:79], v[8:9], v[12:13]
	v_add_f64 v[54:55], v[80:81], v[54:55]
	v_fma_f64 v[78:79], v[6:7], v[10:11], -v[78:79]
	v_mul_f64 v[80:81], v[6:7], v[12:13]
	v_fmac_f64_e32 v[80:81], v[8:9], v[10:11]
	v_add_f64 v[78:79], v[52:53], v[78:79]
	s_waitcnt lgkmcnt(1)
	v_mul_f64 v[52:53], v[8:9], v[46:47]
	v_add_f64 v[80:81], v[54:55], v[80:81]
	v_fma_f64 v[82:83], v[6:7], v[44:45], -v[52:53]
	ds_read_b128 v[52:55], v66 offset:8480
	v_mul_f64 v[6:7], v[6:7], v[46:47]
	v_fmac_f64_e32 v[6:7], v[8:9], v[44:45]
	v_add_f64 v[56:57], v[56:57], v[82:83]
	v_add_f64 v[58:59], v[58:59], v[6:7]
	ds_read_b128 v[6:9], v66 offset:8496
	s_waitcnt lgkmcnt(1)
	v_mul_f64 v[82:83], v[54:55], v[12:13]
	v_mul_f64 v[12:13], v[52:53], v[12:13]
	v_add_f64 v[4:5], v[84:85], v[4:5]
	v_fma_f64 v[82:83], v[52:53], v[10:11], -v[82:83]
	v_fmac_f64_e32 v[12:13], v[54:55], v[10:11]
	v_add_f64 v[82:83], v[2:3], v[82:83]
	v_add_f64 v[84:85], v[4:5], v[12:13]
	v_mul_f64 v[2:3], v[54:55], v[46:47]
	v_mul_f64 v[12:13], v[52:53], v[46:47]
	v_fma_f64 v[10:11], v[52:53], v[44:45], -v[2:3]
	v_fmac_f64_e32 v[12:13], v[54:55], v[44:45]
	ds_read_b128 v[2:5], v61 offset:9728
	v_add_f64 v[44:45], v[74:75], v[10:11]
	v_add_f64 v[46:47], v[76:77], v[12:13]
	ds_read_b128 v[10:13], v61 offset:9984
	s_waitcnt lgkmcnt(1)
	v_mul_f64 v[52:53], v[50:51], v[4:5]
	v_fma_f64 v[52:53], v[48:49], v[2:3], -v[52:53]
	v_mul_f64 v[54:55], v[48:49], v[4:5]
	s_waitcnt lgkmcnt(0)
	v_mul_f64 v[74:75], v[50:51], v[12:13]
	v_fma_f64 v[74:75], v[48:49], v[10:11], -v[74:75]
	v_mul_f64 v[48:49], v[48:49], v[12:13]
	v_fmac_f64_e32 v[48:49], v[50:51], v[10:11]
	v_add_f64 v[58:59], v[58:59], v[48:49]
	v_mul_f64 v[48:49], v[8:9], v[4:5]
	v_fma_f64 v[48:49], v[6:7], v[2:3], -v[48:49]
	v_mul_f64 v[4:5], v[6:7], v[4:5]
	v_fmac_f64_e32 v[54:55], v[50:51], v[2:3]
	v_fmac_f64_e32 v[4:5], v[8:9], v[2:3]
	v_add_f64 v[2:3], v[82:83], v[48:49]
	v_mul_f64 v[48:49], v[8:9], v[12:13]
	v_mul_f64 v[50:51], v[6:7], v[12:13]
	v_fma_f64 v[48:49], v[6:7], v[10:11], -v[48:49]
	v_fmac_f64_e32 v[50:51], v[8:9], v[10:11]
	ds_read_b128 v[6:9], v66 offset:320
	ds_read_b128 v[10:13], v61 offset:10240
	v_add_f64 v[56:57], v[56:57], v[74:75]
	v_add_f64 v[74:75], v[44:45], v[48:49]
	v_add_f64 v[76:77], v[46:47], v[50:51]
	ds_read_b128 v[44:47], v61 offset:10496
	ds_read_b128 v[48:51], v66 offset:336
	v_add_f64 v[52:53], v[78:79], v[52:53]
	s_waitcnt lgkmcnt(2)
	v_mul_f64 v[78:79], v[8:9], v[12:13]
	v_add_f64 v[54:55], v[80:81], v[54:55]
	v_fma_f64 v[78:79], v[6:7], v[10:11], -v[78:79]
	v_mul_f64 v[80:81], v[6:7], v[12:13]
	v_fmac_f64_e32 v[80:81], v[8:9], v[10:11]
	v_add_f64 v[78:79], v[52:53], v[78:79]
	s_waitcnt lgkmcnt(1)
	v_mul_f64 v[52:53], v[8:9], v[46:47]
	v_add_f64 v[80:81], v[54:55], v[80:81]
	v_fma_f64 v[82:83], v[6:7], v[44:45], -v[52:53]
	ds_read_b128 v[52:55], v66 offset:8512
	v_mul_f64 v[6:7], v[6:7], v[46:47]
	v_fmac_f64_e32 v[6:7], v[8:9], v[44:45]
	v_add_f64 v[56:57], v[56:57], v[82:83]
	v_add_f64 v[58:59], v[58:59], v[6:7]
	ds_read_b128 v[6:9], v66 offset:8528
	s_waitcnt lgkmcnt(1)
	v_mul_f64 v[82:83], v[54:55], v[12:13]
	v_mul_f64 v[12:13], v[52:53], v[12:13]
	v_add_f64 v[4:5], v[84:85], v[4:5]
	v_fma_f64 v[82:83], v[52:53], v[10:11], -v[82:83]
	v_fmac_f64_e32 v[12:13], v[54:55], v[10:11]
	v_add_f64 v[82:83], v[2:3], v[82:83]
	v_add_f64 v[84:85], v[4:5], v[12:13]
	v_mul_f64 v[2:3], v[54:55], v[46:47]
	v_mul_f64 v[12:13], v[52:53], v[46:47]
	v_fma_f64 v[10:11], v[52:53], v[44:45], -v[2:3]
	v_fmac_f64_e32 v[12:13], v[54:55], v[44:45]
	ds_read_b128 v[2:5], v61 offset:10752
	v_add_f64 v[44:45], v[74:75], v[10:11]
	v_add_f64 v[46:47], v[76:77], v[12:13]
	ds_read_b128 v[10:13], v61 offset:11008
	;; [unrolled: 61-line block ×6, first 2 shown]
	s_waitcnt lgkmcnt(1)
	v_mul_f64 v[52:53], v[50:51], v[4:5]
	v_fma_f64 v[52:53], v[48:49], v[2:3], -v[52:53]
	v_mul_f64 v[54:55], v[48:49], v[4:5]
	s_waitcnt lgkmcnt(0)
	v_mul_f64 v[74:75], v[50:51], v[12:13]
	v_fma_f64 v[74:75], v[48:49], v[10:11], -v[74:75]
	v_mul_f64 v[48:49], v[48:49], v[12:13]
	v_fmac_f64_e32 v[48:49], v[50:51], v[10:11]
	v_add_f64 v[58:59], v[58:59], v[48:49]
	v_mul_f64 v[48:49], v[8:9], v[4:5]
	v_fma_f64 v[48:49], v[6:7], v[2:3], -v[48:49]
	v_mul_f64 v[4:5], v[6:7], v[4:5]
	v_fmac_f64_e32 v[54:55], v[50:51], v[2:3]
	v_fmac_f64_e32 v[4:5], v[8:9], v[2:3]
	v_add_f64 v[2:3], v[82:83], v[48:49]
	v_mul_f64 v[48:49], v[8:9], v[12:13]
	v_mul_f64 v[50:51], v[6:7], v[12:13]
	v_fma_f64 v[48:49], v[6:7], v[10:11], -v[48:49]
	v_fmac_f64_e32 v[50:51], v[8:9], v[10:11]
	ds_read_b128 v[6:9], v66 offset:480
	ds_read_b128 v[10:13], v61 offset:15360
	v_add_f64 v[56:57], v[56:57], v[74:75]
	v_add_f64 v[74:75], v[44:45], v[48:49]
	;; [unrolled: 1-line block ×3, first 2 shown]
	ds_read_b128 v[44:47], v61 offset:15616
	ds_read_b128 v[48:51], v66 offset:496
	v_add_f64 v[52:53], v[78:79], v[52:53]
	s_waitcnt lgkmcnt(2)
	v_mul_f64 v[78:79], v[8:9], v[12:13]
	v_add_f64 v[54:55], v[80:81], v[54:55]
	v_fma_f64 v[78:79], v[6:7], v[10:11], -v[78:79]
	v_mul_f64 v[80:81], v[6:7], v[12:13]
	v_fmac_f64_e32 v[80:81], v[8:9], v[10:11]
	v_add_f64 v[78:79], v[52:53], v[78:79]
	s_waitcnt lgkmcnt(1)
	v_mul_f64 v[52:53], v[8:9], v[46:47]
	v_add_f64 v[80:81], v[54:55], v[80:81]
	v_fma_f64 v[82:83], v[6:7], v[44:45], -v[52:53]
	ds_read_b128 v[52:55], v66 offset:8672
	v_mul_f64 v[6:7], v[6:7], v[46:47]
	v_fmac_f64_e32 v[6:7], v[8:9], v[44:45]
	v_add_f64 v[4:5], v[84:85], v[4:5]
	v_add_f64 v[82:83], v[56:57], v[82:83]
	;; [unrolled: 1-line block ×3, first 2 shown]
	ds_read_b128 v[6:9], v66 offset:8688
	s_waitcnt lgkmcnt(1)
	v_mul_f64 v[56:57], v[54:55], v[12:13]
	v_fma_f64 v[56:57], v[52:53], v[10:11], -v[56:57]
	v_mul_f64 v[12:13], v[52:53], v[12:13]
	v_fmac_f64_e32 v[12:13], v[54:55], v[10:11]
	v_add_f64 v[86:87], v[2:3], v[56:57]
	v_mul_f64 v[2:3], v[54:55], v[46:47]
	v_add_f64 v[88:89], v[4:5], v[12:13]
	v_fma_f64 v[10:11], v[52:53], v[44:45], -v[2:3]
	v_mul_f64 v[12:13], v[52:53], v[46:47]
	ds_read_b128 v[2:5], v61 offset:15872
	v_fmac_f64_e32 v[12:13], v[54:55], v[44:45]
	v_add_f64 v[44:45], v[74:75], v[10:11]
	v_add_f64 v[74:75], v[76:77], v[12:13]
	ds_read_b128 v[10:13], v61 offset:16128
	s_waitcnt lgkmcnt(1)
	v_mul_f64 v[46:47], v[50:51], v[4:5]
	v_fma_f64 v[46:47], v[48:49], v[2:3], -v[46:47]
	v_mul_f64 v[52:53], v[48:49], v[4:5]
	v_add_f64 v[56:57], v[78:79], v[46:47]
	s_waitcnt lgkmcnt(0)
	v_mul_f64 v[46:47], v[50:51], v[12:13]
	v_fmac_f64_e32 v[52:53], v[50:51], v[2:3]
	v_fma_f64 v[46:47], v[48:49], v[10:11], -v[46:47]
	v_add_f64 v[58:59], v[80:81], v[52:53]
	v_add_f64 v[52:53], v[82:83], v[46:47]
	v_mul_f64 v[46:47], v[8:9], v[4:5]
	v_mul_f64 v[4:5], v[6:7], v[4:5]
	;; [unrolled: 1-line block ×3, first 2 shown]
	v_fma_f64 v[46:47], v[6:7], v[2:3], -v[46:47]
	v_fmac_f64_e32 v[4:5], v[8:9], v[2:3]
	v_mul_f64 v[2:3], v[8:9], v[12:13]
	v_fmac_f64_e32 v[48:49], v[50:51], v[10:11]
	v_fma_f64 v[2:3], v[6:7], v[10:11], -v[2:3]
	v_add_f64 v[54:55], v[84:85], v[48:49]
	v_add_f64 v[48:49], v[86:87], v[46:47]
	;; [unrolled: 1-line block ×3, first 2 shown]
	v_mov_b32_e32 v2, s43
	v_addc_co_u32_e32 v43, vcc, v43, v2, vcc
	v_add_co_u32_e32 v40, vcc, s42, v40
	v_add_f64 v[50:51], v[88:89], v[4:5]
	v_mul_f64 v[4:5], v[6:7], v[12:13]
	v_addc_co_u32_e32 v41, vcc, v41, v2, vcc
	v_fmac_f64_e32 v[4:5], v[8:9], v[10:11]
	v_add_co_u32_e32 v38, vcc, 0x200, v38
	v_add_f64 v[44:45], v[74:75], v[4:5]
	v_addc_co_u32_e32 v39, vcc, 0, v39, vcc
	s_barrier
	s_cbranch_scc1 .LBB111_55
.LBB111_7:                              ;   Parent Loop BB111_4 Depth=1
                                        ; =>  This Inner Loop Header: Depth=2
	v_mov_b32_e32 v2, s19
	v_add_co_u32_e32 v4, vcc, s18, v14
	v_addc_co_u32_e32 v5, vcc, v15, v2, vcc
	v_add_co_u32_e32 v6, vcc, v42, v28
	v_addc_co_u32_e32 v7, vcc, v43, v29, vcc
	v_cmp_eq_u64_e32 vcc, s[18:19], v[22:23]
	v_cmp_le_i64_e64 s[12:13], s[38:39], v[4:5]
	s_and_b64 s[22:23], s[36:37], vcc
	v_cmp_lt_i64_e32 vcc, v[4:5], v[16:17]
	s_or_b64 s[16:17], s[12:13], vcc
	s_or_b64 s[16:17], s[16:17], s[22:23]
	s_or_b64 s[16:17], s[0:1], s[16:17]
	s_xor_b64 s[16:17], s[16:17], -1
	s_and_saveexec_b64 s[20:21], s[16:17]
	s_xor_b64 s[16:17], exec, s[20:21]
	s_cbranch_execz .LBB111_9
; %bb.8:                                ;   in Loop: Header=BB111_7 Depth=2
	global_load_dwordx4 v[8:11], v[6:7], off offset:-256
	s_waitcnt vmcnt(0)
	ds_write2_b64 v62, v[8:9], v[10:11] offset1:1
.LBB111_9:                              ;   in Loop: Header=BB111_7 Depth=2
	s_or_saveexec_b64 s[16:17], s[16:17]
	s_xor_b64 s[20:21], s[22:23], -1
	s_xor_b64 exec, exec, s[16:17]
	s_cbranch_execz .LBB111_15
; %bb.10:                               ;   in Loop: Header=BB111_7 Depth=2
	s_and_saveexec_b64 s[30:31], s[20:21]
	s_xor_b64 s[30:31], exec, s[30:31]
	s_cbranch_execz .LBB111_12
; %bb.11:                               ;   in Loop: Header=BB111_7 Depth=2
	v_mov_b32_e32 v8, v0
	v_mov_b32_e32 v9, v0
	;; [unrolled: 1-line block ×4, first 2 shown]
	ds_write_b128 v62, v[8:11]
.LBB111_12:                             ;   in Loop: Header=BB111_7 Depth=2
	s_andn2_saveexec_b64 s[30:31], s[30:31]
	s_cbranch_execz .LBB111_14
; %bb.13:                               ;   in Loop: Header=BB111_7 Depth=2
	v_mov_b32_e32 v2, v0
	v_mov_b32_e32 v3, v0
	ds_write_b128 v62, v[0:3]
.LBB111_14:                             ;   in Loop: Header=BB111_7 Depth=2
	s_or_b64 exec, exec, s[30:31]
.LBB111_15:                             ;   in Loop: Header=BB111_7 Depth=2
	s_or_b64 exec, exec, s[16:17]
	v_cmp_eq_u64_e64 s[16:17], s[18:19], v[24:25]
	s_and_b64 s[30:31], s[36:37], s[16:17]
	v_cmp_gt_i64_e64 s[16:17], v[18:19], v[4:5]
	s_or_b64 s[12:13], s[12:13], s[16:17]
	s_or_b64 s[12:13], s[12:13], s[30:31]
	;; [unrolled: 1-line block ×3, first 2 shown]
	s_xor_b64 s[12:13], s[12:13], -1
	s_and_saveexec_b64 s[16:17], s[12:13]
	s_xor_b64 s[12:13], exec, s[16:17]
	s_cbranch_execz .LBB111_17
; %bb.16:                               ;   in Loop: Header=BB111_7 Depth=2
	global_load_dwordx4 v[6:9], v[6:7], off
	s_waitcnt vmcnt(0)
	ds_write2_b64 v63, v[6:7], v[8:9] offset1:1
.LBB111_17:                             ;   in Loop: Header=BB111_7 Depth=2
	s_andn2_saveexec_b64 s[12:13], s[12:13]
	s_cbranch_execz .LBB111_23
; %bb.18:                               ;   in Loop: Header=BB111_7 Depth=2
	s_xor_b64 s[16:17], s[30:31], -1
	s_and_saveexec_b64 s[30:31], s[16:17]
	s_xor_b64 s[16:17], exec, s[30:31]
	s_cbranch_execz .LBB111_20
; %bb.19:                               ;   in Loop: Header=BB111_7 Depth=2
	v_mov_b32_e32 v6, v0
	v_mov_b32_e32 v7, v0
	;; [unrolled: 1-line block ×4, first 2 shown]
	ds_write_b128 v63, v[6:9]
.LBB111_20:                             ;   in Loop: Header=BB111_7 Depth=2
	s_andn2_saveexec_b64 s[16:17], s[16:17]
	s_cbranch_execz .LBB111_22
; %bb.21:                               ;   in Loop: Header=BB111_7 Depth=2
	v_mov_b32_e32 v2, v0
	v_mov_b32_e32 v3, v0
	ds_write_b128 v63, v[0:3]
.LBB111_22:                             ;   in Loop: Header=BB111_7 Depth=2
	s_or_b64 exec, exec, s[16:17]
.LBB111_23:                             ;   in Loop: Header=BB111_7 Depth=2
	s_or_b64 exec, exec, s[12:13]
	v_add_co_u32_e64 v2, s[12:13], 16, v4
	v_addc_co_u32_e64 v3, s[12:13], 0, v5, s[12:13]
	v_cmp_eq_u64_e64 s[16:17], s[18:19], v[26:27]
	v_cmp_le_i64_e64 s[12:13], s[38:39], v[2:3]
	s_and_b64 s[30:31], s[36:37], s[16:17]
	v_cmp_lt_i64_e64 s[16:17], v[2:3], v[16:17]
	s_or_b64 s[16:17], s[12:13], s[16:17]
	s_or_b64 s[16:17], s[16:17], s[30:31]
	;; [unrolled: 1-line block ×3, first 2 shown]
	s_xor_b64 s[16:17], s[16:17], -1
	s_and_saveexec_b64 s[48:49], s[16:17]
	s_xor_b64 s[48:49], exec, s[48:49]
	s_cbranch_execz .LBB111_25
; %bb.24:                               ;   in Loop: Header=BB111_7 Depth=2
	v_add_co_u32_e64 v2, s[16:17], v40, v28
	v_addc_co_u32_e64 v3, s[16:17], v41, v29, s[16:17]
	global_load_dwordx4 v[2:5], v[2:3], off
	s_waitcnt vmcnt(0)
	ds_write2_b64 v64, v[2:3], v[4:5] offset1:1
.LBB111_25:                             ;   in Loop: Header=BB111_7 Depth=2
	s_andn2_saveexec_b64 s[16:17], s[48:49]
	s_cbranch_execz .LBB111_31
; %bb.26:                               ;   in Loop: Header=BB111_7 Depth=2
	s_xor_b64 s[30:31], s[30:31], -1
	s_and_saveexec_b64 s[48:49], s[30:31]
	s_xor_b64 s[30:31], exec, s[48:49]
	s_cbranch_execz .LBB111_28
; %bb.27:                               ;   in Loop: Header=BB111_7 Depth=2
	v_mov_b32_e32 v2, v0
	v_mov_b32_e32 v3, v0
	v_mov_b32_e32 v4, v0
	v_mov_b32_e32 v5, v0
	ds_write_b128 v64, v[2:5]
.LBB111_28:                             ;   in Loop: Header=BB111_7 Depth=2
	s_andn2_saveexec_b64 s[30:31], s[30:31]
	s_cbranch_execz .LBB111_30
; %bb.29:                               ;   in Loop: Header=BB111_7 Depth=2
	v_mov_b32_e32 v2, v0
	v_mov_b32_e32 v3, v0
	ds_write_b128 v64, v[0:3]
.LBB111_30:                             ;   in Loop: Header=BB111_7 Depth=2
	s_or_b64 exec, exec, s[30:31]
.LBB111_31:                             ;   in Loop: Header=BB111_7 Depth=2
	s_or_b64 exec, exec, s[16:17]
	s_or_b64 s[12:13], s[12:13], vcc
	s_or_b64 s[12:13], s[12:13], s[22:23]
	s_or_b64 s[12:13], s[2:3], s[12:13]
	s_xor_b64 s[12:13], s[12:13], -1
	s_and_saveexec_b64 s[16:17], s[12:13]
	s_xor_b64 s[12:13], exec, s[16:17]
	s_cbranch_execz .LBB111_33
; %bb.32:                               ;   in Loop: Header=BB111_7 Depth=2
	v_add_co_u32_e32 v2, vcc, v40, v28
	v_addc_co_u32_e32 v3, vcc, v41, v29, vcc
	global_load_dwordx4 v[2:5], v[2:3], off offset:256
	s_waitcnt vmcnt(0)
	ds_write2_b64 v65, v[2:3], v[4:5] offset1:1
.LBB111_33:                             ;   in Loop: Header=BB111_7 Depth=2
	s_andn2_saveexec_b64 s[12:13], s[12:13]
	s_cbranch_execz .LBB111_39
; %bb.34:                               ;   in Loop: Header=BB111_7 Depth=2
	s_and_saveexec_b64 s[16:17], s[20:21]
	s_xor_b64 s[16:17], exec, s[16:17]
	s_cbranch_execz .LBB111_36
; %bb.35:                               ;   in Loop: Header=BB111_7 Depth=2
	v_mov_b32_e32 v2, v0
	v_mov_b32_e32 v3, v0
	;; [unrolled: 1-line block ×4, first 2 shown]
	ds_write_b128 v65, v[2:5]
.LBB111_36:                             ;   in Loop: Header=BB111_7 Depth=2
	s_andn2_saveexec_b64 s[16:17], s[16:17]
	s_cbranch_execz .LBB111_38
; %bb.37:                               ;   in Loop: Header=BB111_7 Depth=2
	v_mov_b32_e32 v2, v0
	v_mov_b32_e32 v3, v0
	ds_write_b128 v65, v[0:3]
.LBB111_38:                             ;   in Loop: Header=BB111_7 Depth=2
	s_or_b64 exec, exec, s[16:17]
.LBB111_39:                             ;   in Loop: Header=BB111_7 Depth=2
	s_or_b64 exec, exec, s[12:13]
	v_mov_b32_e32 v3, s19
	v_add_co_u32_e32 v2, vcc, s18, v16
	v_addc_co_u32_e32 v3, vcc, v17, v3, vcc
	v_cmp_gt_i64_e32 vcc, s[38:39], v[2:3]
	s_and_b64 s[12:13], s[8:9], vcc
	s_xor_b64 s[12:13], s[12:13], -1
	s_and_saveexec_b64 s[16:17], s[12:13]
	s_xor_b64 s[12:13], exec, s[16:17]
	s_cbranch_execz .LBB111_41
; %bb.40:                               ;   in Loop: Header=BB111_7 Depth=2
	v_mov_b32_e32 v4, v0
	v_mov_b32_e32 v5, v0
	;; [unrolled: 1-line block ×4, first 2 shown]
	ds_write_b128 v67, v[4:7]
.LBB111_41:                             ;   in Loop: Header=BB111_7 Depth=2
	s_or_saveexec_b64 s[16:17], s[12:13]
	v_add_co_u32_e64 v4, s[12:13], v36, v28
	v_addc_co_u32_e64 v5, s[12:13], v37, v29, s[12:13]
	s_xor_b64 exec, exec, s[16:17]
	s_cbranch_execz .LBB111_43
; %bb.42:                               ;   in Loop: Header=BB111_7 Depth=2
	global_load_dwordx4 v[6:9], v[4:5], off offset:-256
	s_waitcnt vmcnt(0)
	ds_write2_b64 v67, v[6:7], v[8:9] offset1:1
.LBB111_43:                             ;   in Loop: Header=BB111_7 Depth=2
	s_or_b64 exec, exec, s[16:17]
	v_cmp_gt_i64_e64 s[12:13], s[52:53], v[2:3]
	s_and_b64 s[16:17], s[8:9], s[12:13]
	s_xor_b64 s[16:17], s[16:17], -1
	s_and_saveexec_b64 s[20:21], s[16:17]
	s_xor_b64 s[16:17], exec, s[20:21]
	s_cbranch_execz .LBB111_45
; %bb.44:                               ;   in Loop: Header=BB111_7 Depth=2
	v_mov_b32_e32 v2, v0
	v_mov_b32_e32 v3, v0
	;; [unrolled: 1-line block ×4, first 2 shown]
	ds_write_b128 v68, v[2:5]
                                        ; implicit-def: $vgpr4_vgpr5
.LBB111_45:                             ;   in Loop: Header=BB111_7 Depth=2
	s_andn2_saveexec_b64 s[16:17], s[16:17]
	s_cbranch_execz .LBB111_47
; %bb.46:                               ;   in Loop: Header=BB111_7 Depth=2
	global_load_dwordx4 v[2:5], v[4:5], off
	s_waitcnt vmcnt(0)
	ds_write2_b64 v68, v[2:3], v[4:5] offset1:1
.LBB111_47:                             ;   in Loop: Header=BB111_7 Depth=2
	s_or_b64 exec, exec, s[16:17]
	s_and_b64 s[16:17], s[10:11], vcc
	s_xor_b64 s[16:17], s[16:17], -1
	s_and_saveexec_b64 s[20:21], s[16:17]
	s_xor_b64 s[16:17], exec, s[20:21]
	s_cbranch_execz .LBB111_49
; %bb.48:                               ;   in Loop: Header=BB111_7 Depth=2
	v_mov_b32_e32 v2, v0
	v_mov_b32_e32 v3, v0
	v_mov_b32_e32 v4, v0
	v_mov_b32_e32 v5, v0
	ds_write_b128 v69, v[2:5]
.LBB111_49:                             ;   in Loop: Header=BB111_7 Depth=2
	s_andn2_saveexec_b64 s[16:17], s[16:17]
	s_cbranch_execz .LBB111_51
; %bb.50:                               ;   in Loop: Header=BB111_7 Depth=2
	v_add_co_u32_e32 v2, vcc, v38, v28
	v_addc_co_u32_e32 v3, vcc, v39, v29, vcc
	global_load_dwordx4 v[2:5], v[2:3], off offset:-256
	s_waitcnt vmcnt(0)
	ds_write2_b64 v69, v[2:3], v[4:5] offset1:1
.LBB111_51:                             ;   in Loop: Header=BB111_7 Depth=2
	s_or_b64 exec, exec, s[16:17]
	s_and_b64 s[12:13], s[10:11], s[12:13]
	s_xor_b64 s[12:13], s[12:13], -1
	s_and_saveexec_b64 s[16:17], s[12:13]
	s_xor_b64 s[12:13], exec, s[16:17]
	s_cbranch_execz .LBB111_53
; %bb.52:                               ;   in Loop: Header=BB111_7 Depth=2
	v_mov_b32_e32 v2, v0
	v_mov_b32_e32 v3, v0
	;; [unrolled: 1-line block ×4, first 2 shown]
	ds_write_b128 v70, v[2:5]
.LBB111_53:                             ;   in Loop: Header=BB111_7 Depth=2
	s_andn2_saveexec_b64 s[12:13], s[12:13]
	s_cbranch_execz .LBB111_6
; %bb.54:                               ;   in Loop: Header=BB111_7 Depth=2
	v_add_co_u32_e32 v2, vcc, v38, v28
	v_addc_co_u32_e32 v3, vcc, v39, v29, vcc
	global_load_dwordx4 v[2:5], v[2:3], off
	s_waitcnt vmcnt(0)
	ds_write2_b64 v70, v[2:3], v[4:5] offset1:1
	s_branch .LBB111_6
.LBB111_55:                             ;   in Loop: Header=BB111_4 Depth=1
	v_mul_lo_u32 v4, v72, s40
	v_mul_lo_u32 v5, v71, s41
	v_mad_u64_u32 v[2:3], s[8:9], v71, s40, 0
	v_add3_u32 v3, v3, v5, v4
	v_lshlrev_b64 v[2:3], 4, v[2:3]
	v_mov_b32_e32 v4, s54
	v_add_co_u32_e64 v2, s[8:9], s51, v2
	v_cmp_gt_i32_e32 vcc, s50, v71
	v_addc_co_u32_e64 v3, s[8:9], v4, v3, s[8:9]
	s_and_b64 s[8:9], s[4:5], vcc
	s_and_saveexec_b64 s[10:11], s[8:9]
	s_cbranch_execz .LBB111_57
; %bb.56:                               ;   in Loop: Header=BB111_4 Depth=1
	v_add_co_u32_e64 v8, s[8:9], v2, v28
	v_addc_co_u32_e64 v9, s[8:9], v3, v29, s[8:9]
	global_load_dwordx4 v[4:7], v[8:9], off
	v_mul_f64 v[10:11], s[46:47], v[58:59]
	v_mul_f64 v[12:13], s[44:45], v[58:59]
	v_fma_f64 v[10:11], s[44:45], v[56:57], -v[10:11]
	v_fmac_f64_e32 v[12:13], s[46:47], v[56:57]
	s_waitcnt vmcnt(0)
	v_add_f64 v[4:5], v[4:5], v[10:11]
	v_add_f64 v[6:7], v[6:7], v[12:13]
	global_store_dwordx4 v[8:9], v[4:7], off
.LBB111_57:                             ;   in Loop: Header=BB111_4 Depth=1
	s_or_b64 exec, exec, s[10:11]
	s_and_b64 s[10:11], s[14:15], vcc
	s_and_saveexec_b64 s[8:9], s[10:11]
	s_cbranch_execz .LBB111_59
; %bb.58:                               ;   in Loop: Header=BB111_4 Depth=1
	v_lshlrev_b64 v[4:5], 4, v[20:21]
	v_add_co_u32_e32 v6, vcc, v2, v4
	v_addc_co_u32_e32 v7, vcc, v3, v5, vcc
	global_load_dwordx4 v[2:5], v[6:7], off
	v_mul_f64 v[8:9], s[46:47], v[54:55]
	v_mul_f64 v[10:11], s[44:45], v[54:55]
	v_fma_f64 v[8:9], s[44:45], v[52:53], -v[8:9]
	v_fmac_f64_e32 v[10:11], s[46:47], v[52:53]
	s_waitcnt vmcnt(0)
	v_add_f64 v[2:3], v[2:3], v[8:9]
	v_add_f64 v[4:5], v[4:5], v[10:11]
	global_store_dwordx4 v[6:7], v[2:5], off
.LBB111_59:                             ;   in Loop: Header=BB111_4 Depth=1
	s_or_b64 exec, exec, s[8:9]
	v_add_u32_e32 v2, 16, v71
	v_ashrrev_i32_e32 v3, 31, v2
	v_cmp_gt_i32_e32 vcc, s50, v2
	v_mul_lo_u32 v4, v3, s40
	v_mul_lo_u32 v5, v2, s41
	v_mad_u64_u32 v[2:3], s[8:9], v2, s40, 0
	v_add3_u32 v3, v3, v5, v4
	v_lshlrev_b64 v[2:3], 4, v[2:3]
	v_mov_b32_e32 v4, s54
	v_add_co_u32_e64 v2, s[8:9], s51, v2
	v_addc_co_u32_e64 v3, s[8:9], v4, v3, s[8:9]
	s_and_b64 s[8:9], s[4:5], vcc
	s_and_saveexec_b64 s[10:11], s[8:9]
	s_cbranch_execz .LBB111_61
; %bb.60:                               ;   in Loop: Header=BB111_4 Depth=1
	v_add_co_u32_e64 v8, s[8:9], v2, v28
	v_addc_co_u32_e64 v9, s[8:9], v3, v29, s[8:9]
	global_load_dwordx4 v[4:7], v[8:9], off
	v_mul_f64 v[10:11], s[46:47], v[50:51]
	v_mul_f64 v[12:13], s[44:45], v[50:51]
	v_fma_f64 v[10:11], s[44:45], v[48:49], -v[10:11]
	v_fmac_f64_e32 v[12:13], s[46:47], v[48:49]
	s_waitcnt vmcnt(0)
	v_add_f64 v[4:5], v[4:5], v[10:11]
	v_add_f64 v[6:7], v[6:7], v[12:13]
	global_store_dwordx4 v[8:9], v[4:7], off
.LBB111_61:                             ;   in Loop: Header=BB111_4 Depth=1
	s_or_b64 exec, exec, s[10:11]
	s_and_b64 s[10:11], s[14:15], vcc
	s_and_saveexec_b64 s[8:9], s[10:11]
	s_cbranch_execz .LBB111_3
; %bb.62:                               ;   in Loop: Header=BB111_4 Depth=1
	v_lshlrev_b64 v[4:5], 4, v[20:21]
	v_add_co_u32_e32 v6, vcc, v2, v4
	v_addc_co_u32_e32 v7, vcc, v3, v5, vcc
	global_load_dwordx4 v[2:5], v[6:7], off
	v_mul_f64 v[8:9], s[46:47], v[44:45]
	v_mul_f64 v[10:11], s[44:45], v[44:45]
	v_fma_f64 v[8:9], s[44:45], v[46:47], -v[8:9]
	v_fmac_f64_e32 v[10:11], s[46:47], v[46:47]
	s_waitcnt vmcnt(0)
	v_add_f64 v[2:3], v[2:3], v[8:9]
	v_add_f64 v[4:5], v[4:5], v[10:11]
	global_store_dwordx4 v[6:7], v[2:5], off
	s_branch .LBB111_3
.LBB111_63:
	s_endpgm
	.section	.rodata,"a",@progbits
	.p2align	6, 0x0
	.amdhsa_kernel _ZL30rocblas_trmm_outofplace_kernelI19rocblas_complex_numIdELi32ELi2ELb1ELb1ELb0ELb0ES1_KS1_S1_Ev17rocblas_diagonal_iiT6_lPT7_lllS6_lllPT8_llli
		.amdhsa_group_segment_fixed_size 32768
		.amdhsa_private_segment_fixed_size 0
		.amdhsa_kernarg_size 400
		.amdhsa_user_sgpr_count 6
		.amdhsa_user_sgpr_private_segment_buffer 1
		.amdhsa_user_sgpr_dispatch_ptr 0
		.amdhsa_user_sgpr_queue_ptr 0
		.amdhsa_user_sgpr_kernarg_segment_ptr 1
		.amdhsa_user_sgpr_dispatch_id 0
		.amdhsa_user_sgpr_flat_scratch_init 0
		.amdhsa_user_sgpr_kernarg_preload_length 0
		.amdhsa_user_sgpr_kernarg_preload_offset 0
		.amdhsa_user_sgpr_private_segment_size 0
		.amdhsa_uses_dynamic_stack 0
		.amdhsa_system_sgpr_private_segment_wavefront_offset 0
		.amdhsa_system_sgpr_workgroup_id_x 1
		.amdhsa_system_sgpr_workgroup_id_y 1
		.amdhsa_system_sgpr_workgroup_id_z 1
		.amdhsa_system_sgpr_workgroup_info 0
		.amdhsa_system_vgpr_workitem_id 1
		.amdhsa_next_free_vgpr 92
		.amdhsa_next_free_sgpr 59
		.amdhsa_accum_offset 92
		.amdhsa_reserve_vcc 1
		.amdhsa_reserve_flat_scratch 0
		.amdhsa_float_round_mode_32 0
		.amdhsa_float_round_mode_16_64 0
		.amdhsa_float_denorm_mode_32 3
		.amdhsa_float_denorm_mode_16_64 3
		.amdhsa_dx10_clamp 1
		.amdhsa_ieee_mode 1
		.amdhsa_fp16_overflow 0
		.amdhsa_tg_split 0
		.amdhsa_exception_fp_ieee_invalid_op 0
		.amdhsa_exception_fp_denorm_src 0
		.amdhsa_exception_fp_ieee_div_zero 0
		.amdhsa_exception_fp_ieee_overflow 0
		.amdhsa_exception_fp_ieee_underflow 0
		.amdhsa_exception_fp_ieee_inexact 0
		.amdhsa_exception_int_div_zero 0
	.end_amdhsa_kernel
	.section	.text._ZL30rocblas_trmm_outofplace_kernelI19rocblas_complex_numIdELi32ELi2ELb1ELb1ELb0ELb0ES1_KS1_S1_Ev17rocblas_diagonal_iiT6_lPT7_lllS6_lllPT8_llli,"axG",@progbits,_ZL30rocblas_trmm_outofplace_kernelI19rocblas_complex_numIdELi32ELi2ELb1ELb1ELb0ELb0ES1_KS1_S1_Ev17rocblas_diagonal_iiT6_lPT7_lllS6_lllPT8_llli,comdat
.Lfunc_end111:
	.size	_ZL30rocblas_trmm_outofplace_kernelI19rocblas_complex_numIdELi32ELi2ELb1ELb1ELb0ELb0ES1_KS1_S1_Ev17rocblas_diagonal_iiT6_lPT7_lllS6_lllPT8_llli, .Lfunc_end111-_ZL30rocblas_trmm_outofplace_kernelI19rocblas_complex_numIdELi32ELi2ELb1ELb1ELb0ELb0ES1_KS1_S1_Ev17rocblas_diagonal_iiT6_lPT7_lllS6_lllPT8_llli
                                        ; -- End function
	.section	.AMDGPU.csdata,"",@progbits
; Kernel info:
; codeLenInByte = 9520
; NumSgprs: 63
; NumVgprs: 92
; NumAgprs: 0
; TotalNumVgprs: 92
; ScratchSize: 0
; MemoryBound: 0
; FloatMode: 240
; IeeeMode: 1
; LDSByteSize: 32768 bytes/workgroup (compile time only)
; SGPRBlocks: 7
; VGPRBlocks: 11
; NumSGPRsForWavesPerEU: 63
; NumVGPRsForWavesPerEU: 92
; AccumOffset: 92
; Occupancy: 5
; WaveLimiterHint : 0
; COMPUTE_PGM_RSRC2:SCRATCH_EN: 0
; COMPUTE_PGM_RSRC2:USER_SGPR: 6
; COMPUTE_PGM_RSRC2:TRAP_HANDLER: 0
; COMPUTE_PGM_RSRC2:TGID_X_EN: 1
; COMPUTE_PGM_RSRC2:TGID_Y_EN: 1
; COMPUTE_PGM_RSRC2:TGID_Z_EN: 1
; COMPUTE_PGM_RSRC2:TIDIG_COMP_CNT: 1
; COMPUTE_PGM_RSRC3_GFX90A:ACCUM_OFFSET: 22
; COMPUTE_PGM_RSRC3_GFX90A:TG_SPLIT: 0
	.section	.text._ZL30rocblas_trmm_outofplace_kernelI19rocblas_complex_numIdELi32ELi2ELb1ELb0ELb1ELb0EPKS1_S2_S1_Ev17rocblas_diagonal_iiT6_lPT7_lllS7_lllPT8_llli,"axG",@progbits,_ZL30rocblas_trmm_outofplace_kernelI19rocblas_complex_numIdELi32ELi2ELb1ELb0ELb1ELb0EPKS1_S2_S1_Ev17rocblas_diagonal_iiT6_lPT7_lllS7_lllPT8_llli,comdat
	.globl	_ZL30rocblas_trmm_outofplace_kernelI19rocblas_complex_numIdELi32ELi2ELb1ELb0ELb1ELb0EPKS1_S2_S1_Ev17rocblas_diagonal_iiT6_lPT7_lllS7_lllPT8_llli ; -- Begin function _ZL30rocblas_trmm_outofplace_kernelI19rocblas_complex_numIdELi32ELi2ELb1ELb0ELb1ELb0EPKS1_S2_S1_Ev17rocblas_diagonal_iiT6_lPT7_lllS7_lllPT8_llli
	.p2align	8
	.type	_ZL30rocblas_trmm_outofplace_kernelI19rocblas_complex_numIdELi32ELi2ELb1ELb0ELb1ELb0EPKS1_S2_S1_Ev17rocblas_diagonal_iiT6_lPT7_lllS7_lllPT8_llli,@function
_ZL30rocblas_trmm_outofplace_kernelI19rocblas_complex_numIdELi32ELi2ELb1ELb0ELb1ELb0EPKS1_S2_S1_Ev17rocblas_diagonal_iiT6_lPT7_lllS7_lllPT8_llli: ; @_ZL30rocblas_trmm_outofplace_kernelI19rocblas_complex_numIdELi32ELi2ELb1ELb0ELb1ELb0EPKS1_S2_S1_Ev17rocblas_diagonal_iiT6_lPT7_lllS7_lllPT8_llli
; %bb.0:
	s_load_dwordx16 s[12:27], s[4:5], 0x10
	s_waitcnt lgkmcnt(0)
	s_mul_i32 s0, s8, s15
	s_mul_hi_u32 s1, s8, s14
	s_add_i32 s1, s1, s0
	s_mul_i32 s0, s8, s14
	s_lshl_b64 s[0:1], s[0:1], 4
	s_add_u32 s0, s12, s0
	s_addc_u32 s1, s13, s1
	s_load_dwordx4 s[28:31], s[0:1], 0x0
	s_waitcnt lgkmcnt(0)
	v_cmp_eq_f64_e64 s[0:1], s[28:29], 0
	v_cmp_eq_f64_e64 s[2:3], s[30:31], 0
	s_and_b64 s[0:1], s[0:1], s[2:3]
	s_and_b64 vcc, exec, s[0:1]
	s_cbranch_vccnz .LBB112_63
; %bb.1:
	s_load_dwordx4 s[44:47], s[4:5], 0x0
	s_waitcnt lgkmcnt(0)
	s_add_i32 s0, s46, -1
	s_ashr_i32 s1, s0, 31
	s_lshr_b32 s1, s1, 27
	s_add_i32 s0, s0, s1
	s_ashr_i32 s33, s0, 5
	s_cmp_gt_i32 s7, s33
	s_cbranch_scc1 .LBB112_63
; %bb.2:
	s_load_dwordx4 s[48:51], s[4:5], 0x70
	s_load_dwordx8 s[36:43], s[4:5], 0x50
	s_load_dword s47, s[4:5], 0x8c
	v_bfe_u32 v54, v0, 10, 10
	v_and_b32_e32 v0, 0x3ff, v0
	s_movk_i32 s54, 0x100
	s_waitcnt lgkmcnt(0)
	s_mul_i32 s0, s8, s51
	s_mul_hi_u32 s1, s8, s50
	s_add_i32 s1, s1, s0
	s_mul_i32 s0, s8, s50
	s_lshl_b64 s[0:1], s[0:1], 4
	s_add_u32 s2, s40, s0
	s_addc_u32 s3, s41, s1
	s_lshl_b64 s[0:1], s[42:43], 4
	s_add_u32 s52, s2, s0
	s_addc_u32 s53, s3, s1
	s_lshl_b32 s0, s6, 5
	v_add_u32_e32 v16, s0, v0
	s_sub_i32 s6, s45, s0
	v_ashrrev_i32_e32 v17, 31, v16
	s_cmp_gt_i32 s6, 0
	v_add_co_u32_e32 v18, vcc, 16, v16
	v_add_u32_e32 v14, s0, v54
	s_cselect_b64 s[34:35], -1, 0
	s_cmpk_eq_i32 s44, 0x84
	v_addc_co_u32_e32 v19, vcc, 0, v17, vcc
	v_ashrrev_i32_e32 v15, 31, v14
	s_cselect_b64 s[40:41], -1, 0
	s_ashr_i32 s43, s45, 31
	s_ashr_i32 s44, s46, 31
	v_sub_co_u32_e32 v22, vcc, v16, v14
	s_add_u32 s50, s45, -16
	v_subb_co_u32_e32 v23, vcc, v17, v15, vcc
	s_mul_i32 s9, s39, s8
	s_mul_hi_u32 s10, s38, s8
	s_addc_u32 s51, s43, -1
	v_add_co_u32_e32 v24, vcc, 16, v22
	s_add_i32 s11, s10, s9
	s_mul_i32 s10, s38, s8
	v_addc_co_u32_e32 v25, vcc, 0, v23, vcc
	s_lshl_b64 s[10:11], s[10:11], 4
	s_lshl_b64 s[12:13], s[26:27], 4
	v_add_co_u32_e32 v26, vcc, -16, v22
	s_add_u32 s9, s10, s12
	v_addc_co_u32_e32 v27, vcc, -1, v23, vcc
	s_addc_u32 s10, s11, s13
	v_lshlrev_b64 v[28:29], 4, v[16:17]
	s_add_u32 s9, s24, s9
	v_add_co_u32_e32 v4, vcc, s54, v28
	s_addc_u32 s10, s25, s10
	v_addc_co_u32_e32 v2, vcc, 0, v29, vcc
	v_lshlrev_b32_e32 v1, 9, v54
	v_lshlrev_b32_e32 v55, 4, v0
	v_mov_b32_e32 v0, s10
	v_add_co_u32_e32 v30, vcc, s9, v4
	v_add_u32_e32 v56, v55, v1
	v_add_u32_e32 v60, 0x4000, v1
	v_addc_co_u32_e32 v31, vcc, v2, v0, vcc
	v_mad_u64_u32 v[0:1], s[10:11], s20, v16, 0
	s_mul_i32 s9, s23, s8
	s_mul_hi_u32 s10, s22, s8
	v_add_u32_e32 v20, 16, v16
	s_add_i32 s9, s10, s9
	s_mul_i32 s8, s22, s8
	s_mov_b32 s42, s45
	v_cmp_le_i32_e64 s[0:1], s45, v16
	v_cmp_gt_i32_e64 s[4:5], s45, v16
	v_cmp_gt_i32_e64 s[14:15], s45, v20
	s_lshl_b64 s[24:25], s[36:37], 4
	s_lshl_b32 s45, s47, 5
	v_mul_lo_u32 v3, s20, v17
	v_mul_lo_u32 v5, s21, v16
	s_lshl_b64 s[8:9], s[8:9], 4
	s_lshl_b64 s[10:11], s[18:19], 4
	v_add3_u32 v1, v1, v3, v5
	s_add_u32 s8, s10, s8
	v_lshlrev_b64 v[0:1], 4, v[0:1]
	s_addc_u32 s9, s11, s9
	v_mov_b32_e32 v3, s9
	v_add_co_u32_e32 v5, vcc, s8, v0
	v_addc_co_u32_e32 v3, vcc, v3, v1, vcc
	v_lshlrev_b64 v[0:1], 4, v[14:15]
	v_add_co_u32_e32 v5, vcc, v5, v0
	v_addc_co_u32_e32 v3, vcc, v3, v1, vcc
	v_mov_b32_e32 v6, s17
	v_add_co_u32_e32 v5, vcc, s16, v5
	v_addc_co_u32_e32 v3, vcc, v3, v6, vcc
	v_add_co_u32_e32 v65, vcc, s54, v5
	v_addc_co_u32_e32 v66, vcc, 0, v3, vcc
	v_mul_lo_u32 v5, s20, v2
	v_pk_mov_b32 v[2:3], s[8:9], s[8:9] op_sel:[0,1]
	v_mul_lo_u32 v6, s21, v4
	v_mad_u64_u32 v[2:3], s[8:9], s20, v4, v[2:3]
	v_add3_u32 v3, v6, v3, v5
	v_add_co_u32_e32 v0, vcc, v2, v0
	v_addc_co_u32_e32 v1, vcc, v3, v1, vcc
	v_add_u32_e32 v61, v60, v55
	v_mov_b32_e32 v2, s17
	v_add_co_u32_e32 v67, vcc, s16, v0
	v_cmp_le_i64_e64 s[2:3], s[42:43], v[18:19]
	v_add_u32_e32 v57, 0x100, v56
	v_add_u32_e32 v58, 0x2000, v56
	;; [unrolled: 1-line block ×6, first 2 shown]
	v_ashrrev_i32_e32 v21, 31, v20
	v_lshl_add_u32 v32, s7, 5, v54
	v_addc_co_u32_e32 v68, vcc, v2, v1, vcc
	v_mov_b32_e32 v0, 0
	v_mov_b32_e32 v1, 0x3ff00000
	s_branch .LBB112_4
.LBB112_3:                              ;   in Loop: Header=BB112_4 Depth=1
	s_or_b64 exec, exec, s[8:9]
	s_add_i32 s7, s47, s7
	s_cmp_le_i32 s7, s33
	v_add_u32_e32 v32, s45, v32
	s_cbranch_scc0 .LBB112_63
.LBB112_4:                              ; =>This Loop Header: Depth=1
                                        ;     Child Loop BB112_7 Depth 2
	v_lshl_add_u32 v69, s7, 5, v54
	v_pk_mov_b32 v[50:51], 0, 0
	v_ashrrev_i32_e32 v70, 31, v69
	s_mov_b64 s[18:19], 0
	s_andn2_b64 vcc, exec, s[34:35]
	v_pk_mov_b32 v[52:53], v[50:51], v[50:51] op_sel:[0,1]
	v_pk_mov_b32 v[46:47], v[50:51], v[50:51] op_sel:[0,1]
	;; [unrolled: 1-line block ×7, first 2 shown]
	s_cbranch_vccnz .LBB112_55
; %bb.5:                                ;   in Loop: Header=BB112_4 Depth=1
	v_ashrrev_i32_e32 v33, 31, v32
	v_mad_u64_u32 v[34:35], s[8:9], s24, v32, v[30:31]
	v_mul_lo_u32 v2, s25, v32
	v_mul_lo_u32 v3, s24, v33
	v_add3_u32 v35, v2, v35, v3
	v_lshlrev_b64 v[2:3], 4, v[32:33]
	v_add_co_u32_e32 v2, vcc, 0x100, v2
	v_addc_co_u32_e32 v3, vcc, 0, v3, vcc
	v_mul_lo_u32 v3, s36, v3
	v_mul_lo_u32 v4, s37, v2
	v_mad_u64_u32 v[36:37], s[8:9], s36, v2, v[30:31]
	v_add3_u32 v37, v4, v37, v3
	v_mov_b32_e32 v3, s44
	v_sub_co_u32_e32 v2, vcc, s46, v69
	v_subb_co_u32_e32 v3, vcc, v3, v70, vcc
	v_pk_mov_b32 v[38:39], 0, 0
	v_cmp_lt_i64_e32 vcc, 0, v[2:3]
	v_cmp_lt_i64_e64 s[8:9], 16, v[2:3]
	s_mov_b64 s[20:21], 0
	v_pk_mov_b32 v[40:41], v[38:39], v[38:39] op_sel:[0,1]
	v_pk_mov_b32 v[44:45], v[38:39], v[38:39] op_sel:[0,1]
	;; [unrolled: 1-line block ×7, first 2 shown]
	s_branch .LBB112_7
.LBB112_6:                              ;   in Loop: Header=BB112_7 Depth=2
	s_or_b64 exec, exec, s[12:13]
	s_waitcnt lgkmcnt(0)
	s_barrier
	ds_read_b128 v[72:75], v55
	ds_read_b128 v[76:79], v60
	ds_read_b128 v[10:13], v60 offset:16
	ds_read_b128 v[6:9], v60 offset:32
	;; [unrolled: 1-line block ×4, first 2 shown]
	s_waitcnt lgkmcnt(4)
	v_mul_f64 v[84:85], v[78:79], v[74:75]
	v_fma_f64 v[84:85], v[76:77], v[72:73], -v[84:85]
	v_mul_f64 v[86:87], v[76:77], v[74:75]
	v_fmac_f64_e32 v[86:87], v[78:79], v[72:73]
	v_add_f64 v[84:85], v[50:51], v[84:85]
	s_waitcnt lgkmcnt(0)
	v_mul_f64 v[50:51], v[78:79], v[82:83]
	v_add_f64 v[86:87], v[52:53], v[86:87]
	v_fma_f64 v[88:89], v[76:77], v[80:81], -v[50:51]
	ds_read_b128 v[50:53], v60 offset:8192
	v_mul_f64 v[76:77], v[76:77], v[82:83]
	v_fmac_f64_e32 v[76:77], v[78:79], v[80:81]
	v_add_f64 v[78:79], v[46:47], v[88:89]
	v_add_f64 v[76:77], v[48:49], v[76:77]
	ds_read_b128 v[46:49], v60 offset:8208
	s_waitcnt lgkmcnt(1)
	v_mul_f64 v[88:89], v[52:53], v[74:75]
	v_fma_f64 v[88:89], v[50:51], v[72:73], -v[88:89]
	v_mul_f64 v[74:75], v[50:51], v[74:75]
	v_fmac_f64_e32 v[74:75], v[52:53], v[72:73]
	v_add_f64 v[72:73], v[42:43], v[88:89]
	v_mul_f64 v[42:43], v[52:53], v[82:83]
	v_add_f64 v[74:75], v[44:45], v[74:75]
	v_fma_f64 v[88:89], v[50:51], v[80:81], -v[42:43]
	v_mul_f64 v[50:51], v[50:51], v[82:83]
	ds_read_b128 v[42:45], v55 offset:512
	v_fmac_f64_e32 v[50:51], v[52:53], v[80:81]
	v_add_f64 v[52:53], v[40:41], v[88:89]
	v_add_f64 v[50:51], v[38:39], v[50:51]
	ds_read_b128 v[38:41], v55 offset:768
	s_waitcnt lgkmcnt(1)
	v_mul_f64 v[80:81], v[12:13], v[44:45]
	v_fma_f64 v[80:81], v[10:11], v[42:43], -v[80:81]
	v_add_f64 v[80:81], v[84:85], v[80:81]
	v_mul_f64 v[82:83], v[10:11], v[44:45]
	s_waitcnt lgkmcnt(0)
	v_mul_f64 v[84:85], v[12:13], v[40:41]
	v_fma_f64 v[84:85], v[10:11], v[38:39], -v[84:85]
	v_mul_f64 v[10:11], v[10:11], v[40:41]
	v_fmac_f64_e32 v[10:11], v[12:13], v[38:39]
	v_fmac_f64_e32 v[82:83], v[12:13], v[42:43]
	v_add_f64 v[76:77], v[76:77], v[10:11]
	v_mul_f64 v[10:11], v[48:49], v[44:45]
	v_mul_f64 v[12:13], v[46:47], v[44:45]
	v_fma_f64 v[10:11], v[46:47], v[42:43], -v[10:11]
	v_fmac_f64_e32 v[12:13], v[48:49], v[42:43]
	v_mul_f64 v[42:43], v[48:49], v[40:41]
	v_fma_f64 v[44:45], v[46:47], v[38:39], -v[42:43]
	v_mul_f64 v[46:47], v[46:47], v[40:41]
	ds_read_b128 v[40:43], v55 offset:1024
	v_fmac_f64_e32 v[46:47], v[48:49], v[38:39]
	v_add_f64 v[38:39], v[52:53], v[44:45]
	v_add_f64 v[52:53], v[50:51], v[46:47]
	ds_read_b128 v[44:47], v55 offset:1280
	s_waitcnt lgkmcnt(1)
	v_mul_f64 v[48:49], v[8:9], v[42:43]
	v_fma_f64 v[48:49], v[6:7], v[40:41], -v[48:49]
	v_mul_f64 v[50:51], v[6:7], v[42:43]
	v_add_f64 v[82:83], v[86:87], v[82:83]
	v_add_f64 v[10:11], v[72:73], v[10:11]
	v_fmac_f64_e32 v[50:51], v[8:9], v[40:41]
	v_add_f64 v[72:73], v[80:81], v[48:49]
	s_waitcnt lgkmcnt(0)
	v_mul_f64 v[48:49], v[8:9], v[46:47]
	v_add_f64 v[12:13], v[74:75], v[12:13]
	v_add_f64 v[74:75], v[82:83], v[50:51]
	v_fma_f64 v[80:81], v[6:7], v[44:45], -v[48:49]
	ds_read_b128 v[48:51], v60 offset:8224
	v_mul_f64 v[6:7], v[6:7], v[46:47]
	v_add_f64 v[78:79], v[78:79], v[84:85]
	v_fmac_f64_e32 v[6:7], v[8:9], v[44:45]
	v_add_f64 v[78:79], v[78:79], v[80:81]
	v_add_f64 v[76:77], v[76:77], v[6:7]
	ds_read_b128 v[6:9], v60 offset:8240
	s_waitcnt lgkmcnt(1)
	v_mul_f64 v[80:81], v[50:51], v[42:43]
	v_fma_f64 v[80:81], v[48:49], v[40:41], -v[80:81]
	v_mul_f64 v[42:43], v[48:49], v[42:43]
	v_add_f64 v[80:81], v[10:11], v[80:81]
	v_mul_f64 v[10:11], v[50:51], v[46:47]
	v_fmac_f64_e32 v[42:43], v[50:51], v[40:41]
	v_fma_f64 v[40:41], v[48:49], v[44:45], -v[10:11]
	v_mul_f64 v[46:47], v[48:49], v[46:47]
	v_add_f64 v[42:43], v[12:13], v[42:43]
	ds_read_b128 v[10:13], v55 offset:1536
	v_fmac_f64_e32 v[46:47], v[50:51], v[44:45]
	v_add_f64 v[44:45], v[38:39], v[40:41]
	ds_read_b128 v[38:41], v55 offset:1792
	v_add_f64 v[46:47], v[52:53], v[46:47]
	s_waitcnt lgkmcnt(1)
	v_mul_f64 v[48:49], v[4:5], v[12:13]
	v_fma_f64 v[48:49], v[2:3], v[10:11], -v[48:49]
	v_mul_f64 v[50:51], v[2:3], v[12:13]
	s_waitcnt lgkmcnt(0)
	v_mul_f64 v[52:53], v[4:5], v[40:41]
	v_fma_f64 v[52:53], v[2:3], v[38:39], -v[52:53]
	v_mul_f64 v[2:3], v[2:3], v[40:41]
	v_fmac_f64_e32 v[2:3], v[4:5], v[38:39]
	v_fmac_f64_e32 v[50:51], v[4:5], v[10:11]
	v_add_f64 v[48:49], v[72:73], v[48:49]
	v_add_f64 v[72:73], v[76:77], v[2:3]
	v_mul_f64 v[2:3], v[8:9], v[12:13]
	v_mul_f64 v[4:5], v[6:7], v[12:13]
	v_fma_f64 v[2:3], v[6:7], v[10:11], -v[2:3]
	v_fmac_f64_e32 v[4:5], v[8:9], v[10:11]
	v_mul_f64 v[10:11], v[8:9], v[40:41]
	v_mul_f64 v[40:41], v[6:7], v[40:41]
	v_add_f64 v[4:5], v[42:43], v[4:5]
	v_fma_f64 v[42:43], v[6:7], v[38:39], -v[10:11]
	v_fmac_f64_e32 v[40:41], v[8:9], v[38:39]
	ds_read_b128 v[6:9], v60 offset:64
	ds_read_b128 v[10:13], v55 offset:2048
	v_add_f64 v[50:51], v[74:75], v[50:51]
	v_add_f64 v[74:75], v[44:45], v[42:43]
	;; [unrolled: 1-line block ×3, first 2 shown]
	ds_read_b128 v[38:41], v55 offset:2304
	ds_read_b128 v[42:45], v60 offset:80
	s_waitcnt lgkmcnt(2)
	v_mul_f64 v[46:47], v[8:9], v[12:13]
	v_add_f64 v[52:53], v[78:79], v[52:53]
	v_fma_f64 v[46:47], v[6:7], v[10:11], -v[46:47]
	v_mul_f64 v[78:79], v[6:7], v[12:13]
	v_add_f64 v[2:3], v[80:81], v[2:3]
	v_fmac_f64_e32 v[78:79], v[8:9], v[10:11]
	v_add_f64 v[80:81], v[48:49], v[46:47]
	s_waitcnt lgkmcnt(1)
	v_mul_f64 v[46:47], v[8:9], v[40:41]
	v_add_f64 v[50:51], v[50:51], v[78:79]
	v_fma_f64 v[78:79], v[6:7], v[38:39], -v[46:47]
	ds_read_b128 v[46:49], v60 offset:8256
	v_mul_f64 v[6:7], v[6:7], v[40:41]
	v_fmac_f64_e32 v[6:7], v[8:9], v[38:39]
	v_add_f64 v[52:53], v[52:53], v[78:79]
	v_add_f64 v[72:73], v[72:73], v[6:7]
	ds_read_b128 v[6:9], v60 offset:8272
	s_waitcnt lgkmcnt(1)
	v_mul_f64 v[78:79], v[48:49], v[12:13]
	v_fma_f64 v[78:79], v[46:47], v[10:11], -v[78:79]
	v_mul_f64 v[12:13], v[46:47], v[12:13]
	v_fmac_f64_e32 v[12:13], v[48:49], v[10:11]
	v_add_f64 v[78:79], v[2:3], v[78:79]
	v_mul_f64 v[2:3], v[48:49], v[40:41]
	v_add_f64 v[82:83], v[4:5], v[12:13]
	v_fma_f64 v[10:11], v[46:47], v[38:39], -v[2:3]
	v_mul_f64 v[12:13], v[46:47], v[40:41]
	ds_read_b128 v[2:5], v55 offset:2560
	v_fmac_f64_e32 v[12:13], v[48:49], v[38:39]
	v_add_f64 v[38:39], v[74:75], v[10:11]
	v_add_f64 v[40:41], v[76:77], v[12:13]
	ds_read_b128 v[10:13], v55 offset:2816
	s_waitcnt lgkmcnt(1)
	v_mul_f64 v[48:49], v[42:43], v[4:5]
	v_fmac_f64_e32 v[48:49], v[44:45], v[2:3]
	v_mul_f64 v[46:47], v[44:45], v[4:5]
	v_add_f64 v[48:49], v[50:51], v[48:49]
	s_waitcnt lgkmcnt(0)
	v_mul_f64 v[50:51], v[44:45], v[12:13]
	v_fma_f64 v[46:47], v[42:43], v[2:3], -v[46:47]
	v_fma_f64 v[50:51], v[42:43], v[10:11], -v[50:51]
	v_mul_f64 v[42:43], v[42:43], v[12:13]
	v_fmac_f64_e32 v[42:43], v[44:45], v[10:11]
	v_add_f64 v[50:51], v[52:53], v[50:51]
	v_add_f64 v[52:53], v[72:73], v[42:43]
	v_mul_f64 v[42:43], v[8:9], v[4:5]
	v_fma_f64 v[42:43], v[6:7], v[2:3], -v[42:43]
	v_mul_f64 v[4:5], v[6:7], v[4:5]
	v_fmac_f64_e32 v[4:5], v[8:9], v[2:3]
	v_add_f64 v[2:3], v[78:79], v[42:43]
	v_mul_f64 v[42:43], v[8:9], v[12:13]
	v_mul_f64 v[44:45], v[6:7], v[12:13]
	v_fma_f64 v[42:43], v[6:7], v[10:11], -v[42:43]
	v_fmac_f64_e32 v[44:45], v[8:9], v[10:11]
	ds_read_b128 v[6:9], v60 offset:96
	ds_read_b128 v[10:13], v55 offset:3072
	v_add_f64 v[72:73], v[38:39], v[42:43]
	v_add_f64 v[74:75], v[40:41], v[44:45]
	ds_read_b128 v[38:41], v55 offset:3328
	ds_read_b128 v[42:45], v60 offset:112
	v_add_f64 v[46:47], v[80:81], v[46:47]
	s_waitcnt lgkmcnt(2)
	v_mul_f64 v[76:77], v[8:9], v[12:13]
	v_fma_f64 v[76:77], v[6:7], v[10:11], -v[76:77]
	v_mul_f64 v[78:79], v[6:7], v[12:13]
	v_fmac_f64_e32 v[78:79], v[8:9], v[10:11]
	v_add_f64 v[76:77], v[46:47], v[76:77]
	s_waitcnt lgkmcnt(1)
	v_mul_f64 v[46:47], v[8:9], v[40:41]
	v_add_f64 v[78:79], v[48:49], v[78:79]
	v_fma_f64 v[80:81], v[6:7], v[38:39], -v[46:47]
	ds_read_b128 v[46:49], v60 offset:8288
	v_mul_f64 v[6:7], v[6:7], v[40:41]
	v_fmac_f64_e32 v[6:7], v[8:9], v[38:39]
	v_add_f64 v[50:51], v[50:51], v[80:81]
	v_add_f64 v[52:53], v[52:53], v[6:7]
	ds_read_b128 v[6:9], v60 offset:8304
	s_waitcnt lgkmcnt(1)
	v_mul_f64 v[80:81], v[48:49], v[12:13]
	v_mul_f64 v[12:13], v[46:47], v[12:13]
	v_add_f64 v[4:5], v[82:83], v[4:5]
	v_fma_f64 v[80:81], v[46:47], v[10:11], -v[80:81]
	v_fmac_f64_e32 v[12:13], v[48:49], v[10:11]
	v_add_f64 v[80:81], v[2:3], v[80:81]
	v_add_f64 v[82:83], v[4:5], v[12:13]
	v_mul_f64 v[2:3], v[48:49], v[40:41]
	v_mul_f64 v[12:13], v[46:47], v[40:41]
	v_fma_f64 v[10:11], v[46:47], v[38:39], -v[2:3]
	v_fmac_f64_e32 v[12:13], v[48:49], v[38:39]
	ds_read_b128 v[2:5], v55 offset:3584
	v_add_f64 v[38:39], v[72:73], v[10:11]
	v_add_f64 v[40:41], v[74:75], v[12:13]
	ds_read_b128 v[10:13], v55 offset:3840
	s_add_u32 s20, s20, 32
	s_waitcnt lgkmcnt(1)
	v_mul_f64 v[46:47], v[44:45], v[4:5]
	v_fma_f64 v[46:47], v[42:43], v[2:3], -v[46:47]
	v_mul_f64 v[48:49], v[42:43], v[4:5]
	s_waitcnt lgkmcnt(0)
	v_mul_f64 v[72:73], v[44:45], v[12:13]
	v_fma_f64 v[72:73], v[42:43], v[10:11], -v[72:73]
	v_mul_f64 v[42:43], v[42:43], v[12:13]
	v_fmac_f64_e32 v[42:43], v[44:45], v[10:11]
	v_add_f64 v[52:53], v[52:53], v[42:43]
	v_mul_f64 v[42:43], v[8:9], v[4:5]
	v_fma_f64 v[42:43], v[6:7], v[2:3], -v[42:43]
	v_mul_f64 v[4:5], v[6:7], v[4:5]
	v_fmac_f64_e32 v[48:49], v[44:45], v[2:3]
	v_fmac_f64_e32 v[4:5], v[8:9], v[2:3]
	v_add_f64 v[2:3], v[80:81], v[42:43]
	v_mul_f64 v[42:43], v[8:9], v[12:13]
	v_mul_f64 v[44:45], v[6:7], v[12:13]
	v_fma_f64 v[42:43], v[6:7], v[10:11], -v[42:43]
	v_fmac_f64_e32 v[44:45], v[8:9], v[10:11]
	ds_read_b128 v[6:9], v60 offset:128
	ds_read_b128 v[10:13], v55 offset:4096
	v_add_f64 v[50:51], v[50:51], v[72:73]
	v_add_f64 v[72:73], v[38:39], v[42:43]
	;; [unrolled: 1-line block ×3, first 2 shown]
	ds_read_b128 v[38:41], v55 offset:4352
	ds_read_b128 v[42:45], v60 offset:144
	v_add_f64 v[46:47], v[76:77], v[46:47]
	s_waitcnt lgkmcnt(2)
	v_mul_f64 v[76:77], v[8:9], v[12:13]
	v_add_f64 v[48:49], v[78:79], v[48:49]
	v_fma_f64 v[76:77], v[6:7], v[10:11], -v[76:77]
	v_mul_f64 v[78:79], v[6:7], v[12:13]
	v_fmac_f64_e32 v[78:79], v[8:9], v[10:11]
	v_add_f64 v[76:77], v[46:47], v[76:77]
	s_waitcnt lgkmcnt(1)
	v_mul_f64 v[46:47], v[8:9], v[40:41]
	v_add_f64 v[78:79], v[48:49], v[78:79]
	v_fma_f64 v[80:81], v[6:7], v[38:39], -v[46:47]
	ds_read_b128 v[46:49], v60 offset:8320
	v_mul_f64 v[6:7], v[6:7], v[40:41]
	v_fmac_f64_e32 v[6:7], v[8:9], v[38:39]
	v_add_f64 v[50:51], v[50:51], v[80:81]
	v_add_f64 v[52:53], v[52:53], v[6:7]
	ds_read_b128 v[6:9], v60 offset:8336
	s_waitcnt lgkmcnt(1)
	v_mul_f64 v[80:81], v[48:49], v[12:13]
	v_mul_f64 v[12:13], v[46:47], v[12:13]
	v_add_f64 v[4:5], v[82:83], v[4:5]
	v_fma_f64 v[80:81], v[46:47], v[10:11], -v[80:81]
	v_fmac_f64_e32 v[12:13], v[48:49], v[10:11]
	v_add_f64 v[80:81], v[2:3], v[80:81]
	v_add_f64 v[82:83], v[4:5], v[12:13]
	v_mul_f64 v[2:3], v[48:49], v[40:41]
	v_mul_f64 v[12:13], v[46:47], v[40:41]
	v_fma_f64 v[10:11], v[46:47], v[38:39], -v[2:3]
	v_fmac_f64_e32 v[12:13], v[48:49], v[38:39]
	ds_read_b128 v[2:5], v55 offset:4608
	v_add_f64 v[38:39], v[72:73], v[10:11]
	v_add_f64 v[40:41], v[74:75], v[12:13]
	ds_read_b128 v[10:13], v55 offset:4864
	s_addc_u32 s21, s21, 0
	s_waitcnt lgkmcnt(1)
	v_mul_f64 v[46:47], v[44:45], v[4:5]
	v_fma_f64 v[46:47], v[42:43], v[2:3], -v[46:47]
	v_mul_f64 v[48:49], v[42:43], v[4:5]
	s_waitcnt lgkmcnt(0)
	v_mul_f64 v[72:73], v[44:45], v[12:13]
	v_fma_f64 v[72:73], v[42:43], v[10:11], -v[72:73]
	v_mul_f64 v[42:43], v[42:43], v[12:13]
	v_fmac_f64_e32 v[42:43], v[44:45], v[10:11]
	v_add_f64 v[52:53], v[52:53], v[42:43]
	v_mul_f64 v[42:43], v[8:9], v[4:5]
	v_fma_f64 v[42:43], v[6:7], v[2:3], -v[42:43]
	v_mul_f64 v[4:5], v[6:7], v[4:5]
	v_fmac_f64_e32 v[48:49], v[44:45], v[2:3]
	v_fmac_f64_e32 v[4:5], v[8:9], v[2:3]
	v_add_f64 v[2:3], v[80:81], v[42:43]
	v_mul_f64 v[42:43], v[8:9], v[12:13]
	v_mul_f64 v[44:45], v[6:7], v[12:13]
	v_fma_f64 v[42:43], v[6:7], v[10:11], -v[42:43]
	v_fmac_f64_e32 v[44:45], v[8:9], v[10:11]
	ds_read_b128 v[6:9], v60 offset:160
	ds_read_b128 v[10:13], v55 offset:5120
	v_add_f64 v[50:51], v[50:51], v[72:73]
	v_add_f64 v[72:73], v[38:39], v[42:43]
	;; [unrolled: 1-line block ×3, first 2 shown]
	ds_read_b128 v[38:41], v55 offset:5376
	ds_read_b128 v[42:45], v60 offset:176
	v_add_f64 v[46:47], v[76:77], v[46:47]
	s_waitcnt lgkmcnt(2)
	v_mul_f64 v[76:77], v[8:9], v[12:13]
	v_add_f64 v[48:49], v[78:79], v[48:49]
	v_fma_f64 v[76:77], v[6:7], v[10:11], -v[76:77]
	v_mul_f64 v[78:79], v[6:7], v[12:13]
	v_fmac_f64_e32 v[78:79], v[8:9], v[10:11]
	v_add_f64 v[76:77], v[46:47], v[76:77]
	s_waitcnt lgkmcnt(1)
	v_mul_f64 v[46:47], v[8:9], v[40:41]
	v_add_f64 v[78:79], v[48:49], v[78:79]
	v_fma_f64 v[80:81], v[6:7], v[38:39], -v[46:47]
	ds_read_b128 v[46:49], v60 offset:8352
	v_mul_f64 v[6:7], v[6:7], v[40:41]
	v_fmac_f64_e32 v[6:7], v[8:9], v[38:39]
	v_add_f64 v[50:51], v[50:51], v[80:81]
	v_add_f64 v[52:53], v[52:53], v[6:7]
	ds_read_b128 v[6:9], v60 offset:8368
	s_waitcnt lgkmcnt(1)
	v_mul_f64 v[80:81], v[48:49], v[12:13]
	v_mul_f64 v[12:13], v[46:47], v[12:13]
	v_add_f64 v[4:5], v[82:83], v[4:5]
	v_fma_f64 v[80:81], v[46:47], v[10:11], -v[80:81]
	v_fmac_f64_e32 v[12:13], v[48:49], v[10:11]
	v_add_f64 v[80:81], v[2:3], v[80:81]
	v_add_f64 v[82:83], v[4:5], v[12:13]
	v_mul_f64 v[2:3], v[48:49], v[40:41]
	v_mul_f64 v[12:13], v[46:47], v[40:41]
	v_fma_f64 v[10:11], v[46:47], v[38:39], -v[2:3]
	v_fmac_f64_e32 v[12:13], v[48:49], v[38:39]
	ds_read_b128 v[2:5], v55 offset:5632
	v_add_f64 v[38:39], v[72:73], v[10:11]
	v_add_f64 v[40:41], v[74:75], v[12:13]
	ds_read_b128 v[10:13], v55 offset:5888
	s_add_u32 s18, s18, 0x200
	s_waitcnt lgkmcnt(1)
	v_mul_f64 v[46:47], v[44:45], v[4:5]
	v_fma_f64 v[46:47], v[42:43], v[2:3], -v[46:47]
	v_mul_f64 v[48:49], v[42:43], v[4:5]
	s_waitcnt lgkmcnt(0)
	v_mul_f64 v[72:73], v[44:45], v[12:13]
	v_fma_f64 v[72:73], v[42:43], v[10:11], -v[72:73]
	v_mul_f64 v[42:43], v[42:43], v[12:13]
	v_fmac_f64_e32 v[42:43], v[44:45], v[10:11]
	v_add_f64 v[52:53], v[52:53], v[42:43]
	v_mul_f64 v[42:43], v[8:9], v[4:5]
	v_fma_f64 v[42:43], v[6:7], v[2:3], -v[42:43]
	v_mul_f64 v[4:5], v[6:7], v[4:5]
	v_fmac_f64_e32 v[48:49], v[44:45], v[2:3]
	v_fmac_f64_e32 v[4:5], v[8:9], v[2:3]
	v_add_f64 v[2:3], v[80:81], v[42:43]
	v_mul_f64 v[42:43], v[8:9], v[12:13]
	v_mul_f64 v[44:45], v[6:7], v[12:13]
	v_fma_f64 v[42:43], v[6:7], v[10:11], -v[42:43]
	v_fmac_f64_e32 v[44:45], v[8:9], v[10:11]
	ds_read_b128 v[6:9], v60 offset:192
	ds_read_b128 v[10:13], v55 offset:6144
	v_add_f64 v[50:51], v[50:51], v[72:73]
	v_add_f64 v[72:73], v[38:39], v[42:43]
	v_add_f64 v[74:75], v[40:41], v[44:45]
	ds_read_b128 v[38:41], v55 offset:6400
	ds_read_b128 v[42:45], v60 offset:208
	v_add_f64 v[46:47], v[76:77], v[46:47]
	s_waitcnt lgkmcnt(2)
	v_mul_f64 v[76:77], v[8:9], v[12:13]
	v_add_f64 v[48:49], v[78:79], v[48:49]
	v_fma_f64 v[76:77], v[6:7], v[10:11], -v[76:77]
	v_mul_f64 v[78:79], v[6:7], v[12:13]
	v_fmac_f64_e32 v[78:79], v[8:9], v[10:11]
	v_add_f64 v[76:77], v[46:47], v[76:77]
	s_waitcnt lgkmcnt(1)
	v_mul_f64 v[46:47], v[8:9], v[40:41]
	v_add_f64 v[78:79], v[48:49], v[78:79]
	v_fma_f64 v[80:81], v[6:7], v[38:39], -v[46:47]
	ds_read_b128 v[46:49], v60 offset:8384
	v_mul_f64 v[6:7], v[6:7], v[40:41]
	v_fmac_f64_e32 v[6:7], v[8:9], v[38:39]
	v_add_f64 v[50:51], v[50:51], v[80:81]
	v_add_f64 v[52:53], v[52:53], v[6:7]
	ds_read_b128 v[6:9], v60 offset:8400
	s_waitcnt lgkmcnt(1)
	v_mul_f64 v[80:81], v[48:49], v[12:13]
	v_mul_f64 v[12:13], v[46:47], v[12:13]
	v_add_f64 v[4:5], v[82:83], v[4:5]
	v_fma_f64 v[80:81], v[46:47], v[10:11], -v[80:81]
	v_fmac_f64_e32 v[12:13], v[48:49], v[10:11]
	v_add_f64 v[80:81], v[2:3], v[80:81]
	v_add_f64 v[82:83], v[4:5], v[12:13]
	v_mul_f64 v[2:3], v[48:49], v[40:41]
	v_mul_f64 v[12:13], v[46:47], v[40:41]
	v_fma_f64 v[10:11], v[46:47], v[38:39], -v[2:3]
	v_fmac_f64_e32 v[12:13], v[48:49], v[38:39]
	ds_read_b128 v[2:5], v55 offset:6656
	v_add_f64 v[38:39], v[72:73], v[10:11]
	v_add_f64 v[40:41], v[74:75], v[12:13]
	ds_read_b128 v[10:13], v55 offset:6912
	s_addc_u32 s19, s19, 0
	s_waitcnt lgkmcnt(1)
	v_mul_f64 v[46:47], v[44:45], v[4:5]
	v_fma_f64 v[46:47], v[42:43], v[2:3], -v[46:47]
	v_mul_f64 v[48:49], v[42:43], v[4:5]
	s_waitcnt lgkmcnt(0)
	v_mul_f64 v[72:73], v[44:45], v[12:13]
	v_fma_f64 v[72:73], v[42:43], v[10:11], -v[72:73]
	v_mul_f64 v[42:43], v[42:43], v[12:13]
	v_fmac_f64_e32 v[42:43], v[44:45], v[10:11]
	v_add_f64 v[52:53], v[52:53], v[42:43]
	v_mul_f64 v[42:43], v[8:9], v[4:5]
	v_fma_f64 v[42:43], v[6:7], v[2:3], -v[42:43]
	v_mul_f64 v[4:5], v[6:7], v[4:5]
	v_fmac_f64_e32 v[48:49], v[44:45], v[2:3]
	v_fmac_f64_e32 v[4:5], v[8:9], v[2:3]
	v_add_f64 v[2:3], v[80:81], v[42:43]
	v_mul_f64 v[42:43], v[8:9], v[12:13]
	v_mul_f64 v[44:45], v[6:7], v[12:13]
	v_fma_f64 v[42:43], v[6:7], v[10:11], -v[42:43]
	v_fmac_f64_e32 v[44:45], v[8:9], v[10:11]
	ds_read_b128 v[6:9], v60 offset:224
	ds_read_b128 v[10:13], v55 offset:7168
	v_add_f64 v[50:51], v[50:51], v[72:73]
	v_add_f64 v[72:73], v[38:39], v[42:43]
	;; [unrolled: 1-line block ×3, first 2 shown]
	ds_read_b128 v[38:41], v55 offset:7424
	ds_read_b128 v[42:45], v60 offset:240
	v_add_f64 v[46:47], v[76:77], v[46:47]
	s_waitcnt lgkmcnt(2)
	v_mul_f64 v[76:77], v[8:9], v[12:13]
	v_add_f64 v[48:49], v[78:79], v[48:49]
	v_fma_f64 v[76:77], v[6:7], v[10:11], -v[76:77]
	v_mul_f64 v[78:79], v[6:7], v[12:13]
	v_fmac_f64_e32 v[78:79], v[8:9], v[10:11]
	v_add_f64 v[76:77], v[46:47], v[76:77]
	s_waitcnt lgkmcnt(1)
	v_mul_f64 v[46:47], v[8:9], v[40:41]
	v_add_f64 v[78:79], v[48:49], v[78:79]
	v_fma_f64 v[80:81], v[6:7], v[38:39], -v[46:47]
	ds_read_b128 v[46:49], v60 offset:8416
	v_mul_f64 v[6:7], v[6:7], v[40:41]
	v_fmac_f64_e32 v[6:7], v[8:9], v[38:39]
	v_add_f64 v[50:51], v[50:51], v[80:81]
	v_add_f64 v[52:53], v[52:53], v[6:7]
	ds_read_b128 v[6:9], v60 offset:8432
	s_waitcnt lgkmcnt(1)
	v_mul_f64 v[80:81], v[48:49], v[12:13]
	v_mul_f64 v[12:13], v[46:47], v[12:13]
	v_add_f64 v[4:5], v[82:83], v[4:5]
	v_fma_f64 v[80:81], v[46:47], v[10:11], -v[80:81]
	v_fmac_f64_e32 v[12:13], v[48:49], v[10:11]
	v_add_f64 v[80:81], v[2:3], v[80:81]
	v_add_f64 v[82:83], v[4:5], v[12:13]
	v_mul_f64 v[2:3], v[48:49], v[40:41]
	v_mul_f64 v[12:13], v[46:47], v[40:41]
	v_fma_f64 v[10:11], v[46:47], v[38:39], -v[2:3]
	v_fmac_f64_e32 v[12:13], v[48:49], v[38:39]
	ds_read_b128 v[2:5], v55 offset:7680
	v_add_f64 v[38:39], v[72:73], v[10:11]
	v_add_f64 v[40:41], v[74:75], v[12:13]
	ds_read_b128 v[10:13], v55 offset:7936
	s_cmp_ge_i32 s20, s6
	s_waitcnt lgkmcnt(1)
	v_mul_f64 v[46:47], v[44:45], v[4:5]
	v_fma_f64 v[46:47], v[42:43], v[2:3], -v[46:47]
	v_mul_f64 v[48:49], v[42:43], v[4:5]
	s_waitcnt lgkmcnt(0)
	v_mul_f64 v[72:73], v[44:45], v[12:13]
	v_fma_f64 v[72:73], v[42:43], v[10:11], -v[72:73]
	v_mul_f64 v[42:43], v[42:43], v[12:13]
	v_fmac_f64_e32 v[42:43], v[44:45], v[10:11]
	v_add_f64 v[52:53], v[52:53], v[42:43]
	v_mul_f64 v[42:43], v[8:9], v[4:5]
	v_fma_f64 v[42:43], v[6:7], v[2:3], -v[42:43]
	v_mul_f64 v[4:5], v[6:7], v[4:5]
	v_fmac_f64_e32 v[48:49], v[44:45], v[2:3]
	v_fmac_f64_e32 v[4:5], v[8:9], v[2:3]
	v_add_f64 v[2:3], v[80:81], v[42:43]
	v_mul_f64 v[42:43], v[8:9], v[12:13]
	v_mul_f64 v[44:45], v[6:7], v[12:13]
	v_fma_f64 v[42:43], v[6:7], v[10:11], -v[42:43]
	v_fmac_f64_e32 v[44:45], v[8:9], v[10:11]
	ds_read_b128 v[6:9], v60 offset:256
	ds_read_b128 v[10:13], v55 offset:8192
	v_add_f64 v[50:51], v[50:51], v[72:73]
	v_add_f64 v[72:73], v[38:39], v[42:43]
	v_add_f64 v[74:75], v[40:41], v[44:45]
	ds_read_b128 v[38:41], v55 offset:8448
	ds_read_b128 v[42:45], v60 offset:272
	v_add_f64 v[46:47], v[76:77], v[46:47]
	s_waitcnt lgkmcnt(2)
	v_mul_f64 v[76:77], v[8:9], v[12:13]
	v_add_f64 v[48:49], v[78:79], v[48:49]
	v_fma_f64 v[76:77], v[6:7], v[10:11], -v[76:77]
	v_mul_f64 v[78:79], v[6:7], v[12:13]
	v_fmac_f64_e32 v[78:79], v[8:9], v[10:11]
	v_add_f64 v[76:77], v[46:47], v[76:77]
	s_waitcnt lgkmcnt(1)
	v_mul_f64 v[46:47], v[8:9], v[40:41]
	v_add_f64 v[78:79], v[48:49], v[78:79]
	v_fma_f64 v[80:81], v[6:7], v[38:39], -v[46:47]
	ds_read_b128 v[46:49], v60 offset:8448
	v_mul_f64 v[6:7], v[6:7], v[40:41]
	v_fmac_f64_e32 v[6:7], v[8:9], v[38:39]
	v_add_f64 v[50:51], v[50:51], v[80:81]
	v_add_f64 v[52:53], v[52:53], v[6:7]
	ds_read_b128 v[6:9], v60 offset:8464
	s_waitcnt lgkmcnt(1)
	v_mul_f64 v[80:81], v[48:49], v[12:13]
	v_mul_f64 v[12:13], v[46:47], v[12:13]
	v_add_f64 v[4:5], v[82:83], v[4:5]
	v_fma_f64 v[80:81], v[46:47], v[10:11], -v[80:81]
	v_fmac_f64_e32 v[12:13], v[48:49], v[10:11]
	v_add_f64 v[80:81], v[2:3], v[80:81]
	v_add_f64 v[82:83], v[4:5], v[12:13]
	v_mul_f64 v[2:3], v[48:49], v[40:41]
	v_mul_f64 v[12:13], v[46:47], v[40:41]
	v_fma_f64 v[10:11], v[46:47], v[38:39], -v[2:3]
	v_fmac_f64_e32 v[12:13], v[48:49], v[38:39]
	ds_read_b128 v[2:5], v55 offset:8704
	v_add_f64 v[38:39], v[72:73], v[10:11]
	v_add_f64 v[40:41], v[74:75], v[12:13]
	ds_read_b128 v[10:13], v55 offset:8960
	s_waitcnt lgkmcnt(1)
	v_mul_f64 v[46:47], v[44:45], v[4:5]
	v_fma_f64 v[46:47], v[42:43], v[2:3], -v[46:47]
	v_mul_f64 v[48:49], v[42:43], v[4:5]
	s_waitcnt lgkmcnt(0)
	v_mul_f64 v[72:73], v[44:45], v[12:13]
	v_fma_f64 v[72:73], v[42:43], v[10:11], -v[72:73]
	v_mul_f64 v[42:43], v[42:43], v[12:13]
	v_fmac_f64_e32 v[42:43], v[44:45], v[10:11]
	v_add_f64 v[52:53], v[52:53], v[42:43]
	v_mul_f64 v[42:43], v[8:9], v[4:5]
	v_fma_f64 v[42:43], v[6:7], v[2:3], -v[42:43]
	v_mul_f64 v[4:5], v[6:7], v[4:5]
	v_fmac_f64_e32 v[48:49], v[44:45], v[2:3]
	v_fmac_f64_e32 v[4:5], v[8:9], v[2:3]
	v_add_f64 v[2:3], v[80:81], v[42:43]
	v_mul_f64 v[42:43], v[8:9], v[12:13]
	v_mul_f64 v[44:45], v[6:7], v[12:13]
	v_fma_f64 v[42:43], v[6:7], v[10:11], -v[42:43]
	v_fmac_f64_e32 v[44:45], v[8:9], v[10:11]
	ds_read_b128 v[6:9], v60 offset:288
	ds_read_b128 v[10:13], v55 offset:9216
	v_add_f64 v[50:51], v[50:51], v[72:73]
	v_add_f64 v[72:73], v[38:39], v[42:43]
	v_add_f64 v[74:75], v[40:41], v[44:45]
	ds_read_b128 v[38:41], v55 offset:9472
	ds_read_b128 v[42:45], v60 offset:304
	v_add_f64 v[46:47], v[76:77], v[46:47]
	s_waitcnt lgkmcnt(2)
	v_mul_f64 v[76:77], v[8:9], v[12:13]
	v_add_f64 v[48:49], v[78:79], v[48:49]
	v_fma_f64 v[76:77], v[6:7], v[10:11], -v[76:77]
	v_mul_f64 v[78:79], v[6:7], v[12:13]
	v_fmac_f64_e32 v[78:79], v[8:9], v[10:11]
	v_add_f64 v[76:77], v[46:47], v[76:77]
	s_waitcnt lgkmcnt(1)
	v_mul_f64 v[46:47], v[8:9], v[40:41]
	v_add_f64 v[78:79], v[48:49], v[78:79]
	v_fma_f64 v[80:81], v[6:7], v[38:39], -v[46:47]
	ds_read_b128 v[46:49], v60 offset:8480
	v_mul_f64 v[6:7], v[6:7], v[40:41]
	v_fmac_f64_e32 v[6:7], v[8:9], v[38:39]
	v_add_f64 v[50:51], v[50:51], v[80:81]
	v_add_f64 v[52:53], v[52:53], v[6:7]
	ds_read_b128 v[6:9], v60 offset:8496
	s_waitcnt lgkmcnt(1)
	v_mul_f64 v[80:81], v[48:49], v[12:13]
	v_mul_f64 v[12:13], v[46:47], v[12:13]
	v_add_f64 v[4:5], v[82:83], v[4:5]
	v_fma_f64 v[80:81], v[46:47], v[10:11], -v[80:81]
	v_fmac_f64_e32 v[12:13], v[48:49], v[10:11]
	v_add_f64 v[80:81], v[2:3], v[80:81]
	v_add_f64 v[82:83], v[4:5], v[12:13]
	v_mul_f64 v[2:3], v[48:49], v[40:41]
	v_mul_f64 v[12:13], v[46:47], v[40:41]
	v_fma_f64 v[10:11], v[46:47], v[38:39], -v[2:3]
	v_fmac_f64_e32 v[12:13], v[48:49], v[38:39]
	ds_read_b128 v[2:5], v55 offset:9728
	v_add_f64 v[38:39], v[72:73], v[10:11]
	v_add_f64 v[40:41], v[74:75], v[12:13]
	ds_read_b128 v[10:13], v55 offset:9984
	;; [unrolled: 61-line block ×7, first 2 shown]
	s_waitcnt lgkmcnt(1)
	v_mul_f64 v[46:47], v[44:45], v[4:5]
	v_fma_f64 v[46:47], v[42:43], v[2:3], -v[46:47]
	v_mul_f64 v[48:49], v[42:43], v[4:5]
	s_waitcnt lgkmcnt(0)
	v_mul_f64 v[72:73], v[44:45], v[12:13]
	v_fma_f64 v[72:73], v[42:43], v[10:11], -v[72:73]
	v_mul_f64 v[42:43], v[42:43], v[12:13]
	v_fmac_f64_e32 v[42:43], v[44:45], v[10:11]
	v_add_f64 v[52:53], v[52:53], v[42:43]
	v_mul_f64 v[42:43], v[8:9], v[4:5]
	v_fma_f64 v[42:43], v[6:7], v[2:3], -v[42:43]
	v_mul_f64 v[4:5], v[6:7], v[4:5]
	v_fmac_f64_e32 v[48:49], v[44:45], v[2:3]
	v_fmac_f64_e32 v[4:5], v[8:9], v[2:3]
	v_add_f64 v[2:3], v[80:81], v[42:43]
	v_mul_f64 v[42:43], v[8:9], v[12:13]
	v_mul_f64 v[44:45], v[6:7], v[12:13]
	v_fma_f64 v[42:43], v[6:7], v[10:11], -v[42:43]
	v_fmac_f64_e32 v[44:45], v[8:9], v[10:11]
	ds_read_b128 v[6:9], v60 offset:480
	ds_read_b128 v[10:13], v55 offset:15360
	v_add_f64 v[50:51], v[50:51], v[72:73]
	v_add_f64 v[72:73], v[38:39], v[42:43]
	;; [unrolled: 1-line block ×3, first 2 shown]
	ds_read_b128 v[38:41], v55 offset:15616
	ds_read_b128 v[42:45], v60 offset:496
	v_add_f64 v[46:47], v[76:77], v[46:47]
	s_waitcnt lgkmcnt(2)
	v_mul_f64 v[76:77], v[8:9], v[12:13]
	v_add_f64 v[48:49], v[78:79], v[48:49]
	v_fma_f64 v[76:77], v[6:7], v[10:11], -v[76:77]
	v_mul_f64 v[78:79], v[6:7], v[12:13]
	v_fmac_f64_e32 v[78:79], v[8:9], v[10:11]
	v_add_f64 v[76:77], v[46:47], v[76:77]
	s_waitcnt lgkmcnt(1)
	v_mul_f64 v[46:47], v[8:9], v[40:41]
	v_add_f64 v[78:79], v[48:49], v[78:79]
	v_fma_f64 v[80:81], v[6:7], v[38:39], -v[46:47]
	ds_read_b128 v[46:49], v60 offset:8672
	v_mul_f64 v[6:7], v[6:7], v[40:41]
	v_fmac_f64_e32 v[6:7], v[8:9], v[38:39]
	v_add_f64 v[4:5], v[82:83], v[4:5]
	v_add_f64 v[80:81], v[50:51], v[80:81]
	;; [unrolled: 1-line block ×3, first 2 shown]
	ds_read_b128 v[6:9], v60 offset:8688
	s_waitcnt lgkmcnt(1)
	v_mul_f64 v[50:51], v[48:49], v[12:13]
	v_fma_f64 v[50:51], v[46:47], v[10:11], -v[50:51]
	v_mul_f64 v[12:13], v[46:47], v[12:13]
	v_fmac_f64_e32 v[12:13], v[48:49], v[10:11]
	v_add_f64 v[84:85], v[2:3], v[50:51]
	v_mul_f64 v[2:3], v[48:49], v[40:41]
	v_add_f64 v[86:87], v[4:5], v[12:13]
	v_fma_f64 v[10:11], v[46:47], v[38:39], -v[2:3]
	v_mul_f64 v[12:13], v[46:47], v[40:41]
	ds_read_b128 v[2:5], v55 offset:15872
	v_fmac_f64_e32 v[12:13], v[48:49], v[38:39]
	v_add_f64 v[38:39], v[72:73], v[10:11]
	v_add_f64 v[72:73], v[74:75], v[12:13]
	ds_read_b128 v[10:13], v55 offset:16128
	s_waitcnt lgkmcnt(1)
	v_mul_f64 v[40:41], v[44:45], v[4:5]
	v_fma_f64 v[40:41], v[42:43], v[2:3], -v[40:41]
	v_mul_f64 v[46:47], v[42:43], v[4:5]
	v_add_f64 v[50:51], v[76:77], v[40:41]
	s_waitcnt lgkmcnt(0)
	v_mul_f64 v[40:41], v[44:45], v[12:13]
	v_fmac_f64_e32 v[46:47], v[44:45], v[2:3]
	v_fma_f64 v[40:41], v[42:43], v[10:11], -v[40:41]
	v_add_f64 v[52:53], v[78:79], v[46:47]
	v_add_f64 v[46:47], v[80:81], v[40:41]
	v_mul_f64 v[40:41], v[8:9], v[4:5]
	v_mul_f64 v[4:5], v[6:7], v[4:5]
	;; [unrolled: 1-line block ×3, first 2 shown]
	v_fmac_f64_e32 v[4:5], v[8:9], v[2:3]
	v_fmac_f64_e32 v[42:43], v[44:45], v[10:11]
	v_fma_f64 v[40:41], v[6:7], v[2:3], -v[40:41]
	v_add_f64 v[44:45], v[86:87], v[4:5]
	v_mul_f64 v[2:3], v[8:9], v[12:13]
	v_mul_f64 v[4:5], v[6:7], v[12:13]
	v_fma_f64 v[2:3], v[6:7], v[10:11], -v[2:3]
	v_fmac_f64_e32 v[4:5], v[8:9], v[10:11]
	v_add_f64 v[48:49], v[82:83], v[42:43]
	v_add_f64 v[42:43], v[84:85], v[40:41]
	;; [unrolled: 1-line block ×4, first 2 shown]
	s_barrier
	s_cbranch_scc1 .LBB112_55
.LBB112_7:                              ;   Parent Loop BB112_4 Depth=1
                                        ; =>  This Inner Loop Header: Depth=2
	v_mov_b32_e32 v2, s21
	v_add_co_u32_e64 v6, s[10:11], s20, v14
	v_addc_co_u32_e64 v7, s[10:11], v15, v2, s[10:11]
	v_mov_b32_e32 v2, s19
	v_add_co_u32_e64 v4, s[10:11], s18, v65
	v_addc_co_u32_e64 v5, s[10:11], v66, v2, s[10:11]
	v_cmp_eq_u64_e64 s[10:11], s[20:21], v[22:23]
	v_cmp_le_i64_e64 s[12:13], s[42:43], v[6:7]
	s_and_b64 s[26:27], s[40:41], s[10:11]
	v_cmp_lt_i64_e64 s[10:11], v[6:7], v[16:17]
	s_or_b64 s[16:17], s[12:13], s[10:11]
	s_or_b64 s[16:17], s[16:17], s[26:27]
	;; [unrolled: 1-line block ×3, first 2 shown]
	s_xor_b64 s[16:17], s[16:17], -1
	s_and_saveexec_b64 s[22:23], s[16:17]
	s_xor_b64 s[16:17], exec, s[22:23]
	s_cbranch_execz .LBB112_9
; %bb.8:                                ;   in Loop: Header=BB112_7 Depth=2
	global_load_dwordx4 v[8:11], v[4:5], off offset:-256
	s_waitcnt vmcnt(0)
	ds_write2_b64 v56, v[8:9], v[10:11] offset1:1
.LBB112_9:                              ;   in Loop: Header=BB112_7 Depth=2
	s_or_saveexec_b64 s[16:17], s[16:17]
	s_xor_b64 s[22:23], s[26:27], -1
	s_xor_b64 exec, exec, s[16:17]
	s_cbranch_execz .LBB112_15
; %bb.10:                               ;   in Loop: Header=BB112_7 Depth=2
	s_and_saveexec_b64 s[38:39], s[22:23]
	s_xor_b64 s[38:39], exec, s[38:39]
	s_cbranch_execz .LBB112_12
; %bb.11:                               ;   in Loop: Header=BB112_7 Depth=2
	v_mov_b32_e32 v8, v0
	v_mov_b32_e32 v9, v0
	;; [unrolled: 1-line block ×4, first 2 shown]
	ds_write_b128 v56, v[8:11]
.LBB112_12:                             ;   in Loop: Header=BB112_7 Depth=2
	s_andn2_saveexec_b64 s[38:39], s[38:39]
	s_cbranch_execz .LBB112_14
; %bb.13:                               ;   in Loop: Header=BB112_7 Depth=2
	v_mov_b32_e32 v2, v0
	v_mov_b32_e32 v3, v0
	ds_write_b128 v56, v[0:3]
.LBB112_14:                             ;   in Loop: Header=BB112_7 Depth=2
	s_or_b64 exec, exec, s[38:39]
.LBB112_15:                             ;   in Loop: Header=BB112_7 Depth=2
	s_or_b64 exec, exec, s[16:17]
	v_cmp_eq_u64_e64 s[16:17], s[20:21], v[24:25]
	s_and_b64 s[38:39], s[40:41], s[16:17]
	v_cmp_gt_i64_e64 s[16:17], v[18:19], v[6:7]
	s_or_b64 s[12:13], s[12:13], s[16:17]
	s_or_b64 s[12:13], s[12:13], s[38:39]
	;; [unrolled: 1-line block ×3, first 2 shown]
	s_xor_b64 s[12:13], s[12:13], -1
	s_and_saveexec_b64 s[16:17], s[12:13]
	s_xor_b64 s[16:17], exec, s[16:17]
	s_cbranch_execz .LBB112_17
; %bb.16:                               ;   in Loop: Header=BB112_7 Depth=2
	v_mov_b32_e32 v3, s19
	v_add_co_u32_e64 v2, s[12:13], s18, v67
	v_addc_co_u32_e64 v3, s[12:13], v68, v3, s[12:13]
	global_load_dwordx4 v[8:11], v[2:3], off
	s_waitcnt vmcnt(0)
	ds_write2_b64 v57, v[8:9], v[10:11] offset1:1
.LBB112_17:                             ;   in Loop: Header=BB112_7 Depth=2
	s_andn2_saveexec_b64 s[12:13], s[16:17]
	s_cbranch_execz .LBB112_23
; %bb.18:                               ;   in Loop: Header=BB112_7 Depth=2
	s_xor_b64 s[16:17], s[38:39], -1
	s_and_saveexec_b64 s[38:39], s[16:17]
	s_xor_b64 s[16:17], exec, s[38:39]
	s_cbranch_execz .LBB112_20
; %bb.19:                               ;   in Loop: Header=BB112_7 Depth=2
	v_mov_b32_e32 v8, v0
	v_mov_b32_e32 v9, v0
	;; [unrolled: 1-line block ×4, first 2 shown]
	ds_write_b128 v57, v[8:11]
.LBB112_20:                             ;   in Loop: Header=BB112_7 Depth=2
	s_andn2_saveexec_b64 s[16:17], s[16:17]
	s_cbranch_execz .LBB112_22
; %bb.21:                               ;   in Loop: Header=BB112_7 Depth=2
	v_mov_b32_e32 v2, v0
	v_mov_b32_e32 v3, v0
	ds_write_b128 v57, v[0:3]
.LBB112_22:                             ;   in Loop: Header=BB112_7 Depth=2
	s_or_b64 exec, exec, s[16:17]
.LBB112_23:                             ;   in Loop: Header=BB112_7 Depth=2
	s_or_b64 exec, exec, s[12:13]
	v_add_co_u32_e64 v2, s[12:13], 16, v6
	v_addc_co_u32_e64 v3, s[12:13], 0, v7, s[12:13]
	v_cmp_eq_u64_e64 s[16:17], s[20:21], v[26:27]
	v_cmp_le_i64_e64 s[12:13], s[42:43], v[2:3]
	s_and_b64 s[38:39], s[40:41], s[16:17]
	v_cmp_lt_i64_e64 s[16:17], v[2:3], v[16:17]
	s_or_b64 s[16:17], s[12:13], s[16:17]
	s_or_b64 s[16:17], s[16:17], s[38:39]
	;; [unrolled: 1-line block ×3, first 2 shown]
	s_xor_b64 s[16:17], s[16:17], -1
	s_and_saveexec_b64 s[54:55], s[16:17]
	s_xor_b64 s[16:17], exec, s[54:55]
	s_cbranch_execz .LBB112_25
; %bb.24:                               ;   in Loop: Header=BB112_7 Depth=2
	global_load_dwordx4 v[2:5], v[4:5], off
	s_waitcnt vmcnt(0)
	ds_write2_b64 v58, v[2:3], v[4:5] offset1:1
.LBB112_25:                             ;   in Loop: Header=BB112_7 Depth=2
	s_andn2_saveexec_b64 s[16:17], s[16:17]
	s_cbranch_execz .LBB112_31
; %bb.26:                               ;   in Loop: Header=BB112_7 Depth=2
	s_xor_b64 s[38:39], s[38:39], -1
	s_and_saveexec_b64 s[54:55], s[38:39]
	s_xor_b64 s[38:39], exec, s[54:55]
	s_cbranch_execz .LBB112_28
; %bb.27:                               ;   in Loop: Header=BB112_7 Depth=2
	v_mov_b32_e32 v2, v0
	v_mov_b32_e32 v3, v0
	;; [unrolled: 1-line block ×4, first 2 shown]
	ds_write_b128 v58, v[2:5]
.LBB112_28:                             ;   in Loop: Header=BB112_7 Depth=2
	s_andn2_saveexec_b64 s[38:39], s[38:39]
	s_cbranch_execz .LBB112_30
; %bb.29:                               ;   in Loop: Header=BB112_7 Depth=2
	v_mov_b32_e32 v2, v0
	v_mov_b32_e32 v3, v0
	ds_write_b128 v58, v[0:3]
.LBB112_30:                             ;   in Loop: Header=BB112_7 Depth=2
	s_or_b64 exec, exec, s[38:39]
.LBB112_31:                             ;   in Loop: Header=BB112_7 Depth=2
	s_or_b64 exec, exec, s[16:17]
	s_or_b64 s[10:11], s[12:13], s[10:11]
	s_or_b64 s[10:11], s[10:11], s[26:27]
	;; [unrolled: 1-line block ×3, first 2 shown]
	s_xor_b64 s[10:11], s[10:11], -1
	s_and_saveexec_b64 s[12:13], s[10:11]
	s_xor_b64 s[12:13], exec, s[12:13]
	s_cbranch_execz .LBB112_33
; %bb.32:                               ;   in Loop: Header=BB112_7 Depth=2
	v_mov_b32_e32 v3, s19
	v_add_co_u32_e64 v2, s[10:11], s18, v67
	v_addc_co_u32_e64 v3, s[10:11], v68, v3, s[10:11]
	global_load_dwordx4 v[2:5], v[2:3], off offset:256
	s_waitcnt vmcnt(0)
	ds_write2_b64 v59, v[2:3], v[4:5] offset1:1
.LBB112_33:                             ;   in Loop: Header=BB112_7 Depth=2
	s_andn2_saveexec_b64 s[10:11], s[12:13]
	s_cbranch_execz .LBB112_39
; %bb.34:                               ;   in Loop: Header=BB112_7 Depth=2
	s_and_saveexec_b64 s[12:13], s[22:23]
	s_xor_b64 s[12:13], exec, s[12:13]
	s_cbranch_execz .LBB112_36
; %bb.35:                               ;   in Loop: Header=BB112_7 Depth=2
	v_mov_b32_e32 v2, v0
	v_mov_b32_e32 v3, v0
	;; [unrolled: 1-line block ×4, first 2 shown]
	ds_write_b128 v59, v[2:5]
.LBB112_36:                             ;   in Loop: Header=BB112_7 Depth=2
	s_andn2_saveexec_b64 s[12:13], s[12:13]
	s_cbranch_execz .LBB112_38
; %bb.37:                               ;   in Loop: Header=BB112_7 Depth=2
	v_mov_b32_e32 v2, v0
	v_mov_b32_e32 v3, v0
	ds_write_b128 v59, v[0:3]
.LBB112_38:                             ;   in Loop: Header=BB112_7 Depth=2
	s_or_b64 exec, exec, s[12:13]
.LBB112_39:                             ;   in Loop: Header=BB112_7 Depth=2
	s_or_b64 exec, exec, s[10:11]
	v_mov_b32_e32 v3, s21
	v_add_co_u32_e64 v2, s[10:11], s20, v16
	v_addc_co_u32_e64 v3, s[10:11], v17, v3, s[10:11]
	v_cmp_gt_i64_e64 s[10:11], s[42:43], v[2:3]
	s_and_b64 s[12:13], vcc, s[10:11]
	s_xor_b64 s[12:13], s[12:13], -1
	s_and_saveexec_b64 s[16:17], s[12:13]
	s_xor_b64 s[12:13], exec, s[16:17]
	s_cbranch_execz .LBB112_41
; %bb.40:                               ;   in Loop: Header=BB112_7 Depth=2
	v_mov_b32_e32 v4, v0
	v_mov_b32_e32 v5, v0
	;; [unrolled: 1-line block ×4, first 2 shown]
	ds_write_b128 v61, v[4:7]
.LBB112_41:                             ;   in Loop: Header=BB112_7 Depth=2
	s_or_saveexec_b64 s[16:17], s[12:13]
	v_mov_b32_e32 v5, s19
	v_add_co_u32_e64 v4, s[12:13], s18, v34
	v_addc_co_u32_e64 v5, s[12:13], v35, v5, s[12:13]
	s_xor_b64 exec, exec, s[16:17]
	s_cbranch_execz .LBB112_43
; %bb.42:                               ;   in Loop: Header=BB112_7 Depth=2
	global_load_dwordx4 v[6:9], v[4:5], off offset:-256
	s_waitcnt vmcnt(0)
	ds_write2_b64 v61, v[6:7], v[8:9] offset1:1
.LBB112_43:                             ;   in Loop: Header=BB112_7 Depth=2
	s_or_b64 exec, exec, s[16:17]
	v_cmp_gt_i64_e64 s[12:13], s[50:51], v[2:3]
	s_and_b64 s[16:17], vcc, s[12:13]
	s_xor_b64 s[16:17], s[16:17], -1
	s_and_saveexec_b64 s[22:23], s[16:17]
	s_xor_b64 s[16:17], exec, s[22:23]
	s_cbranch_execz .LBB112_45
; %bb.44:                               ;   in Loop: Header=BB112_7 Depth=2
	v_mov_b32_e32 v2, v0
	v_mov_b32_e32 v3, v0
	;; [unrolled: 1-line block ×4, first 2 shown]
	ds_write_b128 v62, v[2:5]
                                        ; implicit-def: $vgpr4_vgpr5
.LBB112_45:                             ;   in Loop: Header=BB112_7 Depth=2
	s_andn2_saveexec_b64 s[16:17], s[16:17]
	s_cbranch_execz .LBB112_47
; %bb.46:                               ;   in Loop: Header=BB112_7 Depth=2
	global_load_dwordx4 v[2:5], v[4:5], off
	s_waitcnt vmcnt(0)
	ds_write2_b64 v62, v[2:3], v[4:5] offset1:1
.LBB112_47:                             ;   in Loop: Header=BB112_7 Depth=2
	s_or_b64 exec, exec, s[16:17]
	s_and_b64 s[10:11], s[8:9], s[10:11]
	s_xor_b64 s[10:11], s[10:11], -1
	s_and_saveexec_b64 s[16:17], s[10:11]
	s_xor_b64 s[10:11], exec, s[16:17]
	s_cbranch_execz .LBB112_49
; %bb.48:                               ;   in Loop: Header=BB112_7 Depth=2
	v_mov_b32_e32 v2, v0
	v_mov_b32_e32 v3, v0
	;; [unrolled: 1-line block ×4, first 2 shown]
	ds_write_b128 v63, v[2:5]
.LBB112_49:                             ;   in Loop: Header=BB112_7 Depth=2
	s_andn2_saveexec_b64 s[16:17], s[10:11]
	s_cbranch_execz .LBB112_51
; %bb.50:                               ;   in Loop: Header=BB112_7 Depth=2
	v_mov_b32_e32 v3, s19
	v_add_co_u32_e64 v2, s[10:11], s18, v36
	v_addc_co_u32_e64 v3, s[10:11], v37, v3, s[10:11]
	global_load_dwordx4 v[2:5], v[2:3], off offset:-256
	s_waitcnt vmcnt(0)
	ds_write2_b64 v63, v[2:3], v[4:5] offset1:1
.LBB112_51:                             ;   in Loop: Header=BB112_7 Depth=2
	s_or_b64 exec, exec, s[16:17]
	s_and_b64 s[10:11], s[8:9], s[12:13]
	s_xor_b64 s[10:11], s[10:11], -1
	s_and_saveexec_b64 s[12:13], s[10:11]
	s_xor_b64 s[10:11], exec, s[12:13]
	s_cbranch_execz .LBB112_53
; %bb.52:                               ;   in Loop: Header=BB112_7 Depth=2
	v_mov_b32_e32 v2, v0
	v_mov_b32_e32 v3, v0
	;; [unrolled: 1-line block ×4, first 2 shown]
	ds_write_b128 v64, v[2:5]
.LBB112_53:                             ;   in Loop: Header=BB112_7 Depth=2
	s_andn2_saveexec_b64 s[12:13], s[10:11]
	s_cbranch_execz .LBB112_6
; %bb.54:                               ;   in Loop: Header=BB112_7 Depth=2
	v_mov_b32_e32 v3, s19
	v_add_co_u32_e64 v2, s[10:11], s18, v36
	v_addc_co_u32_e64 v3, s[10:11], v37, v3, s[10:11]
	global_load_dwordx4 v[2:5], v[2:3], off
	s_waitcnt vmcnt(0)
	ds_write2_b64 v64, v[2:3], v[4:5] offset1:1
	s_branch .LBB112_6
.LBB112_55:                             ;   in Loop: Header=BB112_4 Depth=1
	v_mul_lo_u32 v4, v70, s48
	v_mul_lo_u32 v5, v69, s49
	v_mad_u64_u32 v[2:3], s[8:9], v69, s48, 0
	v_add3_u32 v3, v3, v5, v4
	v_lshlrev_b64 v[2:3], 4, v[2:3]
	v_mov_b32_e32 v4, s53
	v_add_co_u32_e64 v2, s[8:9], s52, v2
	v_cmp_gt_i32_e32 vcc, s46, v69
	v_addc_co_u32_e64 v3, s[8:9], v4, v3, s[8:9]
	s_and_b64 s[8:9], s[4:5], vcc
	s_and_saveexec_b64 s[10:11], s[8:9]
	s_cbranch_execz .LBB112_57
; %bb.56:                               ;   in Loop: Header=BB112_4 Depth=1
	v_add_co_u32_e64 v8, s[8:9], v2, v28
	v_addc_co_u32_e64 v9, s[8:9], v3, v29, s[8:9]
	global_load_dwordx4 v[4:7], v[8:9], off
	v_mul_f64 v[10:11], s[30:31], v[52:53]
	v_mul_f64 v[12:13], s[28:29], v[52:53]
	v_fma_f64 v[10:11], s[28:29], v[50:51], -v[10:11]
	v_fmac_f64_e32 v[12:13], s[30:31], v[50:51]
	s_waitcnt vmcnt(0)
	v_add_f64 v[4:5], v[4:5], v[10:11]
	v_add_f64 v[6:7], v[6:7], v[12:13]
	global_store_dwordx4 v[8:9], v[4:7], off
.LBB112_57:                             ;   in Loop: Header=BB112_4 Depth=1
	s_or_b64 exec, exec, s[10:11]
	s_and_b64 s[10:11], s[14:15], vcc
	s_and_saveexec_b64 s[8:9], s[10:11]
	s_cbranch_execz .LBB112_59
; %bb.58:                               ;   in Loop: Header=BB112_4 Depth=1
	v_lshlrev_b64 v[4:5], 4, v[20:21]
	v_add_co_u32_e32 v6, vcc, v2, v4
	v_addc_co_u32_e32 v7, vcc, v3, v5, vcc
	global_load_dwordx4 v[2:5], v[6:7], off
	v_mul_f64 v[8:9], s[30:31], v[48:49]
	v_mul_f64 v[10:11], s[28:29], v[48:49]
	v_fma_f64 v[8:9], s[28:29], v[46:47], -v[8:9]
	v_fmac_f64_e32 v[10:11], s[30:31], v[46:47]
	s_waitcnt vmcnt(0)
	v_add_f64 v[2:3], v[2:3], v[8:9]
	v_add_f64 v[4:5], v[4:5], v[10:11]
	global_store_dwordx4 v[6:7], v[2:5], off
.LBB112_59:                             ;   in Loop: Header=BB112_4 Depth=1
	s_or_b64 exec, exec, s[8:9]
	v_add_u32_e32 v2, 16, v69
	v_ashrrev_i32_e32 v3, 31, v2
	v_cmp_gt_i32_e32 vcc, s46, v2
	v_mul_lo_u32 v4, v3, s48
	v_mul_lo_u32 v5, v2, s49
	v_mad_u64_u32 v[2:3], s[8:9], v2, s48, 0
	v_add3_u32 v3, v3, v5, v4
	v_lshlrev_b64 v[2:3], 4, v[2:3]
	v_mov_b32_e32 v4, s53
	v_add_co_u32_e64 v2, s[8:9], s52, v2
	v_addc_co_u32_e64 v3, s[8:9], v4, v3, s[8:9]
	s_and_b64 s[8:9], s[4:5], vcc
	s_and_saveexec_b64 s[10:11], s[8:9]
	s_cbranch_execz .LBB112_61
; %bb.60:                               ;   in Loop: Header=BB112_4 Depth=1
	v_add_co_u32_e64 v8, s[8:9], v2, v28
	v_addc_co_u32_e64 v9, s[8:9], v3, v29, s[8:9]
	global_load_dwordx4 v[4:7], v[8:9], off
	v_mul_f64 v[10:11], s[30:31], v[44:45]
	v_mul_f64 v[12:13], s[28:29], v[44:45]
	v_fma_f64 v[10:11], s[28:29], v[42:43], -v[10:11]
	v_fmac_f64_e32 v[12:13], s[30:31], v[42:43]
	s_waitcnt vmcnt(0)
	v_add_f64 v[4:5], v[4:5], v[10:11]
	v_add_f64 v[6:7], v[6:7], v[12:13]
	global_store_dwordx4 v[8:9], v[4:7], off
.LBB112_61:                             ;   in Loop: Header=BB112_4 Depth=1
	s_or_b64 exec, exec, s[10:11]
	s_and_b64 s[10:11], s[14:15], vcc
	s_and_saveexec_b64 s[8:9], s[10:11]
	s_cbranch_execz .LBB112_3
; %bb.62:                               ;   in Loop: Header=BB112_4 Depth=1
	v_lshlrev_b64 v[4:5], 4, v[20:21]
	v_add_co_u32_e32 v6, vcc, v2, v4
	v_addc_co_u32_e32 v7, vcc, v3, v5, vcc
	global_load_dwordx4 v[2:5], v[6:7], off
	v_mul_f64 v[8:9], s[30:31], v[38:39]
	v_mul_f64 v[10:11], s[28:29], v[38:39]
	v_fma_f64 v[8:9], s[28:29], v[40:41], -v[8:9]
	v_fmac_f64_e32 v[10:11], s[30:31], v[40:41]
	s_waitcnt vmcnt(0)
	v_add_f64 v[2:3], v[2:3], v[8:9]
	v_add_f64 v[4:5], v[4:5], v[10:11]
	global_store_dwordx4 v[6:7], v[2:5], off
	s_branch .LBB112_3
.LBB112_63:
	s_endpgm
	.section	.rodata,"a",@progbits
	.p2align	6, 0x0
	.amdhsa_kernel _ZL30rocblas_trmm_outofplace_kernelI19rocblas_complex_numIdELi32ELi2ELb1ELb0ELb1ELb0EPKS1_S2_S1_Ev17rocblas_diagonal_iiT6_lPT7_lllS7_lllPT8_llli
		.amdhsa_group_segment_fixed_size 32768
		.amdhsa_private_segment_fixed_size 0
		.amdhsa_kernarg_size 392
		.amdhsa_user_sgpr_count 6
		.amdhsa_user_sgpr_private_segment_buffer 1
		.amdhsa_user_sgpr_dispatch_ptr 0
		.amdhsa_user_sgpr_queue_ptr 0
		.amdhsa_user_sgpr_kernarg_segment_ptr 1
		.amdhsa_user_sgpr_dispatch_id 0
		.amdhsa_user_sgpr_flat_scratch_init 0
		.amdhsa_user_sgpr_kernarg_preload_length 0
		.amdhsa_user_sgpr_kernarg_preload_offset 0
		.amdhsa_user_sgpr_private_segment_size 0
		.amdhsa_uses_dynamic_stack 0
		.amdhsa_system_sgpr_private_segment_wavefront_offset 0
		.amdhsa_system_sgpr_workgroup_id_x 1
		.amdhsa_system_sgpr_workgroup_id_y 1
		.amdhsa_system_sgpr_workgroup_id_z 1
		.amdhsa_system_sgpr_workgroup_info 0
		.amdhsa_system_vgpr_workitem_id 1
		.amdhsa_next_free_vgpr 90
		.amdhsa_next_free_sgpr 56
		.amdhsa_accum_offset 92
		.amdhsa_reserve_vcc 1
		.amdhsa_reserve_flat_scratch 0
		.amdhsa_float_round_mode_32 0
		.amdhsa_float_round_mode_16_64 0
		.amdhsa_float_denorm_mode_32 3
		.amdhsa_float_denorm_mode_16_64 3
		.amdhsa_dx10_clamp 1
		.amdhsa_ieee_mode 1
		.amdhsa_fp16_overflow 0
		.amdhsa_tg_split 0
		.amdhsa_exception_fp_ieee_invalid_op 0
		.amdhsa_exception_fp_denorm_src 0
		.amdhsa_exception_fp_ieee_div_zero 0
		.amdhsa_exception_fp_ieee_overflow 0
		.amdhsa_exception_fp_ieee_underflow 0
		.amdhsa_exception_fp_ieee_inexact 0
		.amdhsa_exception_int_div_zero 0
	.end_amdhsa_kernel
	.section	.text._ZL30rocblas_trmm_outofplace_kernelI19rocblas_complex_numIdELi32ELi2ELb1ELb0ELb1ELb0EPKS1_S2_S1_Ev17rocblas_diagonal_iiT6_lPT7_lllS7_lllPT8_llli,"axG",@progbits,_ZL30rocblas_trmm_outofplace_kernelI19rocblas_complex_numIdELi32ELi2ELb1ELb0ELb1ELb0EPKS1_S2_S1_Ev17rocblas_diagonal_iiT6_lPT7_lllS7_lllPT8_llli,comdat
.Lfunc_end112:
	.size	_ZL30rocblas_trmm_outofplace_kernelI19rocblas_complex_numIdELi32ELi2ELb1ELb0ELb1ELb0EPKS1_S2_S1_Ev17rocblas_diagonal_iiT6_lPT7_lllS7_lllPT8_llli, .Lfunc_end112-_ZL30rocblas_trmm_outofplace_kernelI19rocblas_complex_numIdELi32ELi2ELb1ELb0ELb1ELb0EPKS1_S2_S1_Ev17rocblas_diagonal_iiT6_lPT7_lllS7_lllPT8_llli
                                        ; -- End function
	.section	.AMDGPU.csdata,"",@progbits
; Kernel info:
; codeLenInByte = 9616
; NumSgprs: 60
; NumVgprs: 90
; NumAgprs: 0
; TotalNumVgprs: 90
; ScratchSize: 0
; MemoryBound: 0
; FloatMode: 240
; IeeeMode: 1
; LDSByteSize: 32768 bytes/workgroup (compile time only)
; SGPRBlocks: 7
; VGPRBlocks: 11
; NumSGPRsForWavesPerEU: 60
; NumVGPRsForWavesPerEU: 90
; AccumOffset: 92
; Occupancy: 5
; WaveLimiterHint : 0
; COMPUTE_PGM_RSRC2:SCRATCH_EN: 0
; COMPUTE_PGM_RSRC2:USER_SGPR: 6
; COMPUTE_PGM_RSRC2:TRAP_HANDLER: 0
; COMPUTE_PGM_RSRC2:TGID_X_EN: 1
; COMPUTE_PGM_RSRC2:TGID_Y_EN: 1
; COMPUTE_PGM_RSRC2:TGID_Z_EN: 1
; COMPUTE_PGM_RSRC2:TIDIG_COMP_CNT: 1
; COMPUTE_PGM_RSRC3_GFX90A:ACCUM_OFFSET: 22
; COMPUTE_PGM_RSRC3_GFX90A:TG_SPLIT: 0
	.section	.text._ZL30rocblas_trmm_outofplace_kernelI19rocblas_complex_numIdELi32ELi2ELb1ELb0ELb1ELb0ES1_KS1_S1_Ev17rocblas_diagonal_iiT6_lPT7_lllS6_lllPT8_llli,"axG",@progbits,_ZL30rocblas_trmm_outofplace_kernelI19rocblas_complex_numIdELi32ELi2ELb1ELb0ELb1ELb0ES1_KS1_S1_Ev17rocblas_diagonal_iiT6_lPT7_lllS6_lllPT8_llli,comdat
	.globl	_ZL30rocblas_trmm_outofplace_kernelI19rocblas_complex_numIdELi32ELi2ELb1ELb0ELb1ELb0ES1_KS1_S1_Ev17rocblas_diagonal_iiT6_lPT7_lllS6_lllPT8_llli ; -- Begin function _ZL30rocblas_trmm_outofplace_kernelI19rocblas_complex_numIdELi32ELi2ELb1ELb0ELb1ELb0ES1_KS1_S1_Ev17rocblas_diagonal_iiT6_lPT7_lllS6_lllPT8_llli
	.p2align	8
	.type	_ZL30rocblas_trmm_outofplace_kernelI19rocblas_complex_numIdELi32ELi2ELb1ELb0ELb1ELb0ES1_KS1_S1_Ev17rocblas_diagonal_iiT6_lPT7_lllS6_lllPT8_llli,@function
_ZL30rocblas_trmm_outofplace_kernelI19rocblas_complex_numIdELi32ELi2ELb1ELb0ELb1ELb0ES1_KS1_S1_Ev17rocblas_diagonal_iiT6_lPT7_lllS6_lllPT8_llli: ; @_ZL30rocblas_trmm_outofplace_kernelI19rocblas_complex_numIdELi32ELi2ELb1ELb0ELb1ELb0ES1_KS1_S1_Ev17rocblas_diagonal_iiT6_lPT7_lllS6_lllPT8_llli
; %bb.0:
	s_load_dwordx4 s[44:47], s[4:5], 0x10
	s_waitcnt lgkmcnt(0)
	v_cmp_eq_f64_e64 s[0:1], s[44:45], 0
	v_cmp_eq_f64_e64 s[2:3], s[46:47], 0
	s_and_b64 s[0:1], s[0:1], s[2:3]
	s_and_b64 vcc, exec, s[0:1]
	s_cbranch_vccnz .LBB113_63
; %bb.1:
	s_load_dwordx4 s[48:51], s[4:5], 0x0
	s_waitcnt lgkmcnt(0)
	s_add_i32 s0, s50, -1
	s_ashr_i32 s1, s0, 31
	s_lshr_b32 s1, s1, 27
	s_add_i32 s0, s0, s1
	s_ashr_i32 s33, s0, 5
	s_cmp_gt_i32 s7, s33
	s_cbranch_scc1 .LBB113_63
; %bb.2:
	s_load_dwordx8 s[36:43], s[4:5], 0x68
	v_bfe_u32 v54, v0, 10, 10
	s_load_dwordx16 s[16:31], s[4:5], 0x28
	v_and_b32_e32 v0, 0x3ff, v0
	s_movk_i32 s54, 0x100
	s_waitcnt lgkmcnt(0)
	s_mul_i32 s1, s8, s43
	s_mul_hi_u32 s2, s8, s42
	s_mul_i32 s0, s8, s42
	s_add_i32 s1, s2, s1
	s_lshl_b64 s[0:1], s[0:1], 4
	s_add_u32 s2, s36, s0
	s_addc_u32 s3, s37, s1
	s_lshl_b64 s[0:1], s[38:39], 4
	s_add_u32 s51, s2, s0
	s_addc_u32 s52, s3, s1
	s_lshl_b32 s0, s6, 5
	v_add_u32_e32 v16, s0, v0
	s_sub_i32 s6, s49, s0
	v_ashrrev_i32_e32 v17, 31, v16
	s_cmp_gt_i32 s6, 0
	v_add_co_u32_e32 v18, vcc, 16, v16
	v_add_u32_e32 v14, s0, v54
	s_cselect_b64 s[34:35], -1, 0
	s_cmpk_eq_i32 s48, 0x84
	v_addc_co_u32_e32 v19, vcc, 0, v17, vcc
	v_ashrrev_i32_e32 v15, 31, v14
	s_cselect_b64 s[36:37], -1, 0
	s_ashr_i32 s39, s49, 31
	s_ashr_i32 s48, s50, 31
	v_sub_co_u32_e32 v22, vcc, v16, v14
	s_add_u32 s42, s49, -16
	v_subb_co_u32_e32 v23, vcc, v17, v15, vcc
	s_mul_i32 s9, s31, s8
	s_mul_hi_u32 s10, s30, s8
	s_addc_u32 s43, s39, -1
	v_add_co_u32_e32 v24, vcc, 16, v22
	s_add_i32 s11, s10, s9
	s_mul_i32 s10, s30, s8
	v_addc_co_u32_e32 v25, vcc, 0, v23, vcc
	s_lshl_b64 s[10:11], s[10:11], 4
	s_lshl_b64 s[12:13], s[26:27], 4
	v_add_co_u32_e32 v26, vcc, -16, v22
	s_add_u32 s9, s10, s12
	v_addc_co_u32_e32 v27, vcc, -1, v23, vcc
	s_addc_u32 s10, s11, s13
	v_lshlrev_b64 v[28:29], 4, v[16:17]
	s_add_u32 s9, s24, s9
	v_add_co_u32_e32 v4, vcc, s54, v28
	s_load_dword s53, s[4:5], 0x94
	s_addc_u32 s10, s25, s10
	v_addc_co_u32_e32 v2, vcc, 0, v29, vcc
	v_lshlrev_b32_e32 v1, 9, v54
	v_lshlrev_b32_e32 v55, 4, v0
	v_mov_b32_e32 v0, s10
	v_add_co_u32_e32 v30, vcc, s9, v4
	v_add_u32_e32 v56, v55, v1
	v_add_u32_e32 v60, 0x4000, v1
	v_addc_co_u32_e32 v31, vcc, v2, v0, vcc
	v_mad_u64_u32 v[0:1], s[10:11], s20, v16, 0
	s_mul_i32 s9, s23, s8
	s_mul_hi_u32 s10, s22, s8
	v_add_u32_e32 v20, 16, v16
	s_add_i32 s9, s10, s9
	s_mul_i32 s8, s22, s8
	s_mov_b32 s38, s49
	v_cmp_le_i32_e64 s[0:1], s49, v16
	v_cmp_gt_i32_e64 s[4:5], s49, v16
	v_cmp_gt_i32_e64 s[14:15], s49, v20
	s_lshl_b64 s[24:25], s[28:29], 4
	s_waitcnt lgkmcnt(0)
	s_lshl_b32 s49, s53, 5
	v_mul_lo_u32 v3, s20, v17
	v_mul_lo_u32 v5, s21, v16
	s_lshl_b64 s[8:9], s[8:9], 4
	s_lshl_b64 s[10:11], s[18:19], 4
	v_add3_u32 v1, v1, v3, v5
	s_add_u32 s8, s10, s8
	v_lshlrev_b64 v[0:1], 4, v[0:1]
	s_addc_u32 s9, s11, s9
	v_mov_b32_e32 v3, s9
	v_add_co_u32_e32 v5, vcc, s8, v0
	v_addc_co_u32_e32 v3, vcc, v3, v1, vcc
	v_lshlrev_b64 v[0:1], 4, v[14:15]
	v_add_co_u32_e32 v5, vcc, v5, v0
	v_addc_co_u32_e32 v3, vcc, v3, v1, vcc
	v_mov_b32_e32 v6, s17
	v_add_co_u32_e32 v5, vcc, s16, v5
	v_addc_co_u32_e32 v3, vcc, v3, v6, vcc
	v_add_co_u32_e32 v65, vcc, s54, v5
	v_addc_co_u32_e32 v66, vcc, 0, v3, vcc
	v_mul_lo_u32 v5, s20, v2
	v_pk_mov_b32 v[2:3], s[8:9], s[8:9] op_sel:[0,1]
	v_mul_lo_u32 v6, s21, v4
	v_mad_u64_u32 v[2:3], s[8:9], s20, v4, v[2:3]
	v_add3_u32 v3, v6, v3, v5
	v_add_co_u32_e32 v0, vcc, v2, v0
	v_addc_co_u32_e32 v1, vcc, v3, v1, vcc
	v_add_u32_e32 v61, v60, v55
	v_mov_b32_e32 v2, s17
	v_add_co_u32_e32 v67, vcc, s16, v0
	v_cmp_le_i64_e64 s[2:3], s[38:39], v[18:19]
	v_add_u32_e32 v57, 0x100, v56
	v_add_u32_e32 v58, 0x2000, v56
	;; [unrolled: 1-line block ×6, first 2 shown]
	v_ashrrev_i32_e32 v21, 31, v20
	v_lshl_add_u32 v32, s7, 5, v54
	v_addc_co_u32_e32 v68, vcc, v2, v1, vcc
	v_mov_b32_e32 v0, 0
	v_mov_b32_e32 v1, 0x3ff00000
	s_branch .LBB113_4
.LBB113_3:                              ;   in Loop: Header=BB113_4 Depth=1
	s_or_b64 exec, exec, s[8:9]
	s_add_i32 s7, s53, s7
	s_cmp_le_i32 s7, s33
	v_add_u32_e32 v32, s49, v32
	s_cbranch_scc0 .LBB113_63
.LBB113_4:                              ; =>This Loop Header: Depth=1
                                        ;     Child Loop BB113_7 Depth 2
	v_lshl_add_u32 v69, s7, 5, v54
	v_pk_mov_b32 v[50:51], 0, 0
	v_ashrrev_i32_e32 v70, 31, v69
	s_mov_b64 s[18:19], 0
	s_andn2_b64 vcc, exec, s[34:35]
	v_pk_mov_b32 v[52:53], v[50:51], v[50:51] op_sel:[0,1]
	v_pk_mov_b32 v[46:47], v[50:51], v[50:51] op_sel:[0,1]
	;; [unrolled: 1-line block ×7, first 2 shown]
	s_cbranch_vccnz .LBB113_55
; %bb.5:                                ;   in Loop: Header=BB113_4 Depth=1
	v_ashrrev_i32_e32 v33, 31, v32
	v_mad_u64_u32 v[34:35], s[8:9], s24, v32, v[30:31]
	v_mul_lo_u32 v2, s25, v32
	v_mul_lo_u32 v3, s24, v33
	v_add3_u32 v35, v2, v35, v3
	v_lshlrev_b64 v[2:3], 4, v[32:33]
	v_add_co_u32_e32 v2, vcc, 0x100, v2
	v_addc_co_u32_e32 v3, vcc, 0, v3, vcc
	v_mul_lo_u32 v3, s28, v3
	v_mul_lo_u32 v4, s29, v2
	v_mad_u64_u32 v[36:37], s[8:9], s28, v2, v[30:31]
	v_add3_u32 v37, v4, v37, v3
	v_mov_b32_e32 v3, s48
	v_sub_co_u32_e32 v2, vcc, s50, v69
	v_subb_co_u32_e32 v3, vcc, v3, v70, vcc
	v_pk_mov_b32 v[38:39], 0, 0
	v_cmp_lt_i64_e32 vcc, 0, v[2:3]
	v_cmp_lt_i64_e64 s[8:9], 16, v[2:3]
	s_mov_b64 s[20:21], 0
	v_pk_mov_b32 v[40:41], v[38:39], v[38:39] op_sel:[0,1]
	v_pk_mov_b32 v[44:45], v[38:39], v[38:39] op_sel:[0,1]
	;; [unrolled: 1-line block ×7, first 2 shown]
	s_branch .LBB113_7
.LBB113_6:                              ;   in Loop: Header=BB113_7 Depth=2
	s_or_b64 exec, exec, s[12:13]
	s_waitcnt lgkmcnt(0)
	s_barrier
	ds_read_b128 v[72:75], v55
	ds_read_b128 v[76:79], v60
	ds_read_b128 v[10:13], v60 offset:16
	ds_read_b128 v[6:9], v60 offset:32
	;; [unrolled: 1-line block ×4, first 2 shown]
	s_waitcnt lgkmcnt(4)
	v_mul_f64 v[84:85], v[78:79], v[74:75]
	v_fma_f64 v[84:85], v[76:77], v[72:73], -v[84:85]
	v_mul_f64 v[86:87], v[76:77], v[74:75]
	v_fmac_f64_e32 v[86:87], v[78:79], v[72:73]
	v_add_f64 v[84:85], v[50:51], v[84:85]
	s_waitcnt lgkmcnt(0)
	v_mul_f64 v[50:51], v[78:79], v[82:83]
	v_add_f64 v[86:87], v[52:53], v[86:87]
	v_fma_f64 v[88:89], v[76:77], v[80:81], -v[50:51]
	ds_read_b128 v[50:53], v60 offset:8192
	v_mul_f64 v[76:77], v[76:77], v[82:83]
	v_fmac_f64_e32 v[76:77], v[78:79], v[80:81]
	v_add_f64 v[78:79], v[46:47], v[88:89]
	v_add_f64 v[76:77], v[48:49], v[76:77]
	ds_read_b128 v[46:49], v60 offset:8208
	s_waitcnt lgkmcnt(1)
	v_mul_f64 v[88:89], v[52:53], v[74:75]
	v_fma_f64 v[88:89], v[50:51], v[72:73], -v[88:89]
	v_mul_f64 v[74:75], v[50:51], v[74:75]
	v_fmac_f64_e32 v[74:75], v[52:53], v[72:73]
	v_add_f64 v[72:73], v[42:43], v[88:89]
	v_mul_f64 v[42:43], v[52:53], v[82:83]
	v_add_f64 v[74:75], v[44:45], v[74:75]
	v_fma_f64 v[88:89], v[50:51], v[80:81], -v[42:43]
	v_mul_f64 v[50:51], v[50:51], v[82:83]
	ds_read_b128 v[42:45], v55 offset:512
	v_fmac_f64_e32 v[50:51], v[52:53], v[80:81]
	v_add_f64 v[52:53], v[40:41], v[88:89]
	v_add_f64 v[50:51], v[38:39], v[50:51]
	ds_read_b128 v[38:41], v55 offset:768
	s_waitcnt lgkmcnt(1)
	v_mul_f64 v[80:81], v[12:13], v[44:45]
	v_fma_f64 v[80:81], v[10:11], v[42:43], -v[80:81]
	v_add_f64 v[80:81], v[84:85], v[80:81]
	v_mul_f64 v[82:83], v[10:11], v[44:45]
	s_waitcnt lgkmcnt(0)
	v_mul_f64 v[84:85], v[12:13], v[40:41]
	v_fma_f64 v[84:85], v[10:11], v[38:39], -v[84:85]
	v_mul_f64 v[10:11], v[10:11], v[40:41]
	v_fmac_f64_e32 v[10:11], v[12:13], v[38:39]
	v_fmac_f64_e32 v[82:83], v[12:13], v[42:43]
	v_add_f64 v[76:77], v[76:77], v[10:11]
	v_mul_f64 v[10:11], v[48:49], v[44:45]
	v_mul_f64 v[12:13], v[46:47], v[44:45]
	v_fma_f64 v[10:11], v[46:47], v[42:43], -v[10:11]
	v_fmac_f64_e32 v[12:13], v[48:49], v[42:43]
	v_mul_f64 v[42:43], v[48:49], v[40:41]
	v_fma_f64 v[44:45], v[46:47], v[38:39], -v[42:43]
	v_mul_f64 v[46:47], v[46:47], v[40:41]
	ds_read_b128 v[40:43], v55 offset:1024
	v_fmac_f64_e32 v[46:47], v[48:49], v[38:39]
	v_add_f64 v[38:39], v[52:53], v[44:45]
	v_add_f64 v[52:53], v[50:51], v[46:47]
	ds_read_b128 v[44:47], v55 offset:1280
	s_waitcnt lgkmcnt(1)
	v_mul_f64 v[48:49], v[8:9], v[42:43]
	v_fma_f64 v[48:49], v[6:7], v[40:41], -v[48:49]
	v_mul_f64 v[50:51], v[6:7], v[42:43]
	v_add_f64 v[82:83], v[86:87], v[82:83]
	v_add_f64 v[10:11], v[72:73], v[10:11]
	v_fmac_f64_e32 v[50:51], v[8:9], v[40:41]
	v_add_f64 v[72:73], v[80:81], v[48:49]
	s_waitcnt lgkmcnt(0)
	v_mul_f64 v[48:49], v[8:9], v[46:47]
	v_add_f64 v[12:13], v[74:75], v[12:13]
	v_add_f64 v[74:75], v[82:83], v[50:51]
	v_fma_f64 v[80:81], v[6:7], v[44:45], -v[48:49]
	ds_read_b128 v[48:51], v60 offset:8224
	v_mul_f64 v[6:7], v[6:7], v[46:47]
	v_add_f64 v[78:79], v[78:79], v[84:85]
	v_fmac_f64_e32 v[6:7], v[8:9], v[44:45]
	v_add_f64 v[78:79], v[78:79], v[80:81]
	v_add_f64 v[76:77], v[76:77], v[6:7]
	ds_read_b128 v[6:9], v60 offset:8240
	s_waitcnt lgkmcnt(1)
	v_mul_f64 v[80:81], v[50:51], v[42:43]
	v_fma_f64 v[80:81], v[48:49], v[40:41], -v[80:81]
	v_mul_f64 v[42:43], v[48:49], v[42:43]
	v_add_f64 v[80:81], v[10:11], v[80:81]
	v_mul_f64 v[10:11], v[50:51], v[46:47]
	v_fmac_f64_e32 v[42:43], v[50:51], v[40:41]
	v_fma_f64 v[40:41], v[48:49], v[44:45], -v[10:11]
	v_mul_f64 v[46:47], v[48:49], v[46:47]
	v_add_f64 v[42:43], v[12:13], v[42:43]
	ds_read_b128 v[10:13], v55 offset:1536
	v_fmac_f64_e32 v[46:47], v[50:51], v[44:45]
	v_add_f64 v[44:45], v[38:39], v[40:41]
	ds_read_b128 v[38:41], v55 offset:1792
	v_add_f64 v[46:47], v[52:53], v[46:47]
	s_waitcnt lgkmcnt(1)
	v_mul_f64 v[48:49], v[4:5], v[12:13]
	v_fma_f64 v[48:49], v[2:3], v[10:11], -v[48:49]
	v_mul_f64 v[50:51], v[2:3], v[12:13]
	s_waitcnt lgkmcnt(0)
	v_mul_f64 v[52:53], v[4:5], v[40:41]
	v_fma_f64 v[52:53], v[2:3], v[38:39], -v[52:53]
	v_mul_f64 v[2:3], v[2:3], v[40:41]
	v_fmac_f64_e32 v[2:3], v[4:5], v[38:39]
	v_fmac_f64_e32 v[50:51], v[4:5], v[10:11]
	v_add_f64 v[48:49], v[72:73], v[48:49]
	v_add_f64 v[72:73], v[76:77], v[2:3]
	v_mul_f64 v[2:3], v[8:9], v[12:13]
	v_mul_f64 v[4:5], v[6:7], v[12:13]
	v_fma_f64 v[2:3], v[6:7], v[10:11], -v[2:3]
	v_fmac_f64_e32 v[4:5], v[8:9], v[10:11]
	v_mul_f64 v[10:11], v[8:9], v[40:41]
	v_mul_f64 v[40:41], v[6:7], v[40:41]
	v_add_f64 v[4:5], v[42:43], v[4:5]
	v_fma_f64 v[42:43], v[6:7], v[38:39], -v[10:11]
	v_fmac_f64_e32 v[40:41], v[8:9], v[38:39]
	ds_read_b128 v[6:9], v60 offset:64
	ds_read_b128 v[10:13], v55 offset:2048
	v_add_f64 v[50:51], v[74:75], v[50:51]
	v_add_f64 v[74:75], v[44:45], v[42:43]
	;; [unrolled: 1-line block ×3, first 2 shown]
	ds_read_b128 v[38:41], v55 offset:2304
	ds_read_b128 v[42:45], v60 offset:80
	s_waitcnt lgkmcnt(2)
	v_mul_f64 v[46:47], v[8:9], v[12:13]
	v_add_f64 v[52:53], v[78:79], v[52:53]
	v_fma_f64 v[46:47], v[6:7], v[10:11], -v[46:47]
	v_mul_f64 v[78:79], v[6:7], v[12:13]
	v_add_f64 v[2:3], v[80:81], v[2:3]
	v_fmac_f64_e32 v[78:79], v[8:9], v[10:11]
	v_add_f64 v[80:81], v[48:49], v[46:47]
	s_waitcnt lgkmcnt(1)
	v_mul_f64 v[46:47], v[8:9], v[40:41]
	v_add_f64 v[50:51], v[50:51], v[78:79]
	v_fma_f64 v[78:79], v[6:7], v[38:39], -v[46:47]
	ds_read_b128 v[46:49], v60 offset:8256
	v_mul_f64 v[6:7], v[6:7], v[40:41]
	v_fmac_f64_e32 v[6:7], v[8:9], v[38:39]
	v_add_f64 v[52:53], v[52:53], v[78:79]
	v_add_f64 v[72:73], v[72:73], v[6:7]
	ds_read_b128 v[6:9], v60 offset:8272
	s_waitcnt lgkmcnt(1)
	v_mul_f64 v[78:79], v[48:49], v[12:13]
	v_fma_f64 v[78:79], v[46:47], v[10:11], -v[78:79]
	v_mul_f64 v[12:13], v[46:47], v[12:13]
	v_fmac_f64_e32 v[12:13], v[48:49], v[10:11]
	v_add_f64 v[78:79], v[2:3], v[78:79]
	v_mul_f64 v[2:3], v[48:49], v[40:41]
	v_add_f64 v[82:83], v[4:5], v[12:13]
	v_fma_f64 v[10:11], v[46:47], v[38:39], -v[2:3]
	v_mul_f64 v[12:13], v[46:47], v[40:41]
	ds_read_b128 v[2:5], v55 offset:2560
	v_fmac_f64_e32 v[12:13], v[48:49], v[38:39]
	v_add_f64 v[38:39], v[74:75], v[10:11]
	v_add_f64 v[40:41], v[76:77], v[12:13]
	ds_read_b128 v[10:13], v55 offset:2816
	s_waitcnt lgkmcnt(1)
	v_mul_f64 v[48:49], v[42:43], v[4:5]
	v_fmac_f64_e32 v[48:49], v[44:45], v[2:3]
	v_mul_f64 v[46:47], v[44:45], v[4:5]
	v_add_f64 v[48:49], v[50:51], v[48:49]
	s_waitcnt lgkmcnt(0)
	v_mul_f64 v[50:51], v[44:45], v[12:13]
	v_fma_f64 v[46:47], v[42:43], v[2:3], -v[46:47]
	v_fma_f64 v[50:51], v[42:43], v[10:11], -v[50:51]
	v_mul_f64 v[42:43], v[42:43], v[12:13]
	v_fmac_f64_e32 v[42:43], v[44:45], v[10:11]
	v_add_f64 v[50:51], v[52:53], v[50:51]
	v_add_f64 v[52:53], v[72:73], v[42:43]
	v_mul_f64 v[42:43], v[8:9], v[4:5]
	v_fma_f64 v[42:43], v[6:7], v[2:3], -v[42:43]
	v_mul_f64 v[4:5], v[6:7], v[4:5]
	v_fmac_f64_e32 v[4:5], v[8:9], v[2:3]
	v_add_f64 v[2:3], v[78:79], v[42:43]
	v_mul_f64 v[42:43], v[8:9], v[12:13]
	v_mul_f64 v[44:45], v[6:7], v[12:13]
	v_fma_f64 v[42:43], v[6:7], v[10:11], -v[42:43]
	v_fmac_f64_e32 v[44:45], v[8:9], v[10:11]
	ds_read_b128 v[6:9], v60 offset:96
	ds_read_b128 v[10:13], v55 offset:3072
	v_add_f64 v[72:73], v[38:39], v[42:43]
	v_add_f64 v[74:75], v[40:41], v[44:45]
	ds_read_b128 v[38:41], v55 offset:3328
	ds_read_b128 v[42:45], v60 offset:112
	v_add_f64 v[46:47], v[80:81], v[46:47]
	s_waitcnt lgkmcnt(2)
	v_mul_f64 v[76:77], v[8:9], v[12:13]
	v_fma_f64 v[76:77], v[6:7], v[10:11], -v[76:77]
	v_mul_f64 v[78:79], v[6:7], v[12:13]
	v_fmac_f64_e32 v[78:79], v[8:9], v[10:11]
	v_add_f64 v[76:77], v[46:47], v[76:77]
	s_waitcnt lgkmcnt(1)
	v_mul_f64 v[46:47], v[8:9], v[40:41]
	v_add_f64 v[78:79], v[48:49], v[78:79]
	v_fma_f64 v[80:81], v[6:7], v[38:39], -v[46:47]
	ds_read_b128 v[46:49], v60 offset:8288
	v_mul_f64 v[6:7], v[6:7], v[40:41]
	v_fmac_f64_e32 v[6:7], v[8:9], v[38:39]
	v_add_f64 v[50:51], v[50:51], v[80:81]
	v_add_f64 v[52:53], v[52:53], v[6:7]
	ds_read_b128 v[6:9], v60 offset:8304
	s_waitcnt lgkmcnt(1)
	v_mul_f64 v[80:81], v[48:49], v[12:13]
	v_mul_f64 v[12:13], v[46:47], v[12:13]
	v_add_f64 v[4:5], v[82:83], v[4:5]
	v_fma_f64 v[80:81], v[46:47], v[10:11], -v[80:81]
	v_fmac_f64_e32 v[12:13], v[48:49], v[10:11]
	v_add_f64 v[80:81], v[2:3], v[80:81]
	v_add_f64 v[82:83], v[4:5], v[12:13]
	v_mul_f64 v[2:3], v[48:49], v[40:41]
	v_mul_f64 v[12:13], v[46:47], v[40:41]
	v_fma_f64 v[10:11], v[46:47], v[38:39], -v[2:3]
	v_fmac_f64_e32 v[12:13], v[48:49], v[38:39]
	ds_read_b128 v[2:5], v55 offset:3584
	v_add_f64 v[38:39], v[72:73], v[10:11]
	v_add_f64 v[40:41], v[74:75], v[12:13]
	ds_read_b128 v[10:13], v55 offset:3840
	s_add_u32 s20, s20, 32
	s_waitcnt lgkmcnt(1)
	v_mul_f64 v[46:47], v[44:45], v[4:5]
	v_fma_f64 v[46:47], v[42:43], v[2:3], -v[46:47]
	v_mul_f64 v[48:49], v[42:43], v[4:5]
	s_waitcnt lgkmcnt(0)
	v_mul_f64 v[72:73], v[44:45], v[12:13]
	v_fma_f64 v[72:73], v[42:43], v[10:11], -v[72:73]
	v_mul_f64 v[42:43], v[42:43], v[12:13]
	v_fmac_f64_e32 v[42:43], v[44:45], v[10:11]
	v_add_f64 v[52:53], v[52:53], v[42:43]
	v_mul_f64 v[42:43], v[8:9], v[4:5]
	v_fma_f64 v[42:43], v[6:7], v[2:3], -v[42:43]
	v_mul_f64 v[4:5], v[6:7], v[4:5]
	v_fmac_f64_e32 v[48:49], v[44:45], v[2:3]
	v_fmac_f64_e32 v[4:5], v[8:9], v[2:3]
	v_add_f64 v[2:3], v[80:81], v[42:43]
	v_mul_f64 v[42:43], v[8:9], v[12:13]
	v_mul_f64 v[44:45], v[6:7], v[12:13]
	v_fma_f64 v[42:43], v[6:7], v[10:11], -v[42:43]
	v_fmac_f64_e32 v[44:45], v[8:9], v[10:11]
	ds_read_b128 v[6:9], v60 offset:128
	ds_read_b128 v[10:13], v55 offset:4096
	v_add_f64 v[50:51], v[50:51], v[72:73]
	v_add_f64 v[72:73], v[38:39], v[42:43]
	;; [unrolled: 1-line block ×3, first 2 shown]
	ds_read_b128 v[38:41], v55 offset:4352
	ds_read_b128 v[42:45], v60 offset:144
	v_add_f64 v[46:47], v[76:77], v[46:47]
	s_waitcnt lgkmcnt(2)
	v_mul_f64 v[76:77], v[8:9], v[12:13]
	v_add_f64 v[48:49], v[78:79], v[48:49]
	v_fma_f64 v[76:77], v[6:7], v[10:11], -v[76:77]
	v_mul_f64 v[78:79], v[6:7], v[12:13]
	v_fmac_f64_e32 v[78:79], v[8:9], v[10:11]
	v_add_f64 v[76:77], v[46:47], v[76:77]
	s_waitcnt lgkmcnt(1)
	v_mul_f64 v[46:47], v[8:9], v[40:41]
	v_add_f64 v[78:79], v[48:49], v[78:79]
	v_fma_f64 v[80:81], v[6:7], v[38:39], -v[46:47]
	ds_read_b128 v[46:49], v60 offset:8320
	v_mul_f64 v[6:7], v[6:7], v[40:41]
	v_fmac_f64_e32 v[6:7], v[8:9], v[38:39]
	v_add_f64 v[50:51], v[50:51], v[80:81]
	v_add_f64 v[52:53], v[52:53], v[6:7]
	ds_read_b128 v[6:9], v60 offset:8336
	s_waitcnt lgkmcnt(1)
	v_mul_f64 v[80:81], v[48:49], v[12:13]
	v_mul_f64 v[12:13], v[46:47], v[12:13]
	v_add_f64 v[4:5], v[82:83], v[4:5]
	v_fma_f64 v[80:81], v[46:47], v[10:11], -v[80:81]
	v_fmac_f64_e32 v[12:13], v[48:49], v[10:11]
	v_add_f64 v[80:81], v[2:3], v[80:81]
	v_add_f64 v[82:83], v[4:5], v[12:13]
	v_mul_f64 v[2:3], v[48:49], v[40:41]
	v_mul_f64 v[12:13], v[46:47], v[40:41]
	v_fma_f64 v[10:11], v[46:47], v[38:39], -v[2:3]
	v_fmac_f64_e32 v[12:13], v[48:49], v[38:39]
	ds_read_b128 v[2:5], v55 offset:4608
	v_add_f64 v[38:39], v[72:73], v[10:11]
	v_add_f64 v[40:41], v[74:75], v[12:13]
	ds_read_b128 v[10:13], v55 offset:4864
	s_addc_u32 s21, s21, 0
	s_waitcnt lgkmcnt(1)
	v_mul_f64 v[46:47], v[44:45], v[4:5]
	v_fma_f64 v[46:47], v[42:43], v[2:3], -v[46:47]
	v_mul_f64 v[48:49], v[42:43], v[4:5]
	s_waitcnt lgkmcnt(0)
	v_mul_f64 v[72:73], v[44:45], v[12:13]
	v_fma_f64 v[72:73], v[42:43], v[10:11], -v[72:73]
	v_mul_f64 v[42:43], v[42:43], v[12:13]
	v_fmac_f64_e32 v[42:43], v[44:45], v[10:11]
	v_add_f64 v[52:53], v[52:53], v[42:43]
	v_mul_f64 v[42:43], v[8:9], v[4:5]
	v_fma_f64 v[42:43], v[6:7], v[2:3], -v[42:43]
	v_mul_f64 v[4:5], v[6:7], v[4:5]
	v_fmac_f64_e32 v[48:49], v[44:45], v[2:3]
	v_fmac_f64_e32 v[4:5], v[8:9], v[2:3]
	v_add_f64 v[2:3], v[80:81], v[42:43]
	v_mul_f64 v[42:43], v[8:9], v[12:13]
	v_mul_f64 v[44:45], v[6:7], v[12:13]
	v_fma_f64 v[42:43], v[6:7], v[10:11], -v[42:43]
	v_fmac_f64_e32 v[44:45], v[8:9], v[10:11]
	ds_read_b128 v[6:9], v60 offset:160
	ds_read_b128 v[10:13], v55 offset:5120
	v_add_f64 v[50:51], v[50:51], v[72:73]
	v_add_f64 v[72:73], v[38:39], v[42:43]
	;; [unrolled: 1-line block ×3, first 2 shown]
	ds_read_b128 v[38:41], v55 offset:5376
	ds_read_b128 v[42:45], v60 offset:176
	v_add_f64 v[46:47], v[76:77], v[46:47]
	s_waitcnt lgkmcnt(2)
	v_mul_f64 v[76:77], v[8:9], v[12:13]
	v_add_f64 v[48:49], v[78:79], v[48:49]
	v_fma_f64 v[76:77], v[6:7], v[10:11], -v[76:77]
	v_mul_f64 v[78:79], v[6:7], v[12:13]
	v_fmac_f64_e32 v[78:79], v[8:9], v[10:11]
	v_add_f64 v[76:77], v[46:47], v[76:77]
	s_waitcnt lgkmcnt(1)
	v_mul_f64 v[46:47], v[8:9], v[40:41]
	v_add_f64 v[78:79], v[48:49], v[78:79]
	v_fma_f64 v[80:81], v[6:7], v[38:39], -v[46:47]
	ds_read_b128 v[46:49], v60 offset:8352
	v_mul_f64 v[6:7], v[6:7], v[40:41]
	v_fmac_f64_e32 v[6:7], v[8:9], v[38:39]
	v_add_f64 v[50:51], v[50:51], v[80:81]
	v_add_f64 v[52:53], v[52:53], v[6:7]
	ds_read_b128 v[6:9], v60 offset:8368
	s_waitcnt lgkmcnt(1)
	v_mul_f64 v[80:81], v[48:49], v[12:13]
	v_mul_f64 v[12:13], v[46:47], v[12:13]
	v_add_f64 v[4:5], v[82:83], v[4:5]
	v_fma_f64 v[80:81], v[46:47], v[10:11], -v[80:81]
	v_fmac_f64_e32 v[12:13], v[48:49], v[10:11]
	v_add_f64 v[80:81], v[2:3], v[80:81]
	v_add_f64 v[82:83], v[4:5], v[12:13]
	v_mul_f64 v[2:3], v[48:49], v[40:41]
	v_mul_f64 v[12:13], v[46:47], v[40:41]
	v_fma_f64 v[10:11], v[46:47], v[38:39], -v[2:3]
	v_fmac_f64_e32 v[12:13], v[48:49], v[38:39]
	ds_read_b128 v[2:5], v55 offset:5632
	v_add_f64 v[38:39], v[72:73], v[10:11]
	v_add_f64 v[40:41], v[74:75], v[12:13]
	ds_read_b128 v[10:13], v55 offset:5888
	s_add_u32 s18, s18, 0x200
	s_waitcnt lgkmcnt(1)
	v_mul_f64 v[46:47], v[44:45], v[4:5]
	v_fma_f64 v[46:47], v[42:43], v[2:3], -v[46:47]
	v_mul_f64 v[48:49], v[42:43], v[4:5]
	s_waitcnt lgkmcnt(0)
	v_mul_f64 v[72:73], v[44:45], v[12:13]
	v_fma_f64 v[72:73], v[42:43], v[10:11], -v[72:73]
	v_mul_f64 v[42:43], v[42:43], v[12:13]
	v_fmac_f64_e32 v[42:43], v[44:45], v[10:11]
	v_add_f64 v[52:53], v[52:53], v[42:43]
	v_mul_f64 v[42:43], v[8:9], v[4:5]
	v_fma_f64 v[42:43], v[6:7], v[2:3], -v[42:43]
	v_mul_f64 v[4:5], v[6:7], v[4:5]
	v_fmac_f64_e32 v[48:49], v[44:45], v[2:3]
	v_fmac_f64_e32 v[4:5], v[8:9], v[2:3]
	v_add_f64 v[2:3], v[80:81], v[42:43]
	v_mul_f64 v[42:43], v[8:9], v[12:13]
	v_mul_f64 v[44:45], v[6:7], v[12:13]
	v_fma_f64 v[42:43], v[6:7], v[10:11], -v[42:43]
	v_fmac_f64_e32 v[44:45], v[8:9], v[10:11]
	ds_read_b128 v[6:9], v60 offset:192
	ds_read_b128 v[10:13], v55 offset:6144
	v_add_f64 v[50:51], v[50:51], v[72:73]
	v_add_f64 v[72:73], v[38:39], v[42:43]
	v_add_f64 v[74:75], v[40:41], v[44:45]
	ds_read_b128 v[38:41], v55 offset:6400
	ds_read_b128 v[42:45], v60 offset:208
	v_add_f64 v[46:47], v[76:77], v[46:47]
	s_waitcnt lgkmcnt(2)
	v_mul_f64 v[76:77], v[8:9], v[12:13]
	v_add_f64 v[48:49], v[78:79], v[48:49]
	v_fma_f64 v[76:77], v[6:7], v[10:11], -v[76:77]
	v_mul_f64 v[78:79], v[6:7], v[12:13]
	v_fmac_f64_e32 v[78:79], v[8:9], v[10:11]
	v_add_f64 v[76:77], v[46:47], v[76:77]
	s_waitcnt lgkmcnt(1)
	v_mul_f64 v[46:47], v[8:9], v[40:41]
	v_add_f64 v[78:79], v[48:49], v[78:79]
	v_fma_f64 v[80:81], v[6:7], v[38:39], -v[46:47]
	ds_read_b128 v[46:49], v60 offset:8384
	v_mul_f64 v[6:7], v[6:7], v[40:41]
	v_fmac_f64_e32 v[6:7], v[8:9], v[38:39]
	v_add_f64 v[50:51], v[50:51], v[80:81]
	v_add_f64 v[52:53], v[52:53], v[6:7]
	ds_read_b128 v[6:9], v60 offset:8400
	s_waitcnt lgkmcnt(1)
	v_mul_f64 v[80:81], v[48:49], v[12:13]
	v_mul_f64 v[12:13], v[46:47], v[12:13]
	v_add_f64 v[4:5], v[82:83], v[4:5]
	v_fma_f64 v[80:81], v[46:47], v[10:11], -v[80:81]
	v_fmac_f64_e32 v[12:13], v[48:49], v[10:11]
	v_add_f64 v[80:81], v[2:3], v[80:81]
	v_add_f64 v[82:83], v[4:5], v[12:13]
	v_mul_f64 v[2:3], v[48:49], v[40:41]
	v_mul_f64 v[12:13], v[46:47], v[40:41]
	v_fma_f64 v[10:11], v[46:47], v[38:39], -v[2:3]
	v_fmac_f64_e32 v[12:13], v[48:49], v[38:39]
	ds_read_b128 v[2:5], v55 offset:6656
	v_add_f64 v[38:39], v[72:73], v[10:11]
	v_add_f64 v[40:41], v[74:75], v[12:13]
	ds_read_b128 v[10:13], v55 offset:6912
	s_addc_u32 s19, s19, 0
	s_waitcnt lgkmcnt(1)
	v_mul_f64 v[46:47], v[44:45], v[4:5]
	v_fma_f64 v[46:47], v[42:43], v[2:3], -v[46:47]
	v_mul_f64 v[48:49], v[42:43], v[4:5]
	s_waitcnt lgkmcnt(0)
	v_mul_f64 v[72:73], v[44:45], v[12:13]
	v_fma_f64 v[72:73], v[42:43], v[10:11], -v[72:73]
	v_mul_f64 v[42:43], v[42:43], v[12:13]
	v_fmac_f64_e32 v[42:43], v[44:45], v[10:11]
	v_add_f64 v[52:53], v[52:53], v[42:43]
	v_mul_f64 v[42:43], v[8:9], v[4:5]
	v_fma_f64 v[42:43], v[6:7], v[2:3], -v[42:43]
	v_mul_f64 v[4:5], v[6:7], v[4:5]
	v_fmac_f64_e32 v[48:49], v[44:45], v[2:3]
	v_fmac_f64_e32 v[4:5], v[8:9], v[2:3]
	v_add_f64 v[2:3], v[80:81], v[42:43]
	v_mul_f64 v[42:43], v[8:9], v[12:13]
	v_mul_f64 v[44:45], v[6:7], v[12:13]
	v_fma_f64 v[42:43], v[6:7], v[10:11], -v[42:43]
	v_fmac_f64_e32 v[44:45], v[8:9], v[10:11]
	ds_read_b128 v[6:9], v60 offset:224
	ds_read_b128 v[10:13], v55 offset:7168
	v_add_f64 v[50:51], v[50:51], v[72:73]
	v_add_f64 v[72:73], v[38:39], v[42:43]
	;; [unrolled: 1-line block ×3, first 2 shown]
	ds_read_b128 v[38:41], v55 offset:7424
	ds_read_b128 v[42:45], v60 offset:240
	v_add_f64 v[46:47], v[76:77], v[46:47]
	s_waitcnt lgkmcnt(2)
	v_mul_f64 v[76:77], v[8:9], v[12:13]
	v_add_f64 v[48:49], v[78:79], v[48:49]
	v_fma_f64 v[76:77], v[6:7], v[10:11], -v[76:77]
	v_mul_f64 v[78:79], v[6:7], v[12:13]
	v_fmac_f64_e32 v[78:79], v[8:9], v[10:11]
	v_add_f64 v[76:77], v[46:47], v[76:77]
	s_waitcnt lgkmcnt(1)
	v_mul_f64 v[46:47], v[8:9], v[40:41]
	v_add_f64 v[78:79], v[48:49], v[78:79]
	v_fma_f64 v[80:81], v[6:7], v[38:39], -v[46:47]
	ds_read_b128 v[46:49], v60 offset:8416
	v_mul_f64 v[6:7], v[6:7], v[40:41]
	v_fmac_f64_e32 v[6:7], v[8:9], v[38:39]
	v_add_f64 v[50:51], v[50:51], v[80:81]
	v_add_f64 v[52:53], v[52:53], v[6:7]
	ds_read_b128 v[6:9], v60 offset:8432
	s_waitcnt lgkmcnt(1)
	v_mul_f64 v[80:81], v[48:49], v[12:13]
	v_mul_f64 v[12:13], v[46:47], v[12:13]
	v_add_f64 v[4:5], v[82:83], v[4:5]
	v_fma_f64 v[80:81], v[46:47], v[10:11], -v[80:81]
	v_fmac_f64_e32 v[12:13], v[48:49], v[10:11]
	v_add_f64 v[80:81], v[2:3], v[80:81]
	v_add_f64 v[82:83], v[4:5], v[12:13]
	v_mul_f64 v[2:3], v[48:49], v[40:41]
	v_mul_f64 v[12:13], v[46:47], v[40:41]
	v_fma_f64 v[10:11], v[46:47], v[38:39], -v[2:3]
	v_fmac_f64_e32 v[12:13], v[48:49], v[38:39]
	ds_read_b128 v[2:5], v55 offset:7680
	v_add_f64 v[38:39], v[72:73], v[10:11]
	v_add_f64 v[40:41], v[74:75], v[12:13]
	ds_read_b128 v[10:13], v55 offset:7936
	s_cmp_ge_i32 s20, s6
	s_waitcnt lgkmcnt(1)
	v_mul_f64 v[46:47], v[44:45], v[4:5]
	v_fma_f64 v[46:47], v[42:43], v[2:3], -v[46:47]
	v_mul_f64 v[48:49], v[42:43], v[4:5]
	s_waitcnt lgkmcnt(0)
	v_mul_f64 v[72:73], v[44:45], v[12:13]
	v_fma_f64 v[72:73], v[42:43], v[10:11], -v[72:73]
	v_mul_f64 v[42:43], v[42:43], v[12:13]
	v_fmac_f64_e32 v[42:43], v[44:45], v[10:11]
	v_add_f64 v[52:53], v[52:53], v[42:43]
	v_mul_f64 v[42:43], v[8:9], v[4:5]
	v_fma_f64 v[42:43], v[6:7], v[2:3], -v[42:43]
	v_mul_f64 v[4:5], v[6:7], v[4:5]
	v_fmac_f64_e32 v[48:49], v[44:45], v[2:3]
	v_fmac_f64_e32 v[4:5], v[8:9], v[2:3]
	v_add_f64 v[2:3], v[80:81], v[42:43]
	v_mul_f64 v[42:43], v[8:9], v[12:13]
	v_mul_f64 v[44:45], v[6:7], v[12:13]
	v_fma_f64 v[42:43], v[6:7], v[10:11], -v[42:43]
	v_fmac_f64_e32 v[44:45], v[8:9], v[10:11]
	ds_read_b128 v[6:9], v60 offset:256
	ds_read_b128 v[10:13], v55 offset:8192
	v_add_f64 v[50:51], v[50:51], v[72:73]
	v_add_f64 v[72:73], v[38:39], v[42:43]
	v_add_f64 v[74:75], v[40:41], v[44:45]
	ds_read_b128 v[38:41], v55 offset:8448
	ds_read_b128 v[42:45], v60 offset:272
	v_add_f64 v[46:47], v[76:77], v[46:47]
	s_waitcnt lgkmcnt(2)
	v_mul_f64 v[76:77], v[8:9], v[12:13]
	v_add_f64 v[48:49], v[78:79], v[48:49]
	v_fma_f64 v[76:77], v[6:7], v[10:11], -v[76:77]
	v_mul_f64 v[78:79], v[6:7], v[12:13]
	v_fmac_f64_e32 v[78:79], v[8:9], v[10:11]
	v_add_f64 v[76:77], v[46:47], v[76:77]
	s_waitcnt lgkmcnt(1)
	v_mul_f64 v[46:47], v[8:9], v[40:41]
	v_add_f64 v[78:79], v[48:49], v[78:79]
	v_fma_f64 v[80:81], v[6:7], v[38:39], -v[46:47]
	ds_read_b128 v[46:49], v60 offset:8448
	v_mul_f64 v[6:7], v[6:7], v[40:41]
	v_fmac_f64_e32 v[6:7], v[8:9], v[38:39]
	v_add_f64 v[50:51], v[50:51], v[80:81]
	v_add_f64 v[52:53], v[52:53], v[6:7]
	ds_read_b128 v[6:9], v60 offset:8464
	s_waitcnt lgkmcnt(1)
	v_mul_f64 v[80:81], v[48:49], v[12:13]
	v_mul_f64 v[12:13], v[46:47], v[12:13]
	v_add_f64 v[4:5], v[82:83], v[4:5]
	v_fma_f64 v[80:81], v[46:47], v[10:11], -v[80:81]
	v_fmac_f64_e32 v[12:13], v[48:49], v[10:11]
	v_add_f64 v[80:81], v[2:3], v[80:81]
	v_add_f64 v[82:83], v[4:5], v[12:13]
	v_mul_f64 v[2:3], v[48:49], v[40:41]
	v_mul_f64 v[12:13], v[46:47], v[40:41]
	v_fma_f64 v[10:11], v[46:47], v[38:39], -v[2:3]
	v_fmac_f64_e32 v[12:13], v[48:49], v[38:39]
	ds_read_b128 v[2:5], v55 offset:8704
	v_add_f64 v[38:39], v[72:73], v[10:11]
	v_add_f64 v[40:41], v[74:75], v[12:13]
	ds_read_b128 v[10:13], v55 offset:8960
	s_waitcnt lgkmcnt(1)
	v_mul_f64 v[46:47], v[44:45], v[4:5]
	v_fma_f64 v[46:47], v[42:43], v[2:3], -v[46:47]
	v_mul_f64 v[48:49], v[42:43], v[4:5]
	s_waitcnt lgkmcnt(0)
	v_mul_f64 v[72:73], v[44:45], v[12:13]
	v_fma_f64 v[72:73], v[42:43], v[10:11], -v[72:73]
	v_mul_f64 v[42:43], v[42:43], v[12:13]
	v_fmac_f64_e32 v[42:43], v[44:45], v[10:11]
	v_add_f64 v[52:53], v[52:53], v[42:43]
	v_mul_f64 v[42:43], v[8:9], v[4:5]
	v_fma_f64 v[42:43], v[6:7], v[2:3], -v[42:43]
	v_mul_f64 v[4:5], v[6:7], v[4:5]
	v_fmac_f64_e32 v[48:49], v[44:45], v[2:3]
	v_fmac_f64_e32 v[4:5], v[8:9], v[2:3]
	v_add_f64 v[2:3], v[80:81], v[42:43]
	v_mul_f64 v[42:43], v[8:9], v[12:13]
	v_mul_f64 v[44:45], v[6:7], v[12:13]
	v_fma_f64 v[42:43], v[6:7], v[10:11], -v[42:43]
	v_fmac_f64_e32 v[44:45], v[8:9], v[10:11]
	ds_read_b128 v[6:9], v60 offset:288
	ds_read_b128 v[10:13], v55 offset:9216
	v_add_f64 v[50:51], v[50:51], v[72:73]
	v_add_f64 v[72:73], v[38:39], v[42:43]
	v_add_f64 v[74:75], v[40:41], v[44:45]
	ds_read_b128 v[38:41], v55 offset:9472
	ds_read_b128 v[42:45], v60 offset:304
	v_add_f64 v[46:47], v[76:77], v[46:47]
	s_waitcnt lgkmcnt(2)
	v_mul_f64 v[76:77], v[8:9], v[12:13]
	v_add_f64 v[48:49], v[78:79], v[48:49]
	v_fma_f64 v[76:77], v[6:7], v[10:11], -v[76:77]
	v_mul_f64 v[78:79], v[6:7], v[12:13]
	v_fmac_f64_e32 v[78:79], v[8:9], v[10:11]
	v_add_f64 v[76:77], v[46:47], v[76:77]
	s_waitcnt lgkmcnt(1)
	v_mul_f64 v[46:47], v[8:9], v[40:41]
	v_add_f64 v[78:79], v[48:49], v[78:79]
	v_fma_f64 v[80:81], v[6:7], v[38:39], -v[46:47]
	ds_read_b128 v[46:49], v60 offset:8480
	v_mul_f64 v[6:7], v[6:7], v[40:41]
	v_fmac_f64_e32 v[6:7], v[8:9], v[38:39]
	v_add_f64 v[50:51], v[50:51], v[80:81]
	v_add_f64 v[52:53], v[52:53], v[6:7]
	ds_read_b128 v[6:9], v60 offset:8496
	s_waitcnt lgkmcnt(1)
	v_mul_f64 v[80:81], v[48:49], v[12:13]
	v_mul_f64 v[12:13], v[46:47], v[12:13]
	v_add_f64 v[4:5], v[82:83], v[4:5]
	v_fma_f64 v[80:81], v[46:47], v[10:11], -v[80:81]
	v_fmac_f64_e32 v[12:13], v[48:49], v[10:11]
	v_add_f64 v[80:81], v[2:3], v[80:81]
	v_add_f64 v[82:83], v[4:5], v[12:13]
	v_mul_f64 v[2:3], v[48:49], v[40:41]
	v_mul_f64 v[12:13], v[46:47], v[40:41]
	v_fma_f64 v[10:11], v[46:47], v[38:39], -v[2:3]
	v_fmac_f64_e32 v[12:13], v[48:49], v[38:39]
	ds_read_b128 v[2:5], v55 offset:9728
	v_add_f64 v[38:39], v[72:73], v[10:11]
	v_add_f64 v[40:41], v[74:75], v[12:13]
	ds_read_b128 v[10:13], v55 offset:9984
	;; [unrolled: 61-line block ×7, first 2 shown]
	s_waitcnt lgkmcnt(1)
	v_mul_f64 v[46:47], v[44:45], v[4:5]
	v_fma_f64 v[46:47], v[42:43], v[2:3], -v[46:47]
	v_mul_f64 v[48:49], v[42:43], v[4:5]
	s_waitcnt lgkmcnt(0)
	v_mul_f64 v[72:73], v[44:45], v[12:13]
	v_fma_f64 v[72:73], v[42:43], v[10:11], -v[72:73]
	v_mul_f64 v[42:43], v[42:43], v[12:13]
	v_fmac_f64_e32 v[42:43], v[44:45], v[10:11]
	v_add_f64 v[52:53], v[52:53], v[42:43]
	v_mul_f64 v[42:43], v[8:9], v[4:5]
	v_fma_f64 v[42:43], v[6:7], v[2:3], -v[42:43]
	v_mul_f64 v[4:5], v[6:7], v[4:5]
	v_fmac_f64_e32 v[48:49], v[44:45], v[2:3]
	v_fmac_f64_e32 v[4:5], v[8:9], v[2:3]
	v_add_f64 v[2:3], v[80:81], v[42:43]
	v_mul_f64 v[42:43], v[8:9], v[12:13]
	v_mul_f64 v[44:45], v[6:7], v[12:13]
	v_fma_f64 v[42:43], v[6:7], v[10:11], -v[42:43]
	v_fmac_f64_e32 v[44:45], v[8:9], v[10:11]
	ds_read_b128 v[6:9], v60 offset:480
	ds_read_b128 v[10:13], v55 offset:15360
	v_add_f64 v[50:51], v[50:51], v[72:73]
	v_add_f64 v[72:73], v[38:39], v[42:43]
	;; [unrolled: 1-line block ×3, first 2 shown]
	ds_read_b128 v[38:41], v55 offset:15616
	ds_read_b128 v[42:45], v60 offset:496
	v_add_f64 v[46:47], v[76:77], v[46:47]
	s_waitcnt lgkmcnt(2)
	v_mul_f64 v[76:77], v[8:9], v[12:13]
	v_add_f64 v[48:49], v[78:79], v[48:49]
	v_fma_f64 v[76:77], v[6:7], v[10:11], -v[76:77]
	v_mul_f64 v[78:79], v[6:7], v[12:13]
	v_fmac_f64_e32 v[78:79], v[8:9], v[10:11]
	v_add_f64 v[76:77], v[46:47], v[76:77]
	s_waitcnt lgkmcnt(1)
	v_mul_f64 v[46:47], v[8:9], v[40:41]
	v_add_f64 v[78:79], v[48:49], v[78:79]
	v_fma_f64 v[80:81], v[6:7], v[38:39], -v[46:47]
	ds_read_b128 v[46:49], v60 offset:8672
	v_mul_f64 v[6:7], v[6:7], v[40:41]
	v_fmac_f64_e32 v[6:7], v[8:9], v[38:39]
	v_add_f64 v[4:5], v[82:83], v[4:5]
	v_add_f64 v[80:81], v[50:51], v[80:81]
	;; [unrolled: 1-line block ×3, first 2 shown]
	ds_read_b128 v[6:9], v60 offset:8688
	s_waitcnt lgkmcnt(1)
	v_mul_f64 v[50:51], v[48:49], v[12:13]
	v_fma_f64 v[50:51], v[46:47], v[10:11], -v[50:51]
	v_mul_f64 v[12:13], v[46:47], v[12:13]
	v_fmac_f64_e32 v[12:13], v[48:49], v[10:11]
	v_add_f64 v[84:85], v[2:3], v[50:51]
	v_mul_f64 v[2:3], v[48:49], v[40:41]
	v_add_f64 v[86:87], v[4:5], v[12:13]
	v_fma_f64 v[10:11], v[46:47], v[38:39], -v[2:3]
	v_mul_f64 v[12:13], v[46:47], v[40:41]
	ds_read_b128 v[2:5], v55 offset:15872
	v_fmac_f64_e32 v[12:13], v[48:49], v[38:39]
	v_add_f64 v[38:39], v[72:73], v[10:11]
	v_add_f64 v[72:73], v[74:75], v[12:13]
	ds_read_b128 v[10:13], v55 offset:16128
	s_waitcnt lgkmcnt(1)
	v_mul_f64 v[40:41], v[44:45], v[4:5]
	v_fma_f64 v[40:41], v[42:43], v[2:3], -v[40:41]
	v_mul_f64 v[46:47], v[42:43], v[4:5]
	v_add_f64 v[50:51], v[76:77], v[40:41]
	s_waitcnt lgkmcnt(0)
	v_mul_f64 v[40:41], v[44:45], v[12:13]
	v_fmac_f64_e32 v[46:47], v[44:45], v[2:3]
	v_fma_f64 v[40:41], v[42:43], v[10:11], -v[40:41]
	v_add_f64 v[52:53], v[78:79], v[46:47]
	v_add_f64 v[46:47], v[80:81], v[40:41]
	v_mul_f64 v[40:41], v[8:9], v[4:5]
	v_mul_f64 v[4:5], v[6:7], v[4:5]
	;; [unrolled: 1-line block ×3, first 2 shown]
	v_fmac_f64_e32 v[4:5], v[8:9], v[2:3]
	v_fmac_f64_e32 v[42:43], v[44:45], v[10:11]
	v_fma_f64 v[40:41], v[6:7], v[2:3], -v[40:41]
	v_add_f64 v[44:45], v[86:87], v[4:5]
	v_mul_f64 v[2:3], v[8:9], v[12:13]
	v_mul_f64 v[4:5], v[6:7], v[12:13]
	v_fma_f64 v[2:3], v[6:7], v[10:11], -v[2:3]
	v_fmac_f64_e32 v[4:5], v[8:9], v[10:11]
	v_add_f64 v[48:49], v[82:83], v[42:43]
	v_add_f64 v[42:43], v[84:85], v[40:41]
	;; [unrolled: 1-line block ×4, first 2 shown]
	s_barrier
	s_cbranch_scc1 .LBB113_55
.LBB113_7:                              ;   Parent Loop BB113_4 Depth=1
                                        ; =>  This Inner Loop Header: Depth=2
	v_mov_b32_e32 v2, s21
	v_add_co_u32_e64 v6, s[10:11], s20, v14
	v_addc_co_u32_e64 v7, s[10:11], v15, v2, s[10:11]
	v_mov_b32_e32 v2, s19
	v_add_co_u32_e64 v4, s[10:11], s18, v65
	v_addc_co_u32_e64 v5, s[10:11], v66, v2, s[10:11]
	v_cmp_eq_u64_e64 s[10:11], s[20:21], v[22:23]
	v_cmp_le_i64_e64 s[12:13], s[38:39], v[6:7]
	s_and_b64 s[26:27], s[36:37], s[10:11]
	v_cmp_lt_i64_e64 s[10:11], v[6:7], v[16:17]
	s_or_b64 s[16:17], s[12:13], s[10:11]
	s_or_b64 s[16:17], s[16:17], s[26:27]
	s_or_b64 s[16:17], s[0:1], s[16:17]
	s_xor_b64 s[16:17], s[16:17], -1
	s_and_saveexec_b64 s[22:23], s[16:17]
	s_xor_b64 s[16:17], exec, s[22:23]
	s_cbranch_execz .LBB113_9
; %bb.8:                                ;   in Loop: Header=BB113_7 Depth=2
	global_load_dwordx4 v[8:11], v[4:5], off offset:-256
	s_waitcnt vmcnt(0)
	ds_write2_b64 v56, v[8:9], v[10:11] offset1:1
.LBB113_9:                              ;   in Loop: Header=BB113_7 Depth=2
	s_or_saveexec_b64 s[16:17], s[16:17]
	s_xor_b64 s[22:23], s[26:27], -1
	s_xor_b64 exec, exec, s[16:17]
	s_cbranch_execz .LBB113_15
; %bb.10:                               ;   in Loop: Header=BB113_7 Depth=2
	s_and_saveexec_b64 s[30:31], s[22:23]
	s_xor_b64 s[30:31], exec, s[30:31]
	s_cbranch_execz .LBB113_12
; %bb.11:                               ;   in Loop: Header=BB113_7 Depth=2
	v_mov_b32_e32 v8, v0
	v_mov_b32_e32 v9, v0
	;; [unrolled: 1-line block ×4, first 2 shown]
	ds_write_b128 v56, v[8:11]
.LBB113_12:                             ;   in Loop: Header=BB113_7 Depth=2
	s_andn2_saveexec_b64 s[30:31], s[30:31]
	s_cbranch_execz .LBB113_14
; %bb.13:                               ;   in Loop: Header=BB113_7 Depth=2
	v_mov_b32_e32 v2, v0
	v_mov_b32_e32 v3, v0
	ds_write_b128 v56, v[0:3]
.LBB113_14:                             ;   in Loop: Header=BB113_7 Depth=2
	s_or_b64 exec, exec, s[30:31]
.LBB113_15:                             ;   in Loop: Header=BB113_7 Depth=2
	s_or_b64 exec, exec, s[16:17]
	v_cmp_eq_u64_e64 s[16:17], s[20:21], v[24:25]
	s_and_b64 s[30:31], s[36:37], s[16:17]
	v_cmp_gt_i64_e64 s[16:17], v[18:19], v[6:7]
	s_or_b64 s[12:13], s[12:13], s[16:17]
	s_or_b64 s[12:13], s[12:13], s[30:31]
	;; [unrolled: 1-line block ×3, first 2 shown]
	s_xor_b64 s[12:13], s[12:13], -1
	s_and_saveexec_b64 s[16:17], s[12:13]
	s_xor_b64 s[16:17], exec, s[16:17]
	s_cbranch_execz .LBB113_17
; %bb.16:                               ;   in Loop: Header=BB113_7 Depth=2
	v_mov_b32_e32 v3, s19
	v_add_co_u32_e64 v2, s[12:13], s18, v67
	v_addc_co_u32_e64 v3, s[12:13], v68, v3, s[12:13]
	global_load_dwordx4 v[8:11], v[2:3], off
	s_waitcnt vmcnt(0)
	ds_write2_b64 v57, v[8:9], v[10:11] offset1:1
.LBB113_17:                             ;   in Loop: Header=BB113_7 Depth=2
	s_andn2_saveexec_b64 s[12:13], s[16:17]
	s_cbranch_execz .LBB113_23
; %bb.18:                               ;   in Loop: Header=BB113_7 Depth=2
	s_xor_b64 s[16:17], s[30:31], -1
	s_and_saveexec_b64 s[30:31], s[16:17]
	s_xor_b64 s[16:17], exec, s[30:31]
	s_cbranch_execz .LBB113_20
; %bb.19:                               ;   in Loop: Header=BB113_7 Depth=2
	v_mov_b32_e32 v8, v0
	v_mov_b32_e32 v9, v0
	;; [unrolled: 1-line block ×4, first 2 shown]
	ds_write_b128 v57, v[8:11]
.LBB113_20:                             ;   in Loop: Header=BB113_7 Depth=2
	s_andn2_saveexec_b64 s[16:17], s[16:17]
	s_cbranch_execz .LBB113_22
; %bb.21:                               ;   in Loop: Header=BB113_7 Depth=2
	v_mov_b32_e32 v2, v0
	v_mov_b32_e32 v3, v0
	ds_write_b128 v57, v[0:3]
.LBB113_22:                             ;   in Loop: Header=BB113_7 Depth=2
	s_or_b64 exec, exec, s[16:17]
.LBB113_23:                             ;   in Loop: Header=BB113_7 Depth=2
	s_or_b64 exec, exec, s[12:13]
	v_add_co_u32_e64 v2, s[12:13], 16, v6
	v_addc_co_u32_e64 v3, s[12:13], 0, v7, s[12:13]
	v_cmp_eq_u64_e64 s[16:17], s[20:21], v[26:27]
	v_cmp_le_i64_e64 s[12:13], s[38:39], v[2:3]
	s_and_b64 s[30:31], s[36:37], s[16:17]
	v_cmp_lt_i64_e64 s[16:17], v[2:3], v[16:17]
	s_or_b64 s[16:17], s[12:13], s[16:17]
	s_or_b64 s[16:17], s[16:17], s[30:31]
	;; [unrolled: 1-line block ×3, first 2 shown]
	s_xor_b64 s[16:17], s[16:17], -1
	s_and_saveexec_b64 s[54:55], s[16:17]
	s_xor_b64 s[16:17], exec, s[54:55]
	s_cbranch_execz .LBB113_25
; %bb.24:                               ;   in Loop: Header=BB113_7 Depth=2
	global_load_dwordx4 v[2:5], v[4:5], off
	s_waitcnt vmcnt(0)
	ds_write2_b64 v58, v[2:3], v[4:5] offset1:1
.LBB113_25:                             ;   in Loop: Header=BB113_7 Depth=2
	s_andn2_saveexec_b64 s[16:17], s[16:17]
	s_cbranch_execz .LBB113_31
; %bb.26:                               ;   in Loop: Header=BB113_7 Depth=2
	s_xor_b64 s[30:31], s[30:31], -1
	s_and_saveexec_b64 s[54:55], s[30:31]
	s_xor_b64 s[30:31], exec, s[54:55]
	s_cbranch_execz .LBB113_28
; %bb.27:                               ;   in Loop: Header=BB113_7 Depth=2
	v_mov_b32_e32 v2, v0
	v_mov_b32_e32 v3, v0
	v_mov_b32_e32 v4, v0
	v_mov_b32_e32 v5, v0
	ds_write_b128 v58, v[2:5]
.LBB113_28:                             ;   in Loop: Header=BB113_7 Depth=2
	s_andn2_saveexec_b64 s[30:31], s[30:31]
	s_cbranch_execz .LBB113_30
; %bb.29:                               ;   in Loop: Header=BB113_7 Depth=2
	v_mov_b32_e32 v2, v0
	v_mov_b32_e32 v3, v0
	ds_write_b128 v58, v[0:3]
.LBB113_30:                             ;   in Loop: Header=BB113_7 Depth=2
	s_or_b64 exec, exec, s[30:31]
.LBB113_31:                             ;   in Loop: Header=BB113_7 Depth=2
	s_or_b64 exec, exec, s[16:17]
	s_or_b64 s[10:11], s[12:13], s[10:11]
	s_or_b64 s[10:11], s[10:11], s[26:27]
	;; [unrolled: 1-line block ×3, first 2 shown]
	s_xor_b64 s[10:11], s[10:11], -1
	s_and_saveexec_b64 s[12:13], s[10:11]
	s_xor_b64 s[12:13], exec, s[12:13]
	s_cbranch_execz .LBB113_33
; %bb.32:                               ;   in Loop: Header=BB113_7 Depth=2
	v_mov_b32_e32 v3, s19
	v_add_co_u32_e64 v2, s[10:11], s18, v67
	v_addc_co_u32_e64 v3, s[10:11], v68, v3, s[10:11]
	global_load_dwordx4 v[2:5], v[2:3], off offset:256
	s_waitcnt vmcnt(0)
	ds_write2_b64 v59, v[2:3], v[4:5] offset1:1
.LBB113_33:                             ;   in Loop: Header=BB113_7 Depth=2
	s_andn2_saveexec_b64 s[10:11], s[12:13]
	s_cbranch_execz .LBB113_39
; %bb.34:                               ;   in Loop: Header=BB113_7 Depth=2
	s_and_saveexec_b64 s[12:13], s[22:23]
	s_xor_b64 s[12:13], exec, s[12:13]
	s_cbranch_execz .LBB113_36
; %bb.35:                               ;   in Loop: Header=BB113_7 Depth=2
	v_mov_b32_e32 v2, v0
	v_mov_b32_e32 v3, v0
	;; [unrolled: 1-line block ×4, first 2 shown]
	ds_write_b128 v59, v[2:5]
.LBB113_36:                             ;   in Loop: Header=BB113_7 Depth=2
	s_andn2_saveexec_b64 s[12:13], s[12:13]
	s_cbranch_execz .LBB113_38
; %bb.37:                               ;   in Loop: Header=BB113_7 Depth=2
	v_mov_b32_e32 v2, v0
	v_mov_b32_e32 v3, v0
	ds_write_b128 v59, v[0:3]
.LBB113_38:                             ;   in Loop: Header=BB113_7 Depth=2
	s_or_b64 exec, exec, s[12:13]
.LBB113_39:                             ;   in Loop: Header=BB113_7 Depth=2
	s_or_b64 exec, exec, s[10:11]
	v_mov_b32_e32 v3, s21
	v_add_co_u32_e64 v2, s[10:11], s20, v16
	v_addc_co_u32_e64 v3, s[10:11], v17, v3, s[10:11]
	v_cmp_gt_i64_e64 s[10:11], s[38:39], v[2:3]
	s_and_b64 s[12:13], vcc, s[10:11]
	s_xor_b64 s[12:13], s[12:13], -1
	s_and_saveexec_b64 s[16:17], s[12:13]
	s_xor_b64 s[12:13], exec, s[16:17]
	s_cbranch_execz .LBB113_41
; %bb.40:                               ;   in Loop: Header=BB113_7 Depth=2
	v_mov_b32_e32 v4, v0
	v_mov_b32_e32 v5, v0
	;; [unrolled: 1-line block ×4, first 2 shown]
	ds_write_b128 v61, v[4:7]
.LBB113_41:                             ;   in Loop: Header=BB113_7 Depth=2
	s_or_saveexec_b64 s[16:17], s[12:13]
	v_mov_b32_e32 v5, s19
	v_add_co_u32_e64 v4, s[12:13], s18, v34
	v_addc_co_u32_e64 v5, s[12:13], v35, v5, s[12:13]
	s_xor_b64 exec, exec, s[16:17]
	s_cbranch_execz .LBB113_43
; %bb.42:                               ;   in Loop: Header=BB113_7 Depth=2
	global_load_dwordx4 v[6:9], v[4:5], off offset:-256
	s_waitcnt vmcnt(0)
	ds_write2_b64 v61, v[6:7], v[8:9] offset1:1
.LBB113_43:                             ;   in Loop: Header=BB113_7 Depth=2
	s_or_b64 exec, exec, s[16:17]
	v_cmp_gt_i64_e64 s[12:13], s[42:43], v[2:3]
	s_and_b64 s[16:17], vcc, s[12:13]
	s_xor_b64 s[16:17], s[16:17], -1
	s_and_saveexec_b64 s[22:23], s[16:17]
	s_xor_b64 s[16:17], exec, s[22:23]
	s_cbranch_execz .LBB113_45
; %bb.44:                               ;   in Loop: Header=BB113_7 Depth=2
	v_mov_b32_e32 v2, v0
	v_mov_b32_e32 v3, v0
	;; [unrolled: 1-line block ×4, first 2 shown]
	ds_write_b128 v62, v[2:5]
                                        ; implicit-def: $vgpr4_vgpr5
.LBB113_45:                             ;   in Loop: Header=BB113_7 Depth=2
	s_andn2_saveexec_b64 s[16:17], s[16:17]
	s_cbranch_execz .LBB113_47
; %bb.46:                               ;   in Loop: Header=BB113_7 Depth=2
	global_load_dwordx4 v[2:5], v[4:5], off
	s_waitcnt vmcnt(0)
	ds_write2_b64 v62, v[2:3], v[4:5] offset1:1
.LBB113_47:                             ;   in Loop: Header=BB113_7 Depth=2
	s_or_b64 exec, exec, s[16:17]
	s_and_b64 s[10:11], s[8:9], s[10:11]
	s_xor_b64 s[10:11], s[10:11], -1
	s_and_saveexec_b64 s[16:17], s[10:11]
	s_xor_b64 s[10:11], exec, s[16:17]
	s_cbranch_execz .LBB113_49
; %bb.48:                               ;   in Loop: Header=BB113_7 Depth=2
	v_mov_b32_e32 v2, v0
	v_mov_b32_e32 v3, v0
	;; [unrolled: 1-line block ×4, first 2 shown]
	ds_write_b128 v63, v[2:5]
.LBB113_49:                             ;   in Loop: Header=BB113_7 Depth=2
	s_andn2_saveexec_b64 s[16:17], s[10:11]
	s_cbranch_execz .LBB113_51
; %bb.50:                               ;   in Loop: Header=BB113_7 Depth=2
	v_mov_b32_e32 v3, s19
	v_add_co_u32_e64 v2, s[10:11], s18, v36
	v_addc_co_u32_e64 v3, s[10:11], v37, v3, s[10:11]
	global_load_dwordx4 v[2:5], v[2:3], off offset:-256
	s_waitcnt vmcnt(0)
	ds_write2_b64 v63, v[2:3], v[4:5] offset1:1
.LBB113_51:                             ;   in Loop: Header=BB113_7 Depth=2
	s_or_b64 exec, exec, s[16:17]
	s_and_b64 s[10:11], s[8:9], s[12:13]
	s_xor_b64 s[10:11], s[10:11], -1
	s_and_saveexec_b64 s[12:13], s[10:11]
	s_xor_b64 s[10:11], exec, s[12:13]
	s_cbranch_execz .LBB113_53
; %bb.52:                               ;   in Loop: Header=BB113_7 Depth=2
	v_mov_b32_e32 v2, v0
	v_mov_b32_e32 v3, v0
	v_mov_b32_e32 v4, v0
	v_mov_b32_e32 v5, v0
	ds_write_b128 v64, v[2:5]
.LBB113_53:                             ;   in Loop: Header=BB113_7 Depth=2
	s_andn2_saveexec_b64 s[12:13], s[10:11]
	s_cbranch_execz .LBB113_6
; %bb.54:                               ;   in Loop: Header=BB113_7 Depth=2
	v_mov_b32_e32 v3, s19
	v_add_co_u32_e64 v2, s[10:11], s18, v36
	v_addc_co_u32_e64 v3, s[10:11], v37, v3, s[10:11]
	global_load_dwordx4 v[2:5], v[2:3], off
	s_waitcnt vmcnt(0)
	ds_write2_b64 v64, v[2:3], v[4:5] offset1:1
	s_branch .LBB113_6
.LBB113_55:                             ;   in Loop: Header=BB113_4 Depth=1
	v_mul_lo_u32 v4, v70, s40
	v_mul_lo_u32 v5, v69, s41
	v_mad_u64_u32 v[2:3], s[8:9], v69, s40, 0
	v_add3_u32 v3, v3, v5, v4
	v_lshlrev_b64 v[2:3], 4, v[2:3]
	v_mov_b32_e32 v4, s52
	v_add_co_u32_e64 v2, s[8:9], s51, v2
	v_cmp_gt_i32_e32 vcc, s50, v69
	v_addc_co_u32_e64 v3, s[8:9], v4, v3, s[8:9]
	s_and_b64 s[8:9], s[4:5], vcc
	s_and_saveexec_b64 s[10:11], s[8:9]
	s_cbranch_execz .LBB113_57
; %bb.56:                               ;   in Loop: Header=BB113_4 Depth=1
	v_add_co_u32_e64 v8, s[8:9], v2, v28
	v_addc_co_u32_e64 v9, s[8:9], v3, v29, s[8:9]
	global_load_dwordx4 v[4:7], v[8:9], off
	v_mul_f64 v[10:11], s[46:47], v[52:53]
	v_mul_f64 v[12:13], s[44:45], v[52:53]
	v_fma_f64 v[10:11], s[44:45], v[50:51], -v[10:11]
	v_fmac_f64_e32 v[12:13], s[46:47], v[50:51]
	s_waitcnt vmcnt(0)
	v_add_f64 v[4:5], v[4:5], v[10:11]
	v_add_f64 v[6:7], v[6:7], v[12:13]
	global_store_dwordx4 v[8:9], v[4:7], off
.LBB113_57:                             ;   in Loop: Header=BB113_4 Depth=1
	s_or_b64 exec, exec, s[10:11]
	s_and_b64 s[10:11], s[14:15], vcc
	s_and_saveexec_b64 s[8:9], s[10:11]
	s_cbranch_execz .LBB113_59
; %bb.58:                               ;   in Loop: Header=BB113_4 Depth=1
	v_lshlrev_b64 v[4:5], 4, v[20:21]
	v_add_co_u32_e32 v6, vcc, v2, v4
	v_addc_co_u32_e32 v7, vcc, v3, v5, vcc
	global_load_dwordx4 v[2:5], v[6:7], off
	v_mul_f64 v[8:9], s[46:47], v[48:49]
	v_mul_f64 v[10:11], s[44:45], v[48:49]
	v_fma_f64 v[8:9], s[44:45], v[46:47], -v[8:9]
	v_fmac_f64_e32 v[10:11], s[46:47], v[46:47]
	s_waitcnt vmcnt(0)
	v_add_f64 v[2:3], v[2:3], v[8:9]
	v_add_f64 v[4:5], v[4:5], v[10:11]
	global_store_dwordx4 v[6:7], v[2:5], off
.LBB113_59:                             ;   in Loop: Header=BB113_4 Depth=1
	s_or_b64 exec, exec, s[8:9]
	v_add_u32_e32 v2, 16, v69
	v_ashrrev_i32_e32 v3, 31, v2
	v_cmp_gt_i32_e32 vcc, s50, v2
	v_mul_lo_u32 v4, v3, s40
	v_mul_lo_u32 v5, v2, s41
	v_mad_u64_u32 v[2:3], s[8:9], v2, s40, 0
	v_add3_u32 v3, v3, v5, v4
	v_lshlrev_b64 v[2:3], 4, v[2:3]
	v_mov_b32_e32 v4, s52
	v_add_co_u32_e64 v2, s[8:9], s51, v2
	v_addc_co_u32_e64 v3, s[8:9], v4, v3, s[8:9]
	s_and_b64 s[8:9], s[4:5], vcc
	s_and_saveexec_b64 s[10:11], s[8:9]
	s_cbranch_execz .LBB113_61
; %bb.60:                               ;   in Loop: Header=BB113_4 Depth=1
	v_add_co_u32_e64 v8, s[8:9], v2, v28
	v_addc_co_u32_e64 v9, s[8:9], v3, v29, s[8:9]
	global_load_dwordx4 v[4:7], v[8:9], off
	v_mul_f64 v[10:11], s[46:47], v[44:45]
	v_mul_f64 v[12:13], s[44:45], v[44:45]
	v_fma_f64 v[10:11], s[44:45], v[42:43], -v[10:11]
	v_fmac_f64_e32 v[12:13], s[46:47], v[42:43]
	s_waitcnt vmcnt(0)
	v_add_f64 v[4:5], v[4:5], v[10:11]
	v_add_f64 v[6:7], v[6:7], v[12:13]
	global_store_dwordx4 v[8:9], v[4:7], off
.LBB113_61:                             ;   in Loop: Header=BB113_4 Depth=1
	s_or_b64 exec, exec, s[10:11]
	s_and_b64 s[10:11], s[14:15], vcc
	s_and_saveexec_b64 s[8:9], s[10:11]
	s_cbranch_execz .LBB113_3
; %bb.62:                               ;   in Loop: Header=BB113_4 Depth=1
	v_lshlrev_b64 v[4:5], 4, v[20:21]
	v_add_co_u32_e32 v6, vcc, v2, v4
	v_addc_co_u32_e32 v7, vcc, v3, v5, vcc
	global_load_dwordx4 v[2:5], v[6:7], off
	v_mul_f64 v[8:9], s[46:47], v[38:39]
	v_mul_f64 v[10:11], s[44:45], v[38:39]
	v_fma_f64 v[8:9], s[44:45], v[40:41], -v[8:9]
	v_fmac_f64_e32 v[10:11], s[46:47], v[40:41]
	s_waitcnt vmcnt(0)
	v_add_f64 v[2:3], v[2:3], v[8:9]
	v_add_f64 v[4:5], v[4:5], v[10:11]
	global_store_dwordx4 v[6:7], v[2:5], off
	s_branch .LBB113_3
.LBB113_63:
	s_endpgm
	.section	.rodata,"a",@progbits
	.p2align	6, 0x0
	.amdhsa_kernel _ZL30rocblas_trmm_outofplace_kernelI19rocblas_complex_numIdELi32ELi2ELb1ELb0ELb1ELb0ES1_KS1_S1_Ev17rocblas_diagonal_iiT6_lPT7_lllS6_lllPT8_llli
		.amdhsa_group_segment_fixed_size 32768
		.amdhsa_private_segment_fixed_size 0
		.amdhsa_kernarg_size 400
		.amdhsa_user_sgpr_count 6
		.amdhsa_user_sgpr_private_segment_buffer 1
		.amdhsa_user_sgpr_dispatch_ptr 0
		.amdhsa_user_sgpr_queue_ptr 0
		.amdhsa_user_sgpr_kernarg_segment_ptr 1
		.amdhsa_user_sgpr_dispatch_id 0
		.amdhsa_user_sgpr_flat_scratch_init 0
		.amdhsa_user_sgpr_kernarg_preload_length 0
		.amdhsa_user_sgpr_kernarg_preload_offset 0
		.amdhsa_user_sgpr_private_segment_size 0
		.amdhsa_uses_dynamic_stack 0
		.amdhsa_system_sgpr_private_segment_wavefront_offset 0
		.amdhsa_system_sgpr_workgroup_id_x 1
		.amdhsa_system_sgpr_workgroup_id_y 1
		.amdhsa_system_sgpr_workgroup_id_z 1
		.amdhsa_system_sgpr_workgroup_info 0
		.amdhsa_system_vgpr_workitem_id 1
		.amdhsa_next_free_vgpr 90
		.amdhsa_next_free_sgpr 56
		.amdhsa_accum_offset 92
		.amdhsa_reserve_vcc 1
		.amdhsa_reserve_flat_scratch 0
		.amdhsa_float_round_mode_32 0
		.amdhsa_float_round_mode_16_64 0
		.amdhsa_float_denorm_mode_32 3
		.amdhsa_float_denorm_mode_16_64 3
		.amdhsa_dx10_clamp 1
		.amdhsa_ieee_mode 1
		.amdhsa_fp16_overflow 0
		.amdhsa_tg_split 0
		.amdhsa_exception_fp_ieee_invalid_op 0
		.amdhsa_exception_fp_denorm_src 0
		.amdhsa_exception_fp_ieee_div_zero 0
		.amdhsa_exception_fp_ieee_overflow 0
		.amdhsa_exception_fp_ieee_underflow 0
		.amdhsa_exception_fp_ieee_inexact 0
		.amdhsa_exception_int_div_zero 0
	.end_amdhsa_kernel
	.section	.text._ZL30rocblas_trmm_outofplace_kernelI19rocblas_complex_numIdELi32ELi2ELb1ELb0ELb1ELb0ES1_KS1_S1_Ev17rocblas_diagonal_iiT6_lPT7_lllS6_lllPT8_llli,"axG",@progbits,_ZL30rocblas_trmm_outofplace_kernelI19rocblas_complex_numIdELi32ELi2ELb1ELb0ELb1ELb0ES1_KS1_S1_Ev17rocblas_diagonal_iiT6_lPT7_lllS6_lllPT8_llli,comdat
.Lfunc_end113:
	.size	_ZL30rocblas_trmm_outofplace_kernelI19rocblas_complex_numIdELi32ELi2ELb1ELb0ELb1ELb0ES1_KS1_S1_Ev17rocblas_diagonal_iiT6_lPT7_lllS6_lllPT8_llli, .Lfunc_end113-_ZL30rocblas_trmm_outofplace_kernelI19rocblas_complex_numIdELi32ELi2ELb1ELb0ELb1ELb0ES1_KS1_S1_Ev17rocblas_diagonal_iiT6_lPT7_lllS6_lllPT8_llli
                                        ; -- End function
	.section	.AMDGPU.csdata,"",@progbits
; Kernel info:
; codeLenInByte = 9580
; NumSgprs: 60
; NumVgprs: 90
; NumAgprs: 0
; TotalNumVgprs: 90
; ScratchSize: 0
; MemoryBound: 0
; FloatMode: 240
; IeeeMode: 1
; LDSByteSize: 32768 bytes/workgroup (compile time only)
; SGPRBlocks: 7
; VGPRBlocks: 11
; NumSGPRsForWavesPerEU: 60
; NumVGPRsForWavesPerEU: 90
; AccumOffset: 92
; Occupancy: 5
; WaveLimiterHint : 0
; COMPUTE_PGM_RSRC2:SCRATCH_EN: 0
; COMPUTE_PGM_RSRC2:USER_SGPR: 6
; COMPUTE_PGM_RSRC2:TRAP_HANDLER: 0
; COMPUTE_PGM_RSRC2:TGID_X_EN: 1
; COMPUTE_PGM_RSRC2:TGID_Y_EN: 1
; COMPUTE_PGM_RSRC2:TGID_Z_EN: 1
; COMPUTE_PGM_RSRC2:TIDIG_COMP_CNT: 1
; COMPUTE_PGM_RSRC3_GFX90A:ACCUM_OFFSET: 22
; COMPUTE_PGM_RSRC3_GFX90A:TG_SPLIT: 0
	.section	.text._ZL30rocblas_trmm_outofplace_kernelI19rocblas_complex_numIdELi32ELi2ELb1ELb1ELb1ELb0EPKS1_S2_S1_Ev17rocblas_diagonal_iiT6_lPT7_lllS7_lllPT8_llli,"axG",@progbits,_ZL30rocblas_trmm_outofplace_kernelI19rocblas_complex_numIdELi32ELi2ELb1ELb1ELb1ELb0EPKS1_S2_S1_Ev17rocblas_diagonal_iiT6_lPT7_lllS7_lllPT8_llli,comdat
	.globl	_ZL30rocblas_trmm_outofplace_kernelI19rocblas_complex_numIdELi32ELi2ELb1ELb1ELb1ELb0EPKS1_S2_S1_Ev17rocblas_diagonal_iiT6_lPT7_lllS7_lllPT8_llli ; -- Begin function _ZL30rocblas_trmm_outofplace_kernelI19rocblas_complex_numIdELi32ELi2ELb1ELb1ELb1ELb0EPKS1_S2_S1_Ev17rocblas_diagonal_iiT6_lPT7_lllS7_lllPT8_llli
	.p2align	8
	.type	_ZL30rocblas_trmm_outofplace_kernelI19rocblas_complex_numIdELi32ELi2ELb1ELb1ELb1ELb0EPKS1_S2_S1_Ev17rocblas_diagonal_iiT6_lPT7_lllS7_lllPT8_llli,@function
_ZL30rocblas_trmm_outofplace_kernelI19rocblas_complex_numIdELi32ELi2ELb1ELb1ELb1ELb0EPKS1_S2_S1_Ev17rocblas_diagonal_iiT6_lPT7_lllS7_lllPT8_llli: ; @_ZL30rocblas_trmm_outofplace_kernelI19rocblas_complex_numIdELi32ELi2ELb1ELb1ELb1ELb0EPKS1_S2_S1_Ev17rocblas_diagonal_iiT6_lPT7_lllS7_lllPT8_llli
; %bb.0:
	s_load_dwordx16 s[12:27], s[4:5], 0x10
	s_waitcnt lgkmcnt(0)
	s_mul_i32 s0, s8, s15
	s_mul_hi_u32 s1, s8, s14
	s_add_i32 s1, s1, s0
	s_mul_i32 s0, s8, s14
	s_lshl_b64 s[0:1], s[0:1], 4
	s_add_u32 s0, s12, s0
	s_addc_u32 s1, s13, s1
	s_load_dwordx4 s[28:31], s[0:1], 0x0
	s_waitcnt lgkmcnt(0)
	v_cmp_eq_f64_e64 s[0:1], s[28:29], 0
	v_cmp_eq_f64_e64 s[2:3], s[30:31], 0
	s_and_b64 s[0:1], s[0:1], s[2:3]
	s_and_b64 vcc, exec, s[0:1]
	s_cbranch_vccnz .LBB114_63
; %bb.1:
	s_load_dwordx4 s[44:47], s[4:5], 0x0
	s_waitcnt lgkmcnt(0)
	s_add_i32 s0, s46, -1
	s_ashr_i32 s1, s0, 31
	s_lshr_b32 s1, s1, 27
	s_add_i32 s0, s0, s1
	s_ashr_i32 s33, s0, 5
	s_cmp_gt_i32 s7, s33
	s_cbranch_scc1 .LBB114_63
; %bb.2:
	s_load_dwordx4 s[48:51], s[4:5], 0x70
	s_load_dwordx8 s[36:43], s[4:5], 0x50
	s_load_dword s47, s[4:5], 0x8c
	v_bfe_u32 v16, v0, 10, 10
	v_and_b32_e32 v0, 0x3ff, v0
	v_lshlrev_b32_e32 v3, 9, v16
	s_waitcnt lgkmcnt(0)
	s_mul_i32 s0, s8, s51
	s_mul_hi_u32 s1, s8, s50
	s_add_i32 s1, s1, s0
	s_mul_i32 s0, s8, s50
	s_lshl_b64 s[0:1], s[0:1], 4
	s_add_u32 s2, s40, s0
	s_addc_u32 s3, s41, s1
	s_lshl_b64 s[0:1], s[42:43], 4
	s_add_u32 s52, s2, s0
	s_addc_u32 s53, s3, s1
	s_lshl_b32 s54, s6, 5
	s_cmp_gt_i32 s6, -1
	v_add_u32_e32 v18, s54, v0
	s_cselect_b64 s[34:35], -1, 0
	s_cmpk_eq_i32 s44, 0x84
	v_ashrrev_i32_e32 v19, 31, v18
	s_cselect_b64 s[40:41], -1, 0
	s_ashr_i32 s43, s45, 31
	s_ashr_i32 s6, s46, 31
	v_add_co_u32_e32 v20, vcc, 16, v18
	v_addc_co_u32_e32 v21, vcc, 0, v19, vcc
	s_add_u32 s50, s45, -16
	s_mul_i32 s9, s39, s8
	s_mul_hi_u32 s10, s38, s8
	s_addc_u32 s51, s43, -1
	v_sub_co_u32_e32 v24, vcc, v18, v16
	s_add_i32 s11, s10, s9
	s_mul_i32 s10, s38, s8
	v_subbrev_co_u32_e32 v25, vcc, 0, v19, vcc
	s_lshl_b64 s[10:11], s[10:11], 4
	s_lshl_b64 s[12:13], s[26:27], 4
	v_add_co_u32_e32 v26, vcc, 16, v24
	s_add_u32 s9, s10, s12
	v_addc_co_u32_e32 v27, vcc, 0, v25, vcc
	s_addc_u32 s10, s11, s13
	v_add_co_u32_e32 v28, vcc, -16, v24
	s_add_u32 s9, s24, s9
	v_lshlrev_b32_e32 v1, 4, v0
	v_addc_co_u32_e32 v29, vcc, -1, v25, vcc
	s_addc_u32 s10, s25, s10
	v_add_u32_e32 v17, v1, v3
	v_add_u32_e32 v59, 0x4000, v3
	v_mov_b32_e32 v3, s10
	v_add_co_u32_e32 v4, vcc, s9, v1
	s_movk_i32 s55, 0x100
	v_addc_co_u32_e32 v3, vcc, 0, v3, vcc
	v_add_co_u32_e32 v30, vcc, s55, v4
	v_mad_u64_u32 v[4:5], s[10:11], s20, v18, 0
	s_mul_i32 s9, s23, s8
	s_mul_hi_u32 s10, s22, s8
	s_add_i32 s9, s10, s9
	s_mul_i32 s8, s22, s8
	v_addc_co_u32_e32 v31, vcc, 0, v3, vcc
	s_lshl_b64 s[24:25], s[36:37], 4
	s_lshl_b32 s44, s47, 5
	v_mul_lo_u32 v3, s20, v19
	v_mul_lo_u32 v6, s21, v18
	s_lshl_b64 s[8:9], s[8:9], 4
	s_lshl_b64 s[10:11], s[18:19], 4
	v_add3_u32 v5, v5, v3, v6
	s_add_u32 s8, s10, s8
	v_lshlrev_b64 v[4:5], 4, v[4:5]
	s_addc_u32 s9, s11, s9
	v_mov_b32_e32 v3, s9
	v_add_co_u32_e32 v4, vcc, s8, v4
	v_addc_co_u32_e32 v3, vcc, v3, v5, vcc
	v_lshlrev_b32_e32 v6, 4, v16
	v_add_co_u32_e32 v4, vcc, v4, v6
	v_addc_co_u32_e32 v3, vcc, 0, v3, vcc
	v_mov_b32_e32 v5, s17
	v_add_co_u32_e32 v4, vcc, s16, v4
	v_addc_co_u32_e32 v3, vcc, v3, v5, vcc
	v_add_co_u32_e32 v64, vcc, s55, v4
	v_addc_co_u32_e32 v65, vcc, 0, v3, vcc
	v_lshlrev_b64 v[34:35], 4, v[18:19]
	v_add_co_u32_e32 v3, vcc, s55, v34
	v_addc_co_u32_e32 v4, vcc, 0, v35, vcc
	v_mul_lo_u32 v7, s20, v4
	v_pk_mov_b32 v[4:5], s[8:9], s[8:9] op_sel:[0,1]
	v_mul_lo_u32 v8, s21, v3
	v_mad_u64_u32 v[4:5], s[8:9], s20, v3, v[4:5]
	v_add3_u32 v3, v8, v5, v7
	v_add_co_u32_e32 v4, vcc, v4, v6
	v_addc_co_u32_e32 v3, vcc, 0, v3, vcc
	s_mov_b32 s42, s45
	v_add_u32_e32 v60, v59, v1
	v_add_u32_e32 v22, 16, v18
	v_mov_b32_e32 v5, s17
	v_add_co_u32_e32 v66, vcc, s16, v4
	v_mov_b32_e32 v2, 0
	v_cmp_le_i32_e64 s[0:1], s45, v18
	v_cmp_le_i64_e64 s[2:3], s[42:43], v[20:21]
	v_add_u32_e32 v56, 0x100, v17
	v_add_u32_e32 v57, 0x2000, v17
	v_add_u32_e32 v58, 0x2100, v17
	v_add_u32_e32 v61, 0x100, v60
	v_add_u32_e32 v62, 0x2000, v60
	v_add_u32_e32 v63, 0x2100, v60
	v_cmp_gt_i32_e64 s[4:5], s45, v18
	v_cmp_gt_i32_e64 s[14:15], s45, v22
	v_ashrrev_i32_e32 v23, 31, v22
	v_lshl_add_u32 v32, s7, 5, v16
	v_addc_co_u32_e32 v67, vcc, v5, v3, vcc
	v_mov_b32_e32 v3, 0x3ff00000
	s_branch .LBB114_4
.LBB114_3:                              ;   in Loop: Header=BB114_4 Depth=1
	s_or_b64 exec, exec, s[8:9]
	s_add_i32 s7, s47, s7
	s_cmp_le_i32 s7, s33
	v_add_u32_e32 v32, s44, v32
	s_cbranch_scc0 .LBB114_63
.LBB114_4:                              ; =>This Loop Header: Depth=1
                                        ;     Child Loop BB114_7 Depth 2
	v_lshl_add_u32 v68, s7, 5, v16
	v_pk_mov_b32 v[52:53], 0, 0
	v_ashrrev_i32_e32 v69, 31, v68
	s_mov_b64 s[18:19], 0
	s_andn2_b64 vcc, exec, s[34:35]
	v_pk_mov_b32 v[54:55], v[52:53], v[52:53] op_sel:[0,1]
	v_pk_mov_b32 v[48:49], v[52:53], v[52:53] op_sel:[0,1]
	;; [unrolled: 1-line block ×7, first 2 shown]
	s_cbranch_vccnz .LBB114_55
; %bb.5:                                ;   in Loop: Header=BB114_4 Depth=1
	v_ashrrev_i32_e32 v33, 31, v32
	v_mad_u64_u32 v[36:37], s[8:9], s24, v32, v[30:31]
	v_mul_lo_u32 v4, s25, v32
	v_mul_lo_u32 v5, s24, v33
	v_add3_u32 v37, v4, v37, v5
	v_lshlrev_b64 v[4:5], 4, v[32:33]
	v_add_co_u32_e32 v4, vcc, 0x100, v4
	v_addc_co_u32_e32 v5, vcc, 0, v5, vcc
	v_mul_lo_u32 v5, s36, v5
	v_mul_lo_u32 v6, s37, v4
	v_mad_u64_u32 v[38:39], s[8:9], s36, v4, v[30:31]
	v_add3_u32 v39, v6, v39, v5
	v_mov_b32_e32 v5, s6
	v_sub_co_u32_e32 v4, vcc, s46, v68
	v_subb_co_u32_e32 v5, vcc, v5, v69, vcc
	v_pk_mov_b32 v[40:41], 0, 0
	v_cmp_lt_i64_e32 vcc, 0, v[4:5]
	v_cmp_lt_i64_e64 s[8:9], 16, v[4:5]
	s_mov_b64 s[20:21], 0
	v_pk_mov_b32 v[42:43], v[40:41], v[40:41] op_sel:[0,1]
	v_pk_mov_b32 v[46:47], v[40:41], v[40:41] op_sel:[0,1]
	;; [unrolled: 1-line block ×7, first 2 shown]
	s_branch .LBB114_7
.LBB114_6:                              ;   in Loop: Header=BB114_7 Depth=2
	s_or_b64 exec, exec, s[12:13]
	s_waitcnt lgkmcnt(0)
	s_barrier
	ds_read_b128 v[70:73], v1
	ds_read_b128 v[74:77], v59
	ds_read_b128 v[12:15], v59 offset:16
	ds_read_b128 v[8:11], v59 offset:32
	;; [unrolled: 1-line block ×4, first 2 shown]
	s_waitcnt lgkmcnt(4)
	v_mul_f64 v[82:83], v[76:77], v[72:73]
	v_fma_f64 v[82:83], v[74:75], v[70:71], -v[82:83]
	v_mul_f64 v[84:85], v[74:75], v[72:73]
	v_fmac_f64_e32 v[84:85], v[76:77], v[70:71]
	v_add_f64 v[82:83], v[52:53], v[82:83]
	s_waitcnt lgkmcnt(0)
	v_mul_f64 v[52:53], v[76:77], v[80:81]
	v_add_f64 v[84:85], v[54:55], v[84:85]
	v_fma_f64 v[86:87], v[74:75], v[78:79], -v[52:53]
	ds_read_b128 v[52:55], v59 offset:8192
	v_mul_f64 v[74:75], v[74:75], v[80:81]
	v_fmac_f64_e32 v[74:75], v[76:77], v[78:79]
	v_add_f64 v[76:77], v[48:49], v[86:87]
	v_add_f64 v[74:75], v[50:51], v[74:75]
	ds_read_b128 v[48:51], v59 offset:8208
	s_waitcnt lgkmcnt(1)
	v_mul_f64 v[86:87], v[54:55], v[72:73]
	v_fma_f64 v[86:87], v[52:53], v[70:71], -v[86:87]
	v_mul_f64 v[72:73], v[52:53], v[72:73]
	v_fmac_f64_e32 v[72:73], v[54:55], v[70:71]
	v_add_f64 v[70:71], v[44:45], v[86:87]
	v_mul_f64 v[44:45], v[54:55], v[80:81]
	v_add_f64 v[72:73], v[46:47], v[72:73]
	v_fma_f64 v[86:87], v[52:53], v[78:79], -v[44:45]
	v_mul_f64 v[52:53], v[52:53], v[80:81]
	ds_read_b128 v[44:47], v1 offset:512
	v_fmac_f64_e32 v[52:53], v[54:55], v[78:79]
	v_add_f64 v[54:55], v[42:43], v[86:87]
	v_add_f64 v[52:53], v[40:41], v[52:53]
	ds_read_b128 v[40:43], v1 offset:768
	s_waitcnt lgkmcnt(1)
	v_mul_f64 v[78:79], v[14:15], v[46:47]
	v_fma_f64 v[78:79], v[12:13], v[44:45], -v[78:79]
	v_add_f64 v[78:79], v[82:83], v[78:79]
	v_mul_f64 v[80:81], v[12:13], v[46:47]
	s_waitcnt lgkmcnt(0)
	v_mul_f64 v[82:83], v[14:15], v[42:43]
	v_fma_f64 v[82:83], v[12:13], v[40:41], -v[82:83]
	v_mul_f64 v[12:13], v[12:13], v[42:43]
	v_fmac_f64_e32 v[12:13], v[14:15], v[40:41]
	v_fmac_f64_e32 v[80:81], v[14:15], v[44:45]
	v_add_f64 v[74:75], v[74:75], v[12:13]
	v_mul_f64 v[12:13], v[50:51], v[46:47]
	v_mul_f64 v[14:15], v[48:49], v[46:47]
	v_fma_f64 v[12:13], v[48:49], v[44:45], -v[12:13]
	v_fmac_f64_e32 v[14:15], v[50:51], v[44:45]
	v_mul_f64 v[44:45], v[50:51], v[42:43]
	v_fma_f64 v[46:47], v[48:49], v[40:41], -v[44:45]
	v_mul_f64 v[48:49], v[48:49], v[42:43]
	ds_read_b128 v[42:45], v1 offset:1024
	v_fmac_f64_e32 v[48:49], v[50:51], v[40:41]
	v_add_f64 v[40:41], v[54:55], v[46:47]
	v_add_f64 v[54:55], v[52:53], v[48:49]
	ds_read_b128 v[46:49], v1 offset:1280
	s_waitcnt lgkmcnt(1)
	v_mul_f64 v[50:51], v[10:11], v[44:45]
	v_fma_f64 v[50:51], v[8:9], v[42:43], -v[50:51]
	v_mul_f64 v[52:53], v[8:9], v[44:45]
	v_add_f64 v[80:81], v[84:85], v[80:81]
	v_add_f64 v[12:13], v[70:71], v[12:13]
	v_fmac_f64_e32 v[52:53], v[10:11], v[42:43]
	v_add_f64 v[70:71], v[78:79], v[50:51]
	s_waitcnt lgkmcnt(0)
	v_mul_f64 v[50:51], v[10:11], v[48:49]
	v_add_f64 v[14:15], v[72:73], v[14:15]
	v_add_f64 v[72:73], v[80:81], v[52:53]
	v_fma_f64 v[78:79], v[8:9], v[46:47], -v[50:51]
	ds_read_b128 v[50:53], v59 offset:8224
	v_mul_f64 v[8:9], v[8:9], v[48:49]
	v_add_f64 v[76:77], v[76:77], v[82:83]
	v_fmac_f64_e32 v[8:9], v[10:11], v[46:47]
	v_add_f64 v[76:77], v[76:77], v[78:79]
	v_add_f64 v[74:75], v[74:75], v[8:9]
	ds_read_b128 v[8:11], v59 offset:8240
	s_waitcnt lgkmcnt(1)
	v_mul_f64 v[78:79], v[52:53], v[44:45]
	v_fma_f64 v[78:79], v[50:51], v[42:43], -v[78:79]
	v_mul_f64 v[44:45], v[50:51], v[44:45]
	v_add_f64 v[78:79], v[12:13], v[78:79]
	v_mul_f64 v[12:13], v[52:53], v[48:49]
	v_fmac_f64_e32 v[44:45], v[52:53], v[42:43]
	v_fma_f64 v[42:43], v[50:51], v[46:47], -v[12:13]
	v_mul_f64 v[48:49], v[50:51], v[48:49]
	v_add_f64 v[44:45], v[14:15], v[44:45]
	ds_read_b128 v[12:15], v1 offset:1536
	v_fmac_f64_e32 v[48:49], v[52:53], v[46:47]
	v_add_f64 v[46:47], v[40:41], v[42:43]
	ds_read_b128 v[40:43], v1 offset:1792
	v_add_f64 v[48:49], v[54:55], v[48:49]
	s_waitcnt lgkmcnt(1)
	v_mul_f64 v[50:51], v[6:7], v[14:15]
	v_fma_f64 v[50:51], v[4:5], v[12:13], -v[50:51]
	v_mul_f64 v[52:53], v[4:5], v[14:15]
	s_waitcnt lgkmcnt(0)
	v_mul_f64 v[54:55], v[6:7], v[42:43]
	v_fma_f64 v[54:55], v[4:5], v[40:41], -v[54:55]
	v_mul_f64 v[4:5], v[4:5], v[42:43]
	v_fmac_f64_e32 v[4:5], v[6:7], v[40:41]
	v_fmac_f64_e32 v[52:53], v[6:7], v[12:13]
	v_add_f64 v[50:51], v[70:71], v[50:51]
	v_add_f64 v[70:71], v[74:75], v[4:5]
	v_mul_f64 v[4:5], v[10:11], v[14:15]
	v_mul_f64 v[6:7], v[8:9], v[14:15]
	v_fma_f64 v[4:5], v[8:9], v[12:13], -v[4:5]
	v_fmac_f64_e32 v[6:7], v[10:11], v[12:13]
	v_mul_f64 v[12:13], v[10:11], v[42:43]
	v_mul_f64 v[42:43], v[8:9], v[42:43]
	v_add_f64 v[6:7], v[44:45], v[6:7]
	v_fma_f64 v[44:45], v[8:9], v[40:41], -v[12:13]
	v_fmac_f64_e32 v[42:43], v[10:11], v[40:41]
	ds_read_b128 v[8:11], v59 offset:64
	ds_read_b128 v[12:15], v1 offset:2048
	v_add_f64 v[52:53], v[72:73], v[52:53]
	v_add_f64 v[72:73], v[46:47], v[44:45]
	;; [unrolled: 1-line block ×3, first 2 shown]
	ds_read_b128 v[40:43], v1 offset:2304
	ds_read_b128 v[44:47], v59 offset:80
	s_waitcnt lgkmcnt(2)
	v_mul_f64 v[48:49], v[10:11], v[14:15]
	v_add_f64 v[54:55], v[76:77], v[54:55]
	v_fma_f64 v[48:49], v[8:9], v[12:13], -v[48:49]
	v_mul_f64 v[76:77], v[8:9], v[14:15]
	v_add_f64 v[4:5], v[78:79], v[4:5]
	v_fmac_f64_e32 v[76:77], v[10:11], v[12:13]
	v_add_f64 v[78:79], v[50:51], v[48:49]
	s_waitcnt lgkmcnt(1)
	v_mul_f64 v[48:49], v[10:11], v[42:43]
	v_add_f64 v[52:53], v[52:53], v[76:77]
	v_fma_f64 v[76:77], v[8:9], v[40:41], -v[48:49]
	ds_read_b128 v[48:51], v59 offset:8256
	v_mul_f64 v[8:9], v[8:9], v[42:43]
	v_fmac_f64_e32 v[8:9], v[10:11], v[40:41]
	v_add_f64 v[54:55], v[54:55], v[76:77]
	v_add_f64 v[70:71], v[70:71], v[8:9]
	ds_read_b128 v[8:11], v59 offset:8272
	s_waitcnt lgkmcnt(1)
	v_mul_f64 v[76:77], v[50:51], v[14:15]
	v_fma_f64 v[76:77], v[48:49], v[12:13], -v[76:77]
	v_mul_f64 v[14:15], v[48:49], v[14:15]
	v_fmac_f64_e32 v[14:15], v[50:51], v[12:13]
	v_add_f64 v[76:77], v[4:5], v[76:77]
	v_mul_f64 v[4:5], v[50:51], v[42:43]
	v_add_f64 v[80:81], v[6:7], v[14:15]
	v_fma_f64 v[12:13], v[48:49], v[40:41], -v[4:5]
	v_mul_f64 v[14:15], v[48:49], v[42:43]
	ds_read_b128 v[4:7], v1 offset:2560
	v_fmac_f64_e32 v[14:15], v[50:51], v[40:41]
	v_add_f64 v[40:41], v[72:73], v[12:13]
	v_add_f64 v[42:43], v[74:75], v[14:15]
	ds_read_b128 v[12:15], v1 offset:2816
	s_waitcnt lgkmcnt(1)
	v_mul_f64 v[50:51], v[44:45], v[6:7]
	v_fmac_f64_e32 v[50:51], v[46:47], v[4:5]
	v_mul_f64 v[48:49], v[46:47], v[6:7]
	v_add_f64 v[50:51], v[52:53], v[50:51]
	s_waitcnt lgkmcnt(0)
	v_mul_f64 v[52:53], v[46:47], v[14:15]
	v_fma_f64 v[48:49], v[44:45], v[4:5], -v[48:49]
	v_fma_f64 v[52:53], v[44:45], v[12:13], -v[52:53]
	v_mul_f64 v[44:45], v[44:45], v[14:15]
	v_fmac_f64_e32 v[44:45], v[46:47], v[12:13]
	v_add_f64 v[52:53], v[54:55], v[52:53]
	v_add_f64 v[54:55], v[70:71], v[44:45]
	v_mul_f64 v[44:45], v[10:11], v[6:7]
	v_fma_f64 v[44:45], v[8:9], v[4:5], -v[44:45]
	v_mul_f64 v[6:7], v[8:9], v[6:7]
	v_fmac_f64_e32 v[6:7], v[10:11], v[4:5]
	v_add_f64 v[4:5], v[76:77], v[44:45]
	v_mul_f64 v[44:45], v[10:11], v[14:15]
	v_mul_f64 v[46:47], v[8:9], v[14:15]
	v_fma_f64 v[44:45], v[8:9], v[12:13], -v[44:45]
	v_fmac_f64_e32 v[46:47], v[10:11], v[12:13]
	ds_read_b128 v[8:11], v59 offset:96
	ds_read_b128 v[12:15], v1 offset:3072
	v_add_f64 v[70:71], v[40:41], v[44:45]
	v_add_f64 v[72:73], v[42:43], v[46:47]
	ds_read_b128 v[40:43], v1 offset:3328
	ds_read_b128 v[44:47], v59 offset:112
	v_add_f64 v[48:49], v[78:79], v[48:49]
	s_waitcnt lgkmcnt(2)
	v_mul_f64 v[74:75], v[10:11], v[14:15]
	v_fma_f64 v[74:75], v[8:9], v[12:13], -v[74:75]
	v_mul_f64 v[76:77], v[8:9], v[14:15]
	v_fmac_f64_e32 v[76:77], v[10:11], v[12:13]
	v_add_f64 v[74:75], v[48:49], v[74:75]
	s_waitcnt lgkmcnt(1)
	v_mul_f64 v[48:49], v[10:11], v[42:43]
	v_add_f64 v[76:77], v[50:51], v[76:77]
	v_fma_f64 v[78:79], v[8:9], v[40:41], -v[48:49]
	ds_read_b128 v[48:51], v59 offset:8288
	v_mul_f64 v[8:9], v[8:9], v[42:43]
	v_fmac_f64_e32 v[8:9], v[10:11], v[40:41]
	v_add_f64 v[52:53], v[52:53], v[78:79]
	v_add_f64 v[54:55], v[54:55], v[8:9]
	ds_read_b128 v[8:11], v59 offset:8304
	s_waitcnt lgkmcnt(1)
	v_mul_f64 v[78:79], v[50:51], v[14:15]
	v_mul_f64 v[14:15], v[48:49], v[14:15]
	v_add_f64 v[6:7], v[80:81], v[6:7]
	v_fma_f64 v[78:79], v[48:49], v[12:13], -v[78:79]
	v_fmac_f64_e32 v[14:15], v[50:51], v[12:13]
	v_add_f64 v[78:79], v[4:5], v[78:79]
	v_add_f64 v[80:81], v[6:7], v[14:15]
	v_mul_f64 v[4:5], v[50:51], v[42:43]
	v_mul_f64 v[14:15], v[48:49], v[42:43]
	v_fma_f64 v[12:13], v[48:49], v[40:41], -v[4:5]
	v_fmac_f64_e32 v[14:15], v[50:51], v[40:41]
	ds_read_b128 v[4:7], v1 offset:3584
	v_add_f64 v[40:41], v[70:71], v[12:13]
	v_add_f64 v[42:43], v[72:73], v[14:15]
	ds_read_b128 v[12:15], v1 offset:3840
	s_add_u32 s20, s20, 32
	s_waitcnt lgkmcnt(1)
	v_mul_f64 v[48:49], v[46:47], v[6:7]
	v_fma_f64 v[48:49], v[44:45], v[4:5], -v[48:49]
	v_mul_f64 v[50:51], v[44:45], v[6:7]
	s_waitcnt lgkmcnt(0)
	v_mul_f64 v[70:71], v[46:47], v[14:15]
	v_fma_f64 v[70:71], v[44:45], v[12:13], -v[70:71]
	v_mul_f64 v[44:45], v[44:45], v[14:15]
	v_fmac_f64_e32 v[44:45], v[46:47], v[12:13]
	v_add_f64 v[54:55], v[54:55], v[44:45]
	v_mul_f64 v[44:45], v[10:11], v[6:7]
	v_fma_f64 v[44:45], v[8:9], v[4:5], -v[44:45]
	v_mul_f64 v[6:7], v[8:9], v[6:7]
	v_fmac_f64_e32 v[50:51], v[46:47], v[4:5]
	v_fmac_f64_e32 v[6:7], v[10:11], v[4:5]
	v_add_f64 v[4:5], v[78:79], v[44:45]
	v_mul_f64 v[44:45], v[10:11], v[14:15]
	v_mul_f64 v[46:47], v[8:9], v[14:15]
	v_fma_f64 v[44:45], v[8:9], v[12:13], -v[44:45]
	v_fmac_f64_e32 v[46:47], v[10:11], v[12:13]
	ds_read_b128 v[8:11], v59 offset:128
	ds_read_b128 v[12:15], v1 offset:4096
	v_add_f64 v[52:53], v[52:53], v[70:71]
	v_add_f64 v[70:71], v[40:41], v[44:45]
	;; [unrolled: 1-line block ×3, first 2 shown]
	ds_read_b128 v[40:43], v1 offset:4352
	ds_read_b128 v[44:47], v59 offset:144
	v_add_f64 v[48:49], v[74:75], v[48:49]
	s_waitcnt lgkmcnt(2)
	v_mul_f64 v[74:75], v[10:11], v[14:15]
	v_add_f64 v[50:51], v[76:77], v[50:51]
	v_fma_f64 v[74:75], v[8:9], v[12:13], -v[74:75]
	v_mul_f64 v[76:77], v[8:9], v[14:15]
	v_fmac_f64_e32 v[76:77], v[10:11], v[12:13]
	v_add_f64 v[74:75], v[48:49], v[74:75]
	s_waitcnt lgkmcnt(1)
	v_mul_f64 v[48:49], v[10:11], v[42:43]
	v_add_f64 v[76:77], v[50:51], v[76:77]
	v_fma_f64 v[78:79], v[8:9], v[40:41], -v[48:49]
	ds_read_b128 v[48:51], v59 offset:8320
	v_mul_f64 v[8:9], v[8:9], v[42:43]
	v_fmac_f64_e32 v[8:9], v[10:11], v[40:41]
	v_add_f64 v[52:53], v[52:53], v[78:79]
	v_add_f64 v[54:55], v[54:55], v[8:9]
	ds_read_b128 v[8:11], v59 offset:8336
	s_waitcnt lgkmcnt(1)
	v_mul_f64 v[78:79], v[50:51], v[14:15]
	v_mul_f64 v[14:15], v[48:49], v[14:15]
	v_add_f64 v[6:7], v[80:81], v[6:7]
	v_fma_f64 v[78:79], v[48:49], v[12:13], -v[78:79]
	v_fmac_f64_e32 v[14:15], v[50:51], v[12:13]
	v_add_f64 v[78:79], v[4:5], v[78:79]
	v_add_f64 v[80:81], v[6:7], v[14:15]
	v_mul_f64 v[4:5], v[50:51], v[42:43]
	v_mul_f64 v[14:15], v[48:49], v[42:43]
	v_fma_f64 v[12:13], v[48:49], v[40:41], -v[4:5]
	v_fmac_f64_e32 v[14:15], v[50:51], v[40:41]
	ds_read_b128 v[4:7], v1 offset:4608
	v_add_f64 v[40:41], v[70:71], v[12:13]
	v_add_f64 v[42:43], v[72:73], v[14:15]
	ds_read_b128 v[12:15], v1 offset:4864
	s_addc_u32 s21, s21, 0
	s_waitcnt lgkmcnt(1)
	v_mul_f64 v[48:49], v[46:47], v[6:7]
	v_fma_f64 v[48:49], v[44:45], v[4:5], -v[48:49]
	v_mul_f64 v[50:51], v[44:45], v[6:7]
	s_waitcnt lgkmcnt(0)
	v_mul_f64 v[70:71], v[46:47], v[14:15]
	v_fma_f64 v[70:71], v[44:45], v[12:13], -v[70:71]
	v_mul_f64 v[44:45], v[44:45], v[14:15]
	v_fmac_f64_e32 v[44:45], v[46:47], v[12:13]
	v_add_f64 v[54:55], v[54:55], v[44:45]
	v_mul_f64 v[44:45], v[10:11], v[6:7]
	v_fma_f64 v[44:45], v[8:9], v[4:5], -v[44:45]
	v_mul_f64 v[6:7], v[8:9], v[6:7]
	v_fmac_f64_e32 v[50:51], v[46:47], v[4:5]
	v_fmac_f64_e32 v[6:7], v[10:11], v[4:5]
	v_add_f64 v[4:5], v[78:79], v[44:45]
	v_mul_f64 v[44:45], v[10:11], v[14:15]
	v_mul_f64 v[46:47], v[8:9], v[14:15]
	v_fma_f64 v[44:45], v[8:9], v[12:13], -v[44:45]
	v_fmac_f64_e32 v[46:47], v[10:11], v[12:13]
	ds_read_b128 v[8:11], v59 offset:160
	ds_read_b128 v[12:15], v1 offset:5120
	v_add_f64 v[52:53], v[52:53], v[70:71]
	v_add_f64 v[70:71], v[40:41], v[44:45]
	;; [unrolled: 1-line block ×3, first 2 shown]
	ds_read_b128 v[40:43], v1 offset:5376
	ds_read_b128 v[44:47], v59 offset:176
	v_add_f64 v[48:49], v[74:75], v[48:49]
	s_waitcnt lgkmcnt(2)
	v_mul_f64 v[74:75], v[10:11], v[14:15]
	v_add_f64 v[50:51], v[76:77], v[50:51]
	v_fma_f64 v[74:75], v[8:9], v[12:13], -v[74:75]
	v_mul_f64 v[76:77], v[8:9], v[14:15]
	v_fmac_f64_e32 v[76:77], v[10:11], v[12:13]
	v_add_f64 v[74:75], v[48:49], v[74:75]
	s_waitcnt lgkmcnt(1)
	v_mul_f64 v[48:49], v[10:11], v[42:43]
	v_add_f64 v[76:77], v[50:51], v[76:77]
	v_fma_f64 v[78:79], v[8:9], v[40:41], -v[48:49]
	ds_read_b128 v[48:51], v59 offset:8352
	v_mul_f64 v[8:9], v[8:9], v[42:43]
	v_fmac_f64_e32 v[8:9], v[10:11], v[40:41]
	v_add_f64 v[52:53], v[52:53], v[78:79]
	v_add_f64 v[54:55], v[54:55], v[8:9]
	ds_read_b128 v[8:11], v59 offset:8368
	s_waitcnt lgkmcnt(1)
	v_mul_f64 v[78:79], v[50:51], v[14:15]
	v_mul_f64 v[14:15], v[48:49], v[14:15]
	v_add_f64 v[6:7], v[80:81], v[6:7]
	v_fma_f64 v[78:79], v[48:49], v[12:13], -v[78:79]
	v_fmac_f64_e32 v[14:15], v[50:51], v[12:13]
	v_add_f64 v[78:79], v[4:5], v[78:79]
	v_add_f64 v[80:81], v[6:7], v[14:15]
	v_mul_f64 v[4:5], v[50:51], v[42:43]
	v_mul_f64 v[14:15], v[48:49], v[42:43]
	v_fma_f64 v[12:13], v[48:49], v[40:41], -v[4:5]
	v_fmac_f64_e32 v[14:15], v[50:51], v[40:41]
	ds_read_b128 v[4:7], v1 offset:5632
	v_add_f64 v[40:41], v[70:71], v[12:13]
	v_add_f64 v[42:43], v[72:73], v[14:15]
	ds_read_b128 v[12:15], v1 offset:5888
	s_sub_i32 s10, s20, 32
	s_waitcnt lgkmcnt(1)
	v_mul_f64 v[48:49], v[46:47], v[6:7]
	v_fma_f64 v[48:49], v[44:45], v[4:5], -v[48:49]
	v_mul_f64 v[50:51], v[44:45], v[6:7]
	s_waitcnt lgkmcnt(0)
	v_mul_f64 v[70:71], v[46:47], v[14:15]
	v_fma_f64 v[70:71], v[44:45], v[12:13], -v[70:71]
	v_mul_f64 v[44:45], v[44:45], v[14:15]
	v_fmac_f64_e32 v[44:45], v[46:47], v[12:13]
	v_add_f64 v[54:55], v[54:55], v[44:45]
	v_mul_f64 v[44:45], v[10:11], v[6:7]
	v_fma_f64 v[44:45], v[8:9], v[4:5], -v[44:45]
	v_mul_f64 v[6:7], v[8:9], v[6:7]
	v_fmac_f64_e32 v[50:51], v[46:47], v[4:5]
	v_fmac_f64_e32 v[6:7], v[10:11], v[4:5]
	v_add_f64 v[4:5], v[78:79], v[44:45]
	v_mul_f64 v[44:45], v[10:11], v[14:15]
	v_mul_f64 v[46:47], v[8:9], v[14:15]
	v_fma_f64 v[44:45], v[8:9], v[12:13], -v[44:45]
	v_fmac_f64_e32 v[46:47], v[10:11], v[12:13]
	ds_read_b128 v[8:11], v59 offset:192
	ds_read_b128 v[12:15], v1 offset:6144
	v_add_f64 v[52:53], v[52:53], v[70:71]
	v_add_f64 v[70:71], v[40:41], v[44:45]
	;; [unrolled: 1-line block ×3, first 2 shown]
	ds_read_b128 v[40:43], v1 offset:6400
	ds_read_b128 v[44:47], v59 offset:208
	v_add_f64 v[48:49], v[74:75], v[48:49]
	s_waitcnt lgkmcnt(2)
	v_mul_f64 v[74:75], v[10:11], v[14:15]
	v_add_f64 v[50:51], v[76:77], v[50:51]
	v_fma_f64 v[74:75], v[8:9], v[12:13], -v[74:75]
	v_mul_f64 v[76:77], v[8:9], v[14:15]
	v_fmac_f64_e32 v[76:77], v[10:11], v[12:13]
	v_add_f64 v[74:75], v[48:49], v[74:75]
	s_waitcnt lgkmcnt(1)
	v_mul_f64 v[48:49], v[10:11], v[42:43]
	v_add_f64 v[76:77], v[50:51], v[76:77]
	v_fma_f64 v[78:79], v[8:9], v[40:41], -v[48:49]
	ds_read_b128 v[48:51], v59 offset:8384
	v_mul_f64 v[8:9], v[8:9], v[42:43]
	v_fmac_f64_e32 v[8:9], v[10:11], v[40:41]
	v_add_f64 v[52:53], v[52:53], v[78:79]
	v_add_f64 v[54:55], v[54:55], v[8:9]
	ds_read_b128 v[8:11], v59 offset:8400
	s_waitcnt lgkmcnt(1)
	v_mul_f64 v[78:79], v[50:51], v[14:15]
	v_mul_f64 v[14:15], v[48:49], v[14:15]
	v_add_f64 v[6:7], v[80:81], v[6:7]
	v_fma_f64 v[78:79], v[48:49], v[12:13], -v[78:79]
	v_fmac_f64_e32 v[14:15], v[50:51], v[12:13]
	v_add_f64 v[78:79], v[4:5], v[78:79]
	v_add_f64 v[80:81], v[6:7], v[14:15]
	v_mul_f64 v[4:5], v[50:51], v[42:43]
	v_mul_f64 v[14:15], v[48:49], v[42:43]
	v_fma_f64 v[12:13], v[48:49], v[40:41], -v[4:5]
	v_fmac_f64_e32 v[14:15], v[50:51], v[40:41]
	ds_read_b128 v[4:7], v1 offset:6656
	v_add_f64 v[40:41], v[70:71], v[12:13]
	v_add_f64 v[42:43], v[72:73], v[14:15]
	ds_read_b128 v[12:15], v1 offset:6912
	s_add_u32 s18, s18, 0x200
	s_waitcnt lgkmcnt(1)
	v_mul_f64 v[48:49], v[46:47], v[6:7]
	v_fma_f64 v[48:49], v[44:45], v[4:5], -v[48:49]
	v_mul_f64 v[50:51], v[44:45], v[6:7]
	s_waitcnt lgkmcnt(0)
	v_mul_f64 v[70:71], v[46:47], v[14:15]
	v_fma_f64 v[70:71], v[44:45], v[12:13], -v[70:71]
	v_mul_f64 v[44:45], v[44:45], v[14:15]
	v_fmac_f64_e32 v[44:45], v[46:47], v[12:13]
	v_add_f64 v[54:55], v[54:55], v[44:45]
	v_mul_f64 v[44:45], v[10:11], v[6:7]
	v_fma_f64 v[44:45], v[8:9], v[4:5], -v[44:45]
	v_mul_f64 v[6:7], v[8:9], v[6:7]
	v_fmac_f64_e32 v[50:51], v[46:47], v[4:5]
	v_fmac_f64_e32 v[6:7], v[10:11], v[4:5]
	v_add_f64 v[4:5], v[78:79], v[44:45]
	v_mul_f64 v[44:45], v[10:11], v[14:15]
	v_mul_f64 v[46:47], v[8:9], v[14:15]
	v_fma_f64 v[44:45], v[8:9], v[12:13], -v[44:45]
	v_fmac_f64_e32 v[46:47], v[10:11], v[12:13]
	ds_read_b128 v[8:11], v59 offset:224
	ds_read_b128 v[12:15], v1 offset:7168
	v_add_f64 v[52:53], v[52:53], v[70:71]
	v_add_f64 v[70:71], v[40:41], v[44:45]
	;; [unrolled: 1-line block ×3, first 2 shown]
	ds_read_b128 v[40:43], v1 offset:7424
	ds_read_b128 v[44:47], v59 offset:240
	v_add_f64 v[48:49], v[74:75], v[48:49]
	s_waitcnt lgkmcnt(2)
	v_mul_f64 v[74:75], v[10:11], v[14:15]
	v_add_f64 v[50:51], v[76:77], v[50:51]
	v_fma_f64 v[74:75], v[8:9], v[12:13], -v[74:75]
	v_mul_f64 v[76:77], v[8:9], v[14:15]
	v_fmac_f64_e32 v[76:77], v[10:11], v[12:13]
	v_add_f64 v[74:75], v[48:49], v[74:75]
	s_waitcnt lgkmcnt(1)
	v_mul_f64 v[48:49], v[10:11], v[42:43]
	v_add_f64 v[76:77], v[50:51], v[76:77]
	v_fma_f64 v[78:79], v[8:9], v[40:41], -v[48:49]
	ds_read_b128 v[48:51], v59 offset:8416
	v_mul_f64 v[8:9], v[8:9], v[42:43]
	v_fmac_f64_e32 v[8:9], v[10:11], v[40:41]
	v_add_f64 v[52:53], v[52:53], v[78:79]
	v_add_f64 v[54:55], v[54:55], v[8:9]
	ds_read_b128 v[8:11], v59 offset:8432
	s_waitcnt lgkmcnt(1)
	v_mul_f64 v[78:79], v[50:51], v[14:15]
	v_mul_f64 v[14:15], v[48:49], v[14:15]
	v_add_f64 v[6:7], v[80:81], v[6:7]
	v_fma_f64 v[78:79], v[48:49], v[12:13], -v[78:79]
	v_fmac_f64_e32 v[14:15], v[50:51], v[12:13]
	v_add_f64 v[78:79], v[4:5], v[78:79]
	v_add_f64 v[80:81], v[6:7], v[14:15]
	v_mul_f64 v[4:5], v[50:51], v[42:43]
	v_mul_f64 v[14:15], v[48:49], v[42:43]
	v_fma_f64 v[12:13], v[48:49], v[40:41], -v[4:5]
	v_fmac_f64_e32 v[14:15], v[50:51], v[40:41]
	ds_read_b128 v[4:7], v1 offset:7680
	v_add_f64 v[40:41], v[70:71], v[12:13]
	v_add_f64 v[42:43], v[72:73], v[14:15]
	ds_read_b128 v[12:15], v1 offset:7936
	s_addc_u32 s19, s19, 0
	s_waitcnt lgkmcnt(1)
	v_mul_f64 v[48:49], v[46:47], v[6:7]
	v_fma_f64 v[48:49], v[44:45], v[4:5], -v[48:49]
	v_mul_f64 v[50:51], v[44:45], v[6:7]
	s_waitcnt lgkmcnt(0)
	v_mul_f64 v[70:71], v[46:47], v[14:15]
	v_fma_f64 v[70:71], v[44:45], v[12:13], -v[70:71]
	v_mul_f64 v[44:45], v[44:45], v[14:15]
	v_fmac_f64_e32 v[44:45], v[46:47], v[12:13]
	v_add_f64 v[54:55], v[54:55], v[44:45]
	v_mul_f64 v[44:45], v[10:11], v[6:7]
	v_fma_f64 v[44:45], v[8:9], v[4:5], -v[44:45]
	v_mul_f64 v[6:7], v[8:9], v[6:7]
	v_fmac_f64_e32 v[50:51], v[46:47], v[4:5]
	v_fmac_f64_e32 v[6:7], v[10:11], v[4:5]
	v_add_f64 v[4:5], v[78:79], v[44:45]
	v_mul_f64 v[44:45], v[10:11], v[14:15]
	v_mul_f64 v[46:47], v[8:9], v[14:15]
	v_fma_f64 v[44:45], v[8:9], v[12:13], -v[44:45]
	v_fmac_f64_e32 v[46:47], v[10:11], v[12:13]
	ds_read_b128 v[8:11], v59 offset:256
	ds_read_b128 v[12:15], v1 offset:8192
	v_add_f64 v[52:53], v[52:53], v[70:71]
	v_add_f64 v[70:71], v[40:41], v[44:45]
	;; [unrolled: 1-line block ×3, first 2 shown]
	ds_read_b128 v[40:43], v1 offset:8448
	ds_read_b128 v[44:47], v59 offset:272
	v_add_f64 v[48:49], v[74:75], v[48:49]
	s_waitcnt lgkmcnt(2)
	v_mul_f64 v[74:75], v[10:11], v[14:15]
	v_add_f64 v[50:51], v[76:77], v[50:51]
	v_fma_f64 v[74:75], v[8:9], v[12:13], -v[74:75]
	v_mul_f64 v[76:77], v[8:9], v[14:15]
	v_fmac_f64_e32 v[76:77], v[10:11], v[12:13]
	v_add_f64 v[74:75], v[48:49], v[74:75]
	s_waitcnt lgkmcnt(1)
	v_mul_f64 v[48:49], v[10:11], v[42:43]
	v_add_f64 v[76:77], v[50:51], v[76:77]
	v_fma_f64 v[78:79], v[8:9], v[40:41], -v[48:49]
	ds_read_b128 v[48:51], v59 offset:8448
	v_mul_f64 v[8:9], v[8:9], v[42:43]
	v_fmac_f64_e32 v[8:9], v[10:11], v[40:41]
	v_add_f64 v[52:53], v[52:53], v[78:79]
	v_add_f64 v[54:55], v[54:55], v[8:9]
	ds_read_b128 v[8:11], v59 offset:8464
	s_waitcnt lgkmcnt(1)
	v_mul_f64 v[78:79], v[50:51], v[14:15]
	v_mul_f64 v[14:15], v[48:49], v[14:15]
	v_add_f64 v[6:7], v[80:81], v[6:7]
	v_fma_f64 v[78:79], v[48:49], v[12:13], -v[78:79]
	v_fmac_f64_e32 v[14:15], v[50:51], v[12:13]
	v_add_f64 v[78:79], v[4:5], v[78:79]
	v_add_f64 v[80:81], v[6:7], v[14:15]
	v_mul_f64 v[4:5], v[50:51], v[42:43]
	v_mul_f64 v[14:15], v[48:49], v[42:43]
	v_fma_f64 v[12:13], v[48:49], v[40:41], -v[4:5]
	v_fmac_f64_e32 v[14:15], v[50:51], v[40:41]
	ds_read_b128 v[4:7], v1 offset:8704
	v_add_f64 v[40:41], v[70:71], v[12:13]
	v_add_f64 v[42:43], v[72:73], v[14:15]
	ds_read_b128 v[12:15], v1 offset:8960
	s_cmp_ge_i32 s10, s54
	s_waitcnt lgkmcnt(1)
	v_mul_f64 v[48:49], v[46:47], v[6:7]
	v_fma_f64 v[48:49], v[44:45], v[4:5], -v[48:49]
	v_mul_f64 v[50:51], v[44:45], v[6:7]
	s_waitcnt lgkmcnt(0)
	v_mul_f64 v[70:71], v[46:47], v[14:15]
	v_fma_f64 v[70:71], v[44:45], v[12:13], -v[70:71]
	v_mul_f64 v[44:45], v[44:45], v[14:15]
	v_fmac_f64_e32 v[44:45], v[46:47], v[12:13]
	v_add_f64 v[54:55], v[54:55], v[44:45]
	v_mul_f64 v[44:45], v[10:11], v[6:7]
	v_fma_f64 v[44:45], v[8:9], v[4:5], -v[44:45]
	v_mul_f64 v[6:7], v[8:9], v[6:7]
	v_fmac_f64_e32 v[50:51], v[46:47], v[4:5]
	v_fmac_f64_e32 v[6:7], v[10:11], v[4:5]
	v_add_f64 v[4:5], v[78:79], v[44:45]
	v_mul_f64 v[44:45], v[10:11], v[14:15]
	v_mul_f64 v[46:47], v[8:9], v[14:15]
	v_fma_f64 v[44:45], v[8:9], v[12:13], -v[44:45]
	v_fmac_f64_e32 v[46:47], v[10:11], v[12:13]
	ds_read_b128 v[8:11], v59 offset:288
	ds_read_b128 v[12:15], v1 offset:9216
	v_add_f64 v[52:53], v[52:53], v[70:71]
	v_add_f64 v[70:71], v[40:41], v[44:45]
	v_add_f64 v[72:73], v[42:43], v[46:47]
	ds_read_b128 v[40:43], v1 offset:9472
	ds_read_b128 v[44:47], v59 offset:304
	v_add_f64 v[48:49], v[74:75], v[48:49]
	s_waitcnt lgkmcnt(2)
	v_mul_f64 v[74:75], v[10:11], v[14:15]
	v_add_f64 v[50:51], v[76:77], v[50:51]
	v_fma_f64 v[74:75], v[8:9], v[12:13], -v[74:75]
	v_mul_f64 v[76:77], v[8:9], v[14:15]
	v_fmac_f64_e32 v[76:77], v[10:11], v[12:13]
	v_add_f64 v[74:75], v[48:49], v[74:75]
	s_waitcnt lgkmcnt(1)
	v_mul_f64 v[48:49], v[10:11], v[42:43]
	v_add_f64 v[76:77], v[50:51], v[76:77]
	v_fma_f64 v[78:79], v[8:9], v[40:41], -v[48:49]
	ds_read_b128 v[48:51], v59 offset:8480
	v_mul_f64 v[8:9], v[8:9], v[42:43]
	v_fmac_f64_e32 v[8:9], v[10:11], v[40:41]
	v_add_f64 v[52:53], v[52:53], v[78:79]
	v_add_f64 v[54:55], v[54:55], v[8:9]
	ds_read_b128 v[8:11], v59 offset:8496
	s_waitcnt lgkmcnt(1)
	v_mul_f64 v[78:79], v[50:51], v[14:15]
	v_mul_f64 v[14:15], v[48:49], v[14:15]
	v_add_f64 v[6:7], v[80:81], v[6:7]
	v_fma_f64 v[78:79], v[48:49], v[12:13], -v[78:79]
	v_fmac_f64_e32 v[14:15], v[50:51], v[12:13]
	v_add_f64 v[78:79], v[4:5], v[78:79]
	v_add_f64 v[80:81], v[6:7], v[14:15]
	v_mul_f64 v[4:5], v[50:51], v[42:43]
	v_mul_f64 v[14:15], v[48:49], v[42:43]
	v_fma_f64 v[12:13], v[48:49], v[40:41], -v[4:5]
	v_fmac_f64_e32 v[14:15], v[50:51], v[40:41]
	ds_read_b128 v[4:7], v1 offset:9728
	v_add_f64 v[40:41], v[70:71], v[12:13]
	v_add_f64 v[42:43], v[72:73], v[14:15]
	ds_read_b128 v[12:15], v1 offset:9984
	s_waitcnt lgkmcnt(1)
	v_mul_f64 v[48:49], v[46:47], v[6:7]
	v_fma_f64 v[48:49], v[44:45], v[4:5], -v[48:49]
	v_mul_f64 v[50:51], v[44:45], v[6:7]
	s_waitcnt lgkmcnt(0)
	v_mul_f64 v[70:71], v[46:47], v[14:15]
	v_fma_f64 v[70:71], v[44:45], v[12:13], -v[70:71]
	v_mul_f64 v[44:45], v[44:45], v[14:15]
	v_fmac_f64_e32 v[44:45], v[46:47], v[12:13]
	v_add_f64 v[54:55], v[54:55], v[44:45]
	v_mul_f64 v[44:45], v[10:11], v[6:7]
	v_fma_f64 v[44:45], v[8:9], v[4:5], -v[44:45]
	v_mul_f64 v[6:7], v[8:9], v[6:7]
	v_fmac_f64_e32 v[50:51], v[46:47], v[4:5]
	v_fmac_f64_e32 v[6:7], v[10:11], v[4:5]
	v_add_f64 v[4:5], v[78:79], v[44:45]
	v_mul_f64 v[44:45], v[10:11], v[14:15]
	v_mul_f64 v[46:47], v[8:9], v[14:15]
	v_fma_f64 v[44:45], v[8:9], v[12:13], -v[44:45]
	v_fmac_f64_e32 v[46:47], v[10:11], v[12:13]
	ds_read_b128 v[8:11], v59 offset:320
	ds_read_b128 v[12:15], v1 offset:10240
	v_add_f64 v[52:53], v[52:53], v[70:71]
	v_add_f64 v[70:71], v[40:41], v[44:45]
	v_add_f64 v[72:73], v[42:43], v[46:47]
	ds_read_b128 v[40:43], v1 offset:10496
	ds_read_b128 v[44:47], v59 offset:336
	v_add_f64 v[48:49], v[74:75], v[48:49]
	s_waitcnt lgkmcnt(2)
	v_mul_f64 v[74:75], v[10:11], v[14:15]
	v_add_f64 v[50:51], v[76:77], v[50:51]
	v_fma_f64 v[74:75], v[8:9], v[12:13], -v[74:75]
	v_mul_f64 v[76:77], v[8:9], v[14:15]
	v_fmac_f64_e32 v[76:77], v[10:11], v[12:13]
	v_add_f64 v[74:75], v[48:49], v[74:75]
	s_waitcnt lgkmcnt(1)
	v_mul_f64 v[48:49], v[10:11], v[42:43]
	v_add_f64 v[76:77], v[50:51], v[76:77]
	v_fma_f64 v[78:79], v[8:9], v[40:41], -v[48:49]
	ds_read_b128 v[48:51], v59 offset:8512
	v_mul_f64 v[8:9], v[8:9], v[42:43]
	v_fmac_f64_e32 v[8:9], v[10:11], v[40:41]
	v_add_f64 v[52:53], v[52:53], v[78:79]
	v_add_f64 v[54:55], v[54:55], v[8:9]
	ds_read_b128 v[8:11], v59 offset:8528
	s_waitcnt lgkmcnt(1)
	v_mul_f64 v[78:79], v[50:51], v[14:15]
	v_mul_f64 v[14:15], v[48:49], v[14:15]
	v_add_f64 v[6:7], v[80:81], v[6:7]
	v_fma_f64 v[78:79], v[48:49], v[12:13], -v[78:79]
	v_fmac_f64_e32 v[14:15], v[50:51], v[12:13]
	v_add_f64 v[78:79], v[4:5], v[78:79]
	v_add_f64 v[80:81], v[6:7], v[14:15]
	v_mul_f64 v[4:5], v[50:51], v[42:43]
	v_mul_f64 v[14:15], v[48:49], v[42:43]
	v_fma_f64 v[12:13], v[48:49], v[40:41], -v[4:5]
	v_fmac_f64_e32 v[14:15], v[50:51], v[40:41]
	ds_read_b128 v[4:7], v1 offset:10752
	v_add_f64 v[40:41], v[70:71], v[12:13]
	v_add_f64 v[42:43], v[72:73], v[14:15]
	ds_read_b128 v[12:15], v1 offset:11008
	s_waitcnt lgkmcnt(1)
	v_mul_f64 v[48:49], v[46:47], v[6:7]
	v_fma_f64 v[48:49], v[44:45], v[4:5], -v[48:49]
	v_mul_f64 v[50:51], v[44:45], v[6:7]
	s_waitcnt lgkmcnt(0)
	v_mul_f64 v[70:71], v[46:47], v[14:15]
	v_fma_f64 v[70:71], v[44:45], v[12:13], -v[70:71]
	v_mul_f64 v[44:45], v[44:45], v[14:15]
	v_fmac_f64_e32 v[44:45], v[46:47], v[12:13]
	v_add_f64 v[54:55], v[54:55], v[44:45]
	v_mul_f64 v[44:45], v[10:11], v[6:7]
	v_fma_f64 v[44:45], v[8:9], v[4:5], -v[44:45]
	v_mul_f64 v[6:7], v[8:9], v[6:7]
	v_fmac_f64_e32 v[50:51], v[46:47], v[4:5]
	v_fmac_f64_e32 v[6:7], v[10:11], v[4:5]
	v_add_f64 v[4:5], v[78:79], v[44:45]
	v_mul_f64 v[44:45], v[10:11], v[14:15]
	v_mul_f64 v[46:47], v[8:9], v[14:15]
	v_fma_f64 v[44:45], v[8:9], v[12:13], -v[44:45]
	v_fmac_f64_e32 v[46:47], v[10:11], v[12:13]
	ds_read_b128 v[8:11], v59 offset:352
	ds_read_b128 v[12:15], v1 offset:11264
	v_add_f64 v[52:53], v[52:53], v[70:71]
	v_add_f64 v[70:71], v[40:41], v[44:45]
	v_add_f64 v[72:73], v[42:43], v[46:47]
	ds_read_b128 v[40:43], v1 offset:11520
	ds_read_b128 v[44:47], v59 offset:368
	v_add_f64 v[48:49], v[74:75], v[48:49]
	s_waitcnt lgkmcnt(2)
	v_mul_f64 v[74:75], v[10:11], v[14:15]
	v_add_f64 v[50:51], v[76:77], v[50:51]
	v_fma_f64 v[74:75], v[8:9], v[12:13], -v[74:75]
	v_mul_f64 v[76:77], v[8:9], v[14:15]
	v_fmac_f64_e32 v[76:77], v[10:11], v[12:13]
	v_add_f64 v[74:75], v[48:49], v[74:75]
	s_waitcnt lgkmcnt(1)
	v_mul_f64 v[48:49], v[10:11], v[42:43]
	v_add_f64 v[76:77], v[50:51], v[76:77]
	v_fma_f64 v[78:79], v[8:9], v[40:41], -v[48:49]
	ds_read_b128 v[48:51], v59 offset:8544
	v_mul_f64 v[8:9], v[8:9], v[42:43]
	v_fmac_f64_e32 v[8:9], v[10:11], v[40:41]
	v_add_f64 v[52:53], v[52:53], v[78:79]
	v_add_f64 v[54:55], v[54:55], v[8:9]
	ds_read_b128 v[8:11], v59 offset:8560
	s_waitcnt lgkmcnt(1)
	v_mul_f64 v[78:79], v[50:51], v[14:15]
	v_mul_f64 v[14:15], v[48:49], v[14:15]
	v_add_f64 v[6:7], v[80:81], v[6:7]
	v_fma_f64 v[78:79], v[48:49], v[12:13], -v[78:79]
	v_fmac_f64_e32 v[14:15], v[50:51], v[12:13]
	v_add_f64 v[78:79], v[4:5], v[78:79]
	v_add_f64 v[80:81], v[6:7], v[14:15]
	v_mul_f64 v[4:5], v[50:51], v[42:43]
	v_mul_f64 v[14:15], v[48:49], v[42:43]
	v_fma_f64 v[12:13], v[48:49], v[40:41], -v[4:5]
	v_fmac_f64_e32 v[14:15], v[50:51], v[40:41]
	ds_read_b128 v[4:7], v1 offset:11776
	v_add_f64 v[40:41], v[70:71], v[12:13]
	v_add_f64 v[42:43], v[72:73], v[14:15]
	ds_read_b128 v[12:15], v1 offset:12032
	s_waitcnt lgkmcnt(1)
	v_mul_f64 v[48:49], v[46:47], v[6:7]
	v_fma_f64 v[48:49], v[44:45], v[4:5], -v[48:49]
	v_mul_f64 v[50:51], v[44:45], v[6:7]
	s_waitcnt lgkmcnt(0)
	v_mul_f64 v[70:71], v[46:47], v[14:15]
	v_fma_f64 v[70:71], v[44:45], v[12:13], -v[70:71]
	v_mul_f64 v[44:45], v[44:45], v[14:15]
	v_fmac_f64_e32 v[44:45], v[46:47], v[12:13]
	v_add_f64 v[54:55], v[54:55], v[44:45]
	v_mul_f64 v[44:45], v[10:11], v[6:7]
	v_fma_f64 v[44:45], v[8:9], v[4:5], -v[44:45]
	v_mul_f64 v[6:7], v[8:9], v[6:7]
	v_fmac_f64_e32 v[50:51], v[46:47], v[4:5]
	v_fmac_f64_e32 v[6:7], v[10:11], v[4:5]
	v_add_f64 v[4:5], v[78:79], v[44:45]
	v_mul_f64 v[44:45], v[10:11], v[14:15]
	v_mul_f64 v[46:47], v[8:9], v[14:15]
	v_fma_f64 v[44:45], v[8:9], v[12:13], -v[44:45]
	v_fmac_f64_e32 v[46:47], v[10:11], v[12:13]
	ds_read_b128 v[8:11], v59 offset:384
	ds_read_b128 v[12:15], v1 offset:12288
	v_add_f64 v[52:53], v[52:53], v[70:71]
	v_add_f64 v[70:71], v[40:41], v[44:45]
	v_add_f64 v[72:73], v[42:43], v[46:47]
	ds_read_b128 v[40:43], v1 offset:12544
	ds_read_b128 v[44:47], v59 offset:400
	v_add_f64 v[48:49], v[74:75], v[48:49]
	s_waitcnt lgkmcnt(2)
	v_mul_f64 v[74:75], v[10:11], v[14:15]
	v_add_f64 v[50:51], v[76:77], v[50:51]
	v_fma_f64 v[74:75], v[8:9], v[12:13], -v[74:75]
	v_mul_f64 v[76:77], v[8:9], v[14:15]
	v_fmac_f64_e32 v[76:77], v[10:11], v[12:13]
	v_add_f64 v[74:75], v[48:49], v[74:75]
	s_waitcnt lgkmcnt(1)
	v_mul_f64 v[48:49], v[10:11], v[42:43]
	v_add_f64 v[76:77], v[50:51], v[76:77]
	v_fma_f64 v[78:79], v[8:9], v[40:41], -v[48:49]
	ds_read_b128 v[48:51], v59 offset:8576
	v_mul_f64 v[8:9], v[8:9], v[42:43]
	v_fmac_f64_e32 v[8:9], v[10:11], v[40:41]
	v_add_f64 v[52:53], v[52:53], v[78:79]
	v_add_f64 v[54:55], v[54:55], v[8:9]
	ds_read_b128 v[8:11], v59 offset:8592
	s_waitcnt lgkmcnt(1)
	v_mul_f64 v[78:79], v[50:51], v[14:15]
	v_mul_f64 v[14:15], v[48:49], v[14:15]
	v_add_f64 v[6:7], v[80:81], v[6:7]
	v_fma_f64 v[78:79], v[48:49], v[12:13], -v[78:79]
	v_fmac_f64_e32 v[14:15], v[50:51], v[12:13]
	v_add_f64 v[78:79], v[4:5], v[78:79]
	v_add_f64 v[80:81], v[6:7], v[14:15]
	v_mul_f64 v[4:5], v[50:51], v[42:43]
	v_mul_f64 v[14:15], v[48:49], v[42:43]
	v_fma_f64 v[12:13], v[48:49], v[40:41], -v[4:5]
	v_fmac_f64_e32 v[14:15], v[50:51], v[40:41]
	ds_read_b128 v[4:7], v1 offset:12800
	v_add_f64 v[40:41], v[70:71], v[12:13]
	v_add_f64 v[42:43], v[72:73], v[14:15]
	ds_read_b128 v[12:15], v1 offset:13056
	s_waitcnt lgkmcnt(1)
	v_mul_f64 v[48:49], v[46:47], v[6:7]
	v_fma_f64 v[48:49], v[44:45], v[4:5], -v[48:49]
	v_mul_f64 v[50:51], v[44:45], v[6:7]
	s_waitcnt lgkmcnt(0)
	v_mul_f64 v[70:71], v[46:47], v[14:15]
	v_fma_f64 v[70:71], v[44:45], v[12:13], -v[70:71]
	v_mul_f64 v[44:45], v[44:45], v[14:15]
	v_fmac_f64_e32 v[44:45], v[46:47], v[12:13]
	v_add_f64 v[54:55], v[54:55], v[44:45]
	v_mul_f64 v[44:45], v[10:11], v[6:7]
	v_fma_f64 v[44:45], v[8:9], v[4:5], -v[44:45]
	v_mul_f64 v[6:7], v[8:9], v[6:7]
	v_fmac_f64_e32 v[50:51], v[46:47], v[4:5]
	v_fmac_f64_e32 v[6:7], v[10:11], v[4:5]
	v_add_f64 v[4:5], v[78:79], v[44:45]
	v_mul_f64 v[44:45], v[10:11], v[14:15]
	v_mul_f64 v[46:47], v[8:9], v[14:15]
	v_fma_f64 v[44:45], v[8:9], v[12:13], -v[44:45]
	v_fmac_f64_e32 v[46:47], v[10:11], v[12:13]
	ds_read_b128 v[8:11], v59 offset:416
	ds_read_b128 v[12:15], v1 offset:13312
	v_add_f64 v[52:53], v[52:53], v[70:71]
	v_add_f64 v[70:71], v[40:41], v[44:45]
	v_add_f64 v[72:73], v[42:43], v[46:47]
	ds_read_b128 v[40:43], v1 offset:13568
	ds_read_b128 v[44:47], v59 offset:432
	v_add_f64 v[48:49], v[74:75], v[48:49]
	s_waitcnt lgkmcnt(2)
	v_mul_f64 v[74:75], v[10:11], v[14:15]
	v_add_f64 v[50:51], v[76:77], v[50:51]
	v_fma_f64 v[74:75], v[8:9], v[12:13], -v[74:75]
	v_mul_f64 v[76:77], v[8:9], v[14:15]
	v_fmac_f64_e32 v[76:77], v[10:11], v[12:13]
	v_add_f64 v[74:75], v[48:49], v[74:75]
	s_waitcnt lgkmcnt(1)
	v_mul_f64 v[48:49], v[10:11], v[42:43]
	v_add_f64 v[76:77], v[50:51], v[76:77]
	v_fma_f64 v[78:79], v[8:9], v[40:41], -v[48:49]
	ds_read_b128 v[48:51], v59 offset:8608
	v_mul_f64 v[8:9], v[8:9], v[42:43]
	v_fmac_f64_e32 v[8:9], v[10:11], v[40:41]
	v_add_f64 v[52:53], v[52:53], v[78:79]
	v_add_f64 v[54:55], v[54:55], v[8:9]
	ds_read_b128 v[8:11], v59 offset:8624
	s_waitcnt lgkmcnt(1)
	v_mul_f64 v[78:79], v[50:51], v[14:15]
	v_mul_f64 v[14:15], v[48:49], v[14:15]
	v_add_f64 v[6:7], v[80:81], v[6:7]
	v_fma_f64 v[78:79], v[48:49], v[12:13], -v[78:79]
	v_fmac_f64_e32 v[14:15], v[50:51], v[12:13]
	v_add_f64 v[78:79], v[4:5], v[78:79]
	v_add_f64 v[80:81], v[6:7], v[14:15]
	v_mul_f64 v[4:5], v[50:51], v[42:43]
	v_mul_f64 v[14:15], v[48:49], v[42:43]
	v_fma_f64 v[12:13], v[48:49], v[40:41], -v[4:5]
	v_fmac_f64_e32 v[14:15], v[50:51], v[40:41]
	ds_read_b128 v[4:7], v1 offset:13824
	v_add_f64 v[40:41], v[70:71], v[12:13]
	v_add_f64 v[42:43], v[72:73], v[14:15]
	ds_read_b128 v[12:15], v1 offset:14080
	s_waitcnt lgkmcnt(1)
	v_mul_f64 v[48:49], v[46:47], v[6:7]
	v_fma_f64 v[48:49], v[44:45], v[4:5], -v[48:49]
	v_mul_f64 v[50:51], v[44:45], v[6:7]
	s_waitcnt lgkmcnt(0)
	v_mul_f64 v[70:71], v[46:47], v[14:15]
	v_fma_f64 v[70:71], v[44:45], v[12:13], -v[70:71]
	v_mul_f64 v[44:45], v[44:45], v[14:15]
	v_fmac_f64_e32 v[44:45], v[46:47], v[12:13]
	v_add_f64 v[54:55], v[54:55], v[44:45]
	v_mul_f64 v[44:45], v[10:11], v[6:7]
	v_fma_f64 v[44:45], v[8:9], v[4:5], -v[44:45]
	v_mul_f64 v[6:7], v[8:9], v[6:7]
	v_fmac_f64_e32 v[50:51], v[46:47], v[4:5]
	v_fmac_f64_e32 v[6:7], v[10:11], v[4:5]
	v_add_f64 v[4:5], v[78:79], v[44:45]
	v_mul_f64 v[44:45], v[10:11], v[14:15]
	v_mul_f64 v[46:47], v[8:9], v[14:15]
	v_fma_f64 v[44:45], v[8:9], v[12:13], -v[44:45]
	v_fmac_f64_e32 v[46:47], v[10:11], v[12:13]
	ds_read_b128 v[8:11], v59 offset:448
	ds_read_b128 v[12:15], v1 offset:14336
	v_add_f64 v[52:53], v[52:53], v[70:71]
	v_add_f64 v[70:71], v[40:41], v[44:45]
	v_add_f64 v[72:73], v[42:43], v[46:47]
	ds_read_b128 v[40:43], v1 offset:14592
	ds_read_b128 v[44:47], v59 offset:464
	v_add_f64 v[48:49], v[74:75], v[48:49]
	s_waitcnt lgkmcnt(2)
	v_mul_f64 v[74:75], v[10:11], v[14:15]
	v_add_f64 v[50:51], v[76:77], v[50:51]
	v_fma_f64 v[74:75], v[8:9], v[12:13], -v[74:75]
	v_mul_f64 v[76:77], v[8:9], v[14:15]
	v_fmac_f64_e32 v[76:77], v[10:11], v[12:13]
	v_add_f64 v[74:75], v[48:49], v[74:75]
	s_waitcnt lgkmcnt(1)
	v_mul_f64 v[48:49], v[10:11], v[42:43]
	v_add_f64 v[76:77], v[50:51], v[76:77]
	v_fma_f64 v[78:79], v[8:9], v[40:41], -v[48:49]
	ds_read_b128 v[48:51], v59 offset:8640
	v_mul_f64 v[8:9], v[8:9], v[42:43]
	v_fmac_f64_e32 v[8:9], v[10:11], v[40:41]
	v_add_f64 v[52:53], v[52:53], v[78:79]
	v_add_f64 v[54:55], v[54:55], v[8:9]
	ds_read_b128 v[8:11], v59 offset:8656
	s_waitcnt lgkmcnt(1)
	v_mul_f64 v[78:79], v[50:51], v[14:15]
	v_mul_f64 v[14:15], v[48:49], v[14:15]
	v_add_f64 v[6:7], v[80:81], v[6:7]
	v_fma_f64 v[78:79], v[48:49], v[12:13], -v[78:79]
	v_fmac_f64_e32 v[14:15], v[50:51], v[12:13]
	v_add_f64 v[78:79], v[4:5], v[78:79]
	v_add_f64 v[80:81], v[6:7], v[14:15]
	v_mul_f64 v[4:5], v[50:51], v[42:43]
	v_mul_f64 v[14:15], v[48:49], v[42:43]
	v_fma_f64 v[12:13], v[48:49], v[40:41], -v[4:5]
	v_fmac_f64_e32 v[14:15], v[50:51], v[40:41]
	ds_read_b128 v[4:7], v1 offset:14848
	v_add_f64 v[40:41], v[70:71], v[12:13]
	v_add_f64 v[42:43], v[72:73], v[14:15]
	ds_read_b128 v[12:15], v1 offset:15104
	s_waitcnt lgkmcnt(1)
	v_mul_f64 v[48:49], v[46:47], v[6:7]
	v_fma_f64 v[48:49], v[44:45], v[4:5], -v[48:49]
	v_mul_f64 v[50:51], v[44:45], v[6:7]
	s_waitcnt lgkmcnt(0)
	v_mul_f64 v[70:71], v[46:47], v[14:15]
	v_fma_f64 v[70:71], v[44:45], v[12:13], -v[70:71]
	v_mul_f64 v[44:45], v[44:45], v[14:15]
	v_fmac_f64_e32 v[44:45], v[46:47], v[12:13]
	v_add_f64 v[54:55], v[54:55], v[44:45]
	v_mul_f64 v[44:45], v[10:11], v[6:7]
	v_fma_f64 v[44:45], v[8:9], v[4:5], -v[44:45]
	v_mul_f64 v[6:7], v[8:9], v[6:7]
	v_fmac_f64_e32 v[50:51], v[46:47], v[4:5]
	v_fmac_f64_e32 v[6:7], v[10:11], v[4:5]
	v_add_f64 v[4:5], v[78:79], v[44:45]
	v_mul_f64 v[44:45], v[10:11], v[14:15]
	v_mul_f64 v[46:47], v[8:9], v[14:15]
	v_fma_f64 v[44:45], v[8:9], v[12:13], -v[44:45]
	v_fmac_f64_e32 v[46:47], v[10:11], v[12:13]
	ds_read_b128 v[8:11], v59 offset:480
	ds_read_b128 v[12:15], v1 offset:15360
	v_add_f64 v[52:53], v[52:53], v[70:71]
	v_add_f64 v[70:71], v[40:41], v[44:45]
	v_add_f64 v[72:73], v[42:43], v[46:47]
	ds_read_b128 v[40:43], v1 offset:15616
	ds_read_b128 v[44:47], v59 offset:496
	v_add_f64 v[48:49], v[74:75], v[48:49]
	s_waitcnt lgkmcnt(2)
	v_mul_f64 v[74:75], v[10:11], v[14:15]
	v_add_f64 v[50:51], v[76:77], v[50:51]
	v_fma_f64 v[74:75], v[8:9], v[12:13], -v[74:75]
	v_mul_f64 v[76:77], v[8:9], v[14:15]
	v_fmac_f64_e32 v[76:77], v[10:11], v[12:13]
	v_add_f64 v[74:75], v[48:49], v[74:75]
	s_waitcnt lgkmcnt(1)
	v_mul_f64 v[48:49], v[10:11], v[42:43]
	v_add_f64 v[76:77], v[50:51], v[76:77]
	v_fma_f64 v[78:79], v[8:9], v[40:41], -v[48:49]
	ds_read_b128 v[48:51], v59 offset:8672
	v_mul_f64 v[8:9], v[8:9], v[42:43]
	v_fmac_f64_e32 v[8:9], v[10:11], v[40:41]
	v_add_f64 v[6:7], v[80:81], v[6:7]
	v_add_f64 v[78:79], v[52:53], v[78:79]
	;; [unrolled: 1-line block ×3, first 2 shown]
	ds_read_b128 v[8:11], v59 offset:8688
	s_waitcnt lgkmcnt(1)
	v_mul_f64 v[52:53], v[50:51], v[14:15]
	v_fma_f64 v[52:53], v[48:49], v[12:13], -v[52:53]
	v_mul_f64 v[14:15], v[48:49], v[14:15]
	v_fmac_f64_e32 v[14:15], v[50:51], v[12:13]
	v_add_f64 v[82:83], v[4:5], v[52:53]
	v_mul_f64 v[4:5], v[50:51], v[42:43]
	v_add_f64 v[84:85], v[6:7], v[14:15]
	v_fma_f64 v[12:13], v[48:49], v[40:41], -v[4:5]
	v_mul_f64 v[14:15], v[48:49], v[42:43]
	ds_read_b128 v[4:7], v1 offset:15872
	v_fmac_f64_e32 v[14:15], v[50:51], v[40:41]
	v_add_f64 v[40:41], v[70:71], v[12:13]
	v_add_f64 v[70:71], v[72:73], v[14:15]
	ds_read_b128 v[12:15], v1 offset:16128
	s_waitcnt lgkmcnt(1)
	v_mul_f64 v[42:43], v[46:47], v[6:7]
	v_fma_f64 v[42:43], v[44:45], v[4:5], -v[42:43]
	v_mul_f64 v[48:49], v[44:45], v[6:7]
	v_add_f64 v[52:53], v[74:75], v[42:43]
	s_waitcnt lgkmcnt(0)
	v_mul_f64 v[42:43], v[46:47], v[14:15]
	v_fmac_f64_e32 v[48:49], v[46:47], v[4:5]
	v_fma_f64 v[42:43], v[44:45], v[12:13], -v[42:43]
	v_add_f64 v[54:55], v[76:77], v[48:49]
	v_add_f64 v[48:49], v[78:79], v[42:43]
	v_mul_f64 v[42:43], v[10:11], v[6:7]
	v_mul_f64 v[6:7], v[8:9], v[6:7]
	;; [unrolled: 1-line block ×3, first 2 shown]
	v_fmac_f64_e32 v[6:7], v[10:11], v[4:5]
	v_fmac_f64_e32 v[44:45], v[46:47], v[12:13]
	v_fma_f64 v[42:43], v[8:9], v[4:5], -v[42:43]
	v_add_f64 v[46:47], v[84:85], v[6:7]
	v_mul_f64 v[4:5], v[10:11], v[14:15]
	v_mul_f64 v[6:7], v[8:9], v[14:15]
	v_fma_f64 v[4:5], v[8:9], v[12:13], -v[4:5]
	v_fmac_f64_e32 v[6:7], v[10:11], v[12:13]
	v_add_f64 v[50:51], v[80:81], v[44:45]
	v_add_f64 v[44:45], v[82:83], v[42:43]
	;; [unrolled: 1-line block ×4, first 2 shown]
	s_barrier
	s_cbranch_scc1 .LBB114_55
.LBB114_7:                              ;   Parent Loop BB114_4 Depth=1
                                        ; =>  This Inner Loop Header: Depth=2
	v_mov_b32_e32 v4, s21
	v_add_co_u32_e64 v8, s[10:11], s20, v16
	v_addc_co_u32_e64 v9, s[10:11], 0, v4, s[10:11]
	v_mov_b32_e32 v4, s19
	v_add_co_u32_e64 v6, s[10:11], s18, v64
	v_addc_co_u32_e64 v7, s[10:11], v65, v4, s[10:11]
	v_cmp_eq_u64_e64 s[10:11], s[20:21], v[24:25]
	v_cmp_le_i64_e64 s[12:13], s[42:43], v[8:9]
	s_and_b64 s[26:27], s[40:41], s[10:11]
	v_cmp_gt_i64_e64 s[10:11], v[8:9], v[18:19]
	s_or_b64 s[16:17], s[12:13], s[10:11]
	s_or_b64 s[16:17], s[16:17], s[26:27]
	s_or_b64 s[16:17], s[0:1], s[16:17]
	s_xor_b64 s[16:17], s[16:17], -1
	s_and_saveexec_b64 s[22:23], s[16:17]
	s_xor_b64 s[16:17], exec, s[22:23]
	s_cbranch_execz .LBB114_9
; %bb.8:                                ;   in Loop: Header=BB114_7 Depth=2
	global_load_dwordx4 v[10:13], v[6:7], off offset:-256
	s_waitcnt vmcnt(0)
	ds_write2_b64 v17, v[10:11], v[12:13] offset1:1
.LBB114_9:                              ;   in Loop: Header=BB114_7 Depth=2
	s_or_saveexec_b64 s[16:17], s[16:17]
	s_xor_b64 s[22:23], s[26:27], -1
	s_xor_b64 exec, exec, s[16:17]
	s_cbranch_execz .LBB114_15
; %bb.10:                               ;   in Loop: Header=BB114_7 Depth=2
	s_and_saveexec_b64 s[38:39], s[22:23]
	s_xor_b64 s[38:39], exec, s[38:39]
	s_cbranch_execz .LBB114_12
; %bb.11:                               ;   in Loop: Header=BB114_7 Depth=2
	v_mov_b32_e32 v10, v2
	v_mov_b32_e32 v11, v2
	;; [unrolled: 1-line block ×4, first 2 shown]
	ds_write_b128 v17, v[10:13]
.LBB114_12:                             ;   in Loop: Header=BB114_7 Depth=2
	s_andn2_saveexec_b64 s[38:39], s[38:39]
	s_cbranch_execz .LBB114_14
; %bb.13:                               ;   in Loop: Header=BB114_7 Depth=2
	v_mov_b32_e32 v4, v2
	v_mov_b32_e32 v5, v2
	ds_write_b128 v17, v[2:5]
.LBB114_14:                             ;   in Loop: Header=BB114_7 Depth=2
	s_or_b64 exec, exec, s[38:39]
.LBB114_15:                             ;   in Loop: Header=BB114_7 Depth=2
	s_or_b64 exec, exec, s[16:17]
	v_cmp_eq_u64_e64 s[16:17], s[20:21], v[26:27]
	s_and_b64 s[38:39], s[40:41], s[16:17]
	v_cmp_lt_i64_e64 s[16:17], v[20:21], v[8:9]
	s_or_b64 s[12:13], s[12:13], s[16:17]
	s_or_b64 s[12:13], s[12:13], s[38:39]
	;; [unrolled: 1-line block ×3, first 2 shown]
	s_xor_b64 s[12:13], s[12:13], -1
	s_and_saveexec_b64 s[16:17], s[12:13]
	s_xor_b64 s[16:17], exec, s[16:17]
	s_cbranch_execz .LBB114_17
; %bb.16:                               ;   in Loop: Header=BB114_7 Depth=2
	v_mov_b32_e32 v5, s19
	v_add_co_u32_e64 v4, s[12:13], s18, v66
	v_addc_co_u32_e64 v5, s[12:13], v67, v5, s[12:13]
	global_load_dwordx4 v[10:13], v[4:5], off
	s_waitcnt vmcnt(0)
	ds_write2_b64 v56, v[10:11], v[12:13] offset1:1
.LBB114_17:                             ;   in Loop: Header=BB114_7 Depth=2
	s_andn2_saveexec_b64 s[12:13], s[16:17]
	s_cbranch_execz .LBB114_23
; %bb.18:                               ;   in Loop: Header=BB114_7 Depth=2
	s_xor_b64 s[16:17], s[38:39], -1
	s_and_saveexec_b64 s[38:39], s[16:17]
	s_xor_b64 s[16:17], exec, s[38:39]
	s_cbranch_execz .LBB114_20
; %bb.19:                               ;   in Loop: Header=BB114_7 Depth=2
	v_mov_b32_e32 v10, v2
	v_mov_b32_e32 v11, v2
	;; [unrolled: 1-line block ×4, first 2 shown]
	ds_write_b128 v56, v[10:13]
.LBB114_20:                             ;   in Loop: Header=BB114_7 Depth=2
	s_andn2_saveexec_b64 s[16:17], s[16:17]
	s_cbranch_execz .LBB114_22
; %bb.21:                               ;   in Loop: Header=BB114_7 Depth=2
	v_mov_b32_e32 v4, v2
	v_mov_b32_e32 v5, v2
	ds_write_b128 v56, v[2:5]
.LBB114_22:                             ;   in Loop: Header=BB114_7 Depth=2
	s_or_b64 exec, exec, s[16:17]
.LBB114_23:                             ;   in Loop: Header=BB114_7 Depth=2
	s_or_b64 exec, exec, s[12:13]
	v_add_co_u32_e64 v4, s[12:13], 16, v8
	v_addc_co_u32_e64 v5, s[12:13], 0, v9, s[12:13]
	v_cmp_eq_u64_e64 s[16:17], s[20:21], v[28:29]
	v_cmp_le_i64_e64 s[12:13], s[42:43], v[4:5]
	s_and_b64 s[38:39], s[40:41], s[16:17]
	v_cmp_gt_i64_e64 s[16:17], v[4:5], v[18:19]
	s_or_b64 s[16:17], s[12:13], s[16:17]
	s_or_b64 s[16:17], s[16:17], s[38:39]
	s_or_b64 s[16:17], s[0:1], s[16:17]
	s_xor_b64 s[16:17], s[16:17], -1
	s_and_saveexec_b64 s[56:57], s[16:17]
	s_xor_b64 s[16:17], exec, s[56:57]
	s_cbranch_execz .LBB114_25
; %bb.24:                               ;   in Loop: Header=BB114_7 Depth=2
	global_load_dwordx4 v[4:7], v[6:7], off
	s_waitcnt vmcnt(0)
	ds_write2_b64 v57, v[4:5], v[6:7] offset1:1
.LBB114_25:                             ;   in Loop: Header=BB114_7 Depth=2
	s_andn2_saveexec_b64 s[16:17], s[16:17]
	s_cbranch_execz .LBB114_31
; %bb.26:                               ;   in Loop: Header=BB114_7 Depth=2
	s_xor_b64 s[38:39], s[38:39], -1
	s_and_saveexec_b64 s[56:57], s[38:39]
	s_xor_b64 s[38:39], exec, s[56:57]
	s_cbranch_execz .LBB114_28
; %bb.27:                               ;   in Loop: Header=BB114_7 Depth=2
	v_mov_b32_e32 v4, v2
	v_mov_b32_e32 v5, v2
	;; [unrolled: 1-line block ×4, first 2 shown]
	ds_write_b128 v57, v[4:7]
.LBB114_28:                             ;   in Loop: Header=BB114_7 Depth=2
	s_andn2_saveexec_b64 s[38:39], s[38:39]
	s_cbranch_execz .LBB114_30
; %bb.29:                               ;   in Loop: Header=BB114_7 Depth=2
	v_mov_b32_e32 v4, v2
	v_mov_b32_e32 v5, v2
	ds_write_b128 v57, v[2:5]
.LBB114_30:                             ;   in Loop: Header=BB114_7 Depth=2
	s_or_b64 exec, exec, s[38:39]
.LBB114_31:                             ;   in Loop: Header=BB114_7 Depth=2
	s_or_b64 exec, exec, s[16:17]
	s_or_b64 s[10:11], s[12:13], s[10:11]
	s_or_b64 s[10:11], s[10:11], s[26:27]
	;; [unrolled: 1-line block ×3, first 2 shown]
	s_xor_b64 s[10:11], s[10:11], -1
	s_and_saveexec_b64 s[12:13], s[10:11]
	s_xor_b64 s[12:13], exec, s[12:13]
	s_cbranch_execz .LBB114_33
; %bb.32:                               ;   in Loop: Header=BB114_7 Depth=2
	v_mov_b32_e32 v5, s19
	v_add_co_u32_e64 v4, s[10:11], s18, v66
	v_addc_co_u32_e64 v5, s[10:11], v67, v5, s[10:11]
	global_load_dwordx4 v[4:7], v[4:5], off offset:256
	s_waitcnt vmcnt(0)
	ds_write2_b64 v58, v[4:5], v[6:7] offset1:1
.LBB114_33:                             ;   in Loop: Header=BB114_7 Depth=2
	s_andn2_saveexec_b64 s[10:11], s[12:13]
	s_cbranch_execz .LBB114_39
; %bb.34:                               ;   in Loop: Header=BB114_7 Depth=2
	s_and_saveexec_b64 s[12:13], s[22:23]
	s_xor_b64 s[12:13], exec, s[12:13]
	s_cbranch_execz .LBB114_36
; %bb.35:                               ;   in Loop: Header=BB114_7 Depth=2
	v_mov_b32_e32 v4, v2
	v_mov_b32_e32 v5, v2
	;; [unrolled: 1-line block ×4, first 2 shown]
	ds_write_b128 v58, v[4:7]
.LBB114_36:                             ;   in Loop: Header=BB114_7 Depth=2
	s_andn2_saveexec_b64 s[12:13], s[12:13]
	s_cbranch_execz .LBB114_38
; %bb.37:                               ;   in Loop: Header=BB114_7 Depth=2
	v_mov_b32_e32 v4, v2
	v_mov_b32_e32 v5, v2
	ds_write_b128 v58, v[2:5]
.LBB114_38:                             ;   in Loop: Header=BB114_7 Depth=2
	s_or_b64 exec, exec, s[12:13]
.LBB114_39:                             ;   in Loop: Header=BB114_7 Depth=2
	s_or_b64 exec, exec, s[10:11]
	v_mov_b32_e32 v5, s21
	v_add_co_u32_e64 v4, s[10:11], s20, v0
	v_addc_co_u32_e64 v5, s[10:11], 0, v5, s[10:11]
	v_cmp_gt_i64_e64 s[10:11], s[42:43], v[4:5]
	s_and_b64 s[12:13], vcc, s[10:11]
	s_xor_b64 s[12:13], s[12:13], -1
	s_and_saveexec_b64 s[16:17], s[12:13]
	s_xor_b64 s[12:13], exec, s[16:17]
	s_cbranch_execz .LBB114_41
; %bb.40:                               ;   in Loop: Header=BB114_7 Depth=2
	v_mov_b32_e32 v6, v2
	v_mov_b32_e32 v7, v2
	;; [unrolled: 1-line block ×4, first 2 shown]
	ds_write_b128 v60, v[6:9]
.LBB114_41:                             ;   in Loop: Header=BB114_7 Depth=2
	s_or_saveexec_b64 s[16:17], s[12:13]
	v_mov_b32_e32 v7, s19
	v_add_co_u32_e64 v6, s[12:13], s18, v36
	v_addc_co_u32_e64 v7, s[12:13], v37, v7, s[12:13]
	s_xor_b64 exec, exec, s[16:17]
	s_cbranch_execz .LBB114_43
; %bb.42:                               ;   in Loop: Header=BB114_7 Depth=2
	global_load_dwordx4 v[8:11], v[6:7], off offset:-256
	s_waitcnt vmcnt(0)
	ds_write2_b64 v60, v[8:9], v[10:11] offset1:1
.LBB114_43:                             ;   in Loop: Header=BB114_7 Depth=2
	s_or_b64 exec, exec, s[16:17]
	v_cmp_gt_i64_e64 s[12:13], s[50:51], v[4:5]
	s_and_b64 s[16:17], vcc, s[12:13]
	s_xor_b64 s[16:17], s[16:17], -1
	s_and_saveexec_b64 s[22:23], s[16:17]
	s_xor_b64 s[16:17], exec, s[22:23]
	s_cbranch_execz .LBB114_45
; %bb.44:                               ;   in Loop: Header=BB114_7 Depth=2
	v_mov_b32_e32 v4, v2
	v_mov_b32_e32 v5, v2
	;; [unrolled: 1-line block ×4, first 2 shown]
	ds_write_b128 v61, v[4:7]
                                        ; implicit-def: $vgpr6_vgpr7
.LBB114_45:                             ;   in Loop: Header=BB114_7 Depth=2
	s_andn2_saveexec_b64 s[16:17], s[16:17]
	s_cbranch_execz .LBB114_47
; %bb.46:                               ;   in Loop: Header=BB114_7 Depth=2
	global_load_dwordx4 v[4:7], v[6:7], off
	s_waitcnt vmcnt(0)
	ds_write2_b64 v61, v[4:5], v[6:7] offset1:1
.LBB114_47:                             ;   in Loop: Header=BB114_7 Depth=2
	s_or_b64 exec, exec, s[16:17]
	s_and_b64 s[10:11], s[8:9], s[10:11]
	s_xor_b64 s[10:11], s[10:11], -1
	s_and_saveexec_b64 s[16:17], s[10:11]
	s_xor_b64 s[10:11], exec, s[16:17]
	s_cbranch_execz .LBB114_49
; %bb.48:                               ;   in Loop: Header=BB114_7 Depth=2
	v_mov_b32_e32 v4, v2
	v_mov_b32_e32 v5, v2
	;; [unrolled: 1-line block ×4, first 2 shown]
	ds_write_b128 v62, v[4:7]
.LBB114_49:                             ;   in Loop: Header=BB114_7 Depth=2
	s_andn2_saveexec_b64 s[16:17], s[10:11]
	s_cbranch_execz .LBB114_51
; %bb.50:                               ;   in Loop: Header=BB114_7 Depth=2
	v_mov_b32_e32 v5, s19
	v_add_co_u32_e64 v4, s[10:11], s18, v38
	v_addc_co_u32_e64 v5, s[10:11], v39, v5, s[10:11]
	global_load_dwordx4 v[4:7], v[4:5], off offset:-256
	s_waitcnt vmcnt(0)
	ds_write2_b64 v62, v[4:5], v[6:7] offset1:1
.LBB114_51:                             ;   in Loop: Header=BB114_7 Depth=2
	s_or_b64 exec, exec, s[16:17]
	s_and_b64 s[10:11], s[8:9], s[12:13]
	s_xor_b64 s[10:11], s[10:11], -1
	s_and_saveexec_b64 s[12:13], s[10:11]
	s_xor_b64 s[10:11], exec, s[12:13]
	s_cbranch_execz .LBB114_53
; %bb.52:                               ;   in Loop: Header=BB114_7 Depth=2
	v_mov_b32_e32 v4, v2
	v_mov_b32_e32 v5, v2
	;; [unrolled: 1-line block ×4, first 2 shown]
	ds_write_b128 v63, v[4:7]
.LBB114_53:                             ;   in Loop: Header=BB114_7 Depth=2
	s_andn2_saveexec_b64 s[12:13], s[10:11]
	s_cbranch_execz .LBB114_6
; %bb.54:                               ;   in Loop: Header=BB114_7 Depth=2
	v_mov_b32_e32 v5, s19
	v_add_co_u32_e64 v4, s[10:11], s18, v38
	v_addc_co_u32_e64 v5, s[10:11], v39, v5, s[10:11]
	global_load_dwordx4 v[4:7], v[4:5], off
	s_waitcnt vmcnt(0)
	ds_write2_b64 v63, v[4:5], v[6:7] offset1:1
	s_branch .LBB114_6
.LBB114_55:                             ;   in Loop: Header=BB114_4 Depth=1
	v_mul_lo_u32 v6, v69, s48
	v_mul_lo_u32 v7, v68, s49
	v_mad_u64_u32 v[4:5], s[8:9], v68, s48, 0
	v_add3_u32 v5, v5, v7, v6
	v_lshlrev_b64 v[4:5], 4, v[4:5]
	v_mov_b32_e32 v6, s53
	v_add_co_u32_e64 v4, s[8:9], s52, v4
	v_cmp_gt_i32_e32 vcc, s46, v68
	v_addc_co_u32_e64 v5, s[8:9], v6, v5, s[8:9]
	s_and_b64 s[8:9], s[4:5], vcc
	s_and_saveexec_b64 s[10:11], s[8:9]
	s_cbranch_execz .LBB114_57
; %bb.56:                               ;   in Loop: Header=BB114_4 Depth=1
	v_add_co_u32_e64 v10, s[8:9], v4, v34
	v_addc_co_u32_e64 v11, s[8:9], v5, v35, s[8:9]
	global_load_dwordx4 v[6:9], v[10:11], off
	v_mul_f64 v[12:13], s[30:31], v[54:55]
	v_mul_f64 v[14:15], s[28:29], v[54:55]
	v_fma_f64 v[12:13], s[28:29], v[52:53], -v[12:13]
	v_fmac_f64_e32 v[14:15], s[30:31], v[52:53]
	s_waitcnt vmcnt(0)
	v_add_f64 v[6:7], v[6:7], v[12:13]
	v_add_f64 v[8:9], v[8:9], v[14:15]
	global_store_dwordx4 v[10:11], v[6:9], off
.LBB114_57:                             ;   in Loop: Header=BB114_4 Depth=1
	s_or_b64 exec, exec, s[10:11]
	s_and_b64 s[10:11], s[14:15], vcc
	s_and_saveexec_b64 s[8:9], s[10:11]
	s_cbranch_execz .LBB114_59
; %bb.58:                               ;   in Loop: Header=BB114_4 Depth=1
	v_lshlrev_b64 v[6:7], 4, v[22:23]
	v_add_co_u32_e32 v8, vcc, v4, v6
	v_addc_co_u32_e32 v9, vcc, v5, v7, vcc
	global_load_dwordx4 v[4:7], v[8:9], off
	v_mul_f64 v[10:11], s[30:31], v[50:51]
	v_mul_f64 v[12:13], s[28:29], v[50:51]
	v_fma_f64 v[10:11], s[28:29], v[48:49], -v[10:11]
	v_fmac_f64_e32 v[12:13], s[30:31], v[48:49]
	s_waitcnt vmcnt(0)
	v_add_f64 v[4:5], v[4:5], v[10:11]
	v_add_f64 v[6:7], v[6:7], v[12:13]
	global_store_dwordx4 v[8:9], v[4:7], off
.LBB114_59:                             ;   in Loop: Header=BB114_4 Depth=1
	s_or_b64 exec, exec, s[8:9]
	v_add_u32_e32 v4, 16, v68
	v_ashrrev_i32_e32 v5, 31, v4
	v_cmp_gt_i32_e32 vcc, s46, v4
	v_mul_lo_u32 v6, v5, s48
	v_mul_lo_u32 v7, v4, s49
	v_mad_u64_u32 v[4:5], s[8:9], v4, s48, 0
	v_add3_u32 v5, v5, v7, v6
	v_lshlrev_b64 v[4:5], 4, v[4:5]
	v_mov_b32_e32 v6, s53
	v_add_co_u32_e64 v4, s[8:9], s52, v4
	v_addc_co_u32_e64 v5, s[8:9], v6, v5, s[8:9]
	s_and_b64 s[8:9], s[4:5], vcc
	s_and_saveexec_b64 s[10:11], s[8:9]
	s_cbranch_execz .LBB114_61
; %bb.60:                               ;   in Loop: Header=BB114_4 Depth=1
	v_add_co_u32_e64 v10, s[8:9], v4, v34
	v_addc_co_u32_e64 v11, s[8:9], v5, v35, s[8:9]
	global_load_dwordx4 v[6:9], v[10:11], off
	v_mul_f64 v[12:13], s[30:31], v[46:47]
	v_mul_f64 v[14:15], s[28:29], v[46:47]
	v_fma_f64 v[12:13], s[28:29], v[44:45], -v[12:13]
	v_fmac_f64_e32 v[14:15], s[30:31], v[44:45]
	s_waitcnt vmcnt(0)
	v_add_f64 v[6:7], v[6:7], v[12:13]
	v_add_f64 v[8:9], v[8:9], v[14:15]
	global_store_dwordx4 v[10:11], v[6:9], off
.LBB114_61:                             ;   in Loop: Header=BB114_4 Depth=1
	s_or_b64 exec, exec, s[10:11]
	s_and_b64 s[10:11], s[14:15], vcc
	s_and_saveexec_b64 s[8:9], s[10:11]
	s_cbranch_execz .LBB114_3
; %bb.62:                               ;   in Loop: Header=BB114_4 Depth=1
	v_lshlrev_b64 v[6:7], 4, v[22:23]
	v_add_co_u32_e32 v8, vcc, v4, v6
	v_addc_co_u32_e32 v9, vcc, v5, v7, vcc
	global_load_dwordx4 v[4:7], v[8:9], off
	v_mul_f64 v[10:11], s[30:31], v[40:41]
	v_mul_f64 v[12:13], s[28:29], v[40:41]
	v_fma_f64 v[10:11], s[28:29], v[42:43], -v[10:11]
	v_fmac_f64_e32 v[12:13], s[30:31], v[42:43]
	s_waitcnt vmcnt(0)
	v_add_f64 v[4:5], v[4:5], v[10:11]
	v_add_f64 v[6:7], v[6:7], v[12:13]
	global_store_dwordx4 v[8:9], v[4:7], off
	s_branch .LBB114_3
.LBB114_63:
	s_endpgm
	.section	.rodata,"a",@progbits
	.p2align	6, 0x0
	.amdhsa_kernel _ZL30rocblas_trmm_outofplace_kernelI19rocblas_complex_numIdELi32ELi2ELb1ELb1ELb1ELb0EPKS1_S2_S1_Ev17rocblas_diagonal_iiT6_lPT7_lllS7_lllPT8_llli
		.amdhsa_group_segment_fixed_size 32768
		.amdhsa_private_segment_fixed_size 0
		.amdhsa_kernarg_size 392
		.amdhsa_user_sgpr_count 6
		.amdhsa_user_sgpr_private_segment_buffer 1
		.amdhsa_user_sgpr_dispatch_ptr 0
		.amdhsa_user_sgpr_queue_ptr 0
		.amdhsa_user_sgpr_kernarg_segment_ptr 1
		.amdhsa_user_sgpr_dispatch_id 0
		.amdhsa_user_sgpr_flat_scratch_init 0
		.amdhsa_user_sgpr_kernarg_preload_length 0
		.amdhsa_user_sgpr_kernarg_preload_offset 0
		.amdhsa_user_sgpr_private_segment_size 0
		.amdhsa_uses_dynamic_stack 0
		.amdhsa_system_sgpr_private_segment_wavefront_offset 0
		.amdhsa_system_sgpr_workgroup_id_x 1
		.amdhsa_system_sgpr_workgroup_id_y 1
		.amdhsa_system_sgpr_workgroup_id_z 1
		.amdhsa_system_sgpr_workgroup_info 0
		.amdhsa_system_vgpr_workitem_id 1
		.amdhsa_next_free_vgpr 88
		.amdhsa_next_free_sgpr 58
		.amdhsa_accum_offset 88
		.amdhsa_reserve_vcc 1
		.amdhsa_reserve_flat_scratch 0
		.amdhsa_float_round_mode_32 0
		.amdhsa_float_round_mode_16_64 0
		.amdhsa_float_denorm_mode_32 3
		.amdhsa_float_denorm_mode_16_64 3
		.amdhsa_dx10_clamp 1
		.amdhsa_ieee_mode 1
		.amdhsa_fp16_overflow 0
		.amdhsa_tg_split 0
		.amdhsa_exception_fp_ieee_invalid_op 0
		.amdhsa_exception_fp_denorm_src 0
		.amdhsa_exception_fp_ieee_div_zero 0
		.amdhsa_exception_fp_ieee_overflow 0
		.amdhsa_exception_fp_ieee_underflow 0
		.amdhsa_exception_fp_ieee_inexact 0
		.amdhsa_exception_int_div_zero 0
	.end_amdhsa_kernel
	.section	.text._ZL30rocblas_trmm_outofplace_kernelI19rocblas_complex_numIdELi32ELi2ELb1ELb1ELb1ELb0EPKS1_S2_S1_Ev17rocblas_diagonal_iiT6_lPT7_lllS7_lllPT8_llli,"axG",@progbits,_ZL30rocblas_trmm_outofplace_kernelI19rocblas_complex_numIdELi32ELi2ELb1ELb1ELb1ELb0EPKS1_S2_S1_Ev17rocblas_diagonal_iiT6_lPT7_lllS7_lllPT8_llli,comdat
.Lfunc_end114:
	.size	_ZL30rocblas_trmm_outofplace_kernelI19rocblas_complex_numIdELi32ELi2ELb1ELb1ELb1ELb0EPKS1_S2_S1_Ev17rocblas_diagonal_iiT6_lPT7_lllS7_lllPT8_llli, .Lfunc_end114-_ZL30rocblas_trmm_outofplace_kernelI19rocblas_complex_numIdELi32ELi2ELb1ELb1ELb1ELb0EPKS1_S2_S1_Ev17rocblas_diagonal_iiT6_lPT7_lllS7_lllPT8_llli
                                        ; -- End function
	.section	.AMDGPU.csdata,"",@progbits
; Kernel info:
; codeLenInByte = 9612
; NumSgprs: 62
; NumVgprs: 88
; NumAgprs: 0
; TotalNumVgprs: 88
; ScratchSize: 0
; MemoryBound: 0
; FloatMode: 240
; IeeeMode: 1
; LDSByteSize: 32768 bytes/workgroup (compile time only)
; SGPRBlocks: 7
; VGPRBlocks: 10
; NumSGPRsForWavesPerEU: 62
; NumVGPRsForWavesPerEU: 88
; AccumOffset: 88
; Occupancy: 5
; WaveLimiterHint : 0
; COMPUTE_PGM_RSRC2:SCRATCH_EN: 0
; COMPUTE_PGM_RSRC2:USER_SGPR: 6
; COMPUTE_PGM_RSRC2:TRAP_HANDLER: 0
; COMPUTE_PGM_RSRC2:TGID_X_EN: 1
; COMPUTE_PGM_RSRC2:TGID_Y_EN: 1
; COMPUTE_PGM_RSRC2:TGID_Z_EN: 1
; COMPUTE_PGM_RSRC2:TIDIG_COMP_CNT: 1
; COMPUTE_PGM_RSRC3_GFX90A:ACCUM_OFFSET: 21
; COMPUTE_PGM_RSRC3_GFX90A:TG_SPLIT: 0
	.section	.text._ZL30rocblas_trmm_outofplace_kernelI19rocblas_complex_numIdELi32ELi2ELb1ELb1ELb1ELb0ES1_KS1_S1_Ev17rocblas_diagonal_iiT6_lPT7_lllS6_lllPT8_llli,"axG",@progbits,_ZL30rocblas_trmm_outofplace_kernelI19rocblas_complex_numIdELi32ELi2ELb1ELb1ELb1ELb0ES1_KS1_S1_Ev17rocblas_diagonal_iiT6_lPT7_lllS6_lllPT8_llli,comdat
	.globl	_ZL30rocblas_trmm_outofplace_kernelI19rocblas_complex_numIdELi32ELi2ELb1ELb1ELb1ELb0ES1_KS1_S1_Ev17rocblas_diagonal_iiT6_lPT7_lllS6_lllPT8_llli ; -- Begin function _ZL30rocblas_trmm_outofplace_kernelI19rocblas_complex_numIdELi32ELi2ELb1ELb1ELb1ELb0ES1_KS1_S1_Ev17rocblas_diagonal_iiT6_lPT7_lllS6_lllPT8_llli
	.p2align	8
	.type	_ZL30rocblas_trmm_outofplace_kernelI19rocblas_complex_numIdELi32ELi2ELb1ELb1ELb1ELb0ES1_KS1_S1_Ev17rocblas_diagonal_iiT6_lPT7_lllS6_lllPT8_llli,@function
_ZL30rocblas_trmm_outofplace_kernelI19rocblas_complex_numIdELi32ELi2ELb1ELb1ELb1ELb0ES1_KS1_S1_Ev17rocblas_diagonal_iiT6_lPT7_lllS6_lllPT8_llli: ; @_ZL30rocblas_trmm_outofplace_kernelI19rocblas_complex_numIdELi32ELi2ELb1ELb1ELb1ELb0ES1_KS1_S1_Ev17rocblas_diagonal_iiT6_lPT7_lllS6_lllPT8_llli
; %bb.0:
	s_load_dwordx4 s[44:47], s[4:5], 0x10
	s_waitcnt lgkmcnt(0)
	v_cmp_eq_f64_e64 s[0:1], s[44:45], 0
	v_cmp_eq_f64_e64 s[2:3], s[46:47], 0
	s_and_b64 s[0:1], s[0:1], s[2:3]
	s_and_b64 vcc, exec, s[0:1]
	s_cbranch_vccnz .LBB115_63
; %bb.1:
	s_load_dwordx4 s[48:51], s[4:5], 0x0
	s_waitcnt lgkmcnt(0)
	s_add_i32 s0, s50, -1
	s_ashr_i32 s1, s0, 31
	s_lshr_b32 s1, s1, 27
	s_add_i32 s0, s0, s1
	s_ashr_i32 s33, s0, 5
	s_cmp_gt_i32 s7, s33
	s_cbranch_scc1 .LBB115_63
; %bb.2:
	s_load_dwordx8 s[36:43], s[4:5], 0x68
	s_load_dwordx16 s[16:31], s[4:5], 0x28
	v_bfe_u32 v16, v0, 10, 10
	v_and_b32_e32 v0, 0x3ff, v0
	v_lshlrev_b32_e32 v3, 9, v16
	s_waitcnt lgkmcnt(0)
	s_mul_i32 s1, s8, s43
	s_mul_hi_u32 s2, s8, s42
	s_mul_i32 s0, s8, s42
	s_add_i32 s1, s2, s1
	s_lshl_b64 s[0:1], s[0:1], 4
	s_add_u32 s2, s36, s0
	s_addc_u32 s3, s37, s1
	s_lshl_b64 s[0:1], s[38:39], 4
	s_add_u32 s51, s2, s0
	s_addc_u32 s52, s3, s1
	s_lshl_b32 s53, s6, 5
	s_cmp_gt_i32 s6, -1
	v_add_u32_e32 v18, s53, v0
	s_cselect_b64 s[34:35], -1, 0
	s_cmpk_eq_i32 s48, 0x84
	v_ashrrev_i32_e32 v19, 31, v18
	s_cselect_b64 s[36:37], -1, 0
	s_ashr_i32 s39, s49, 31
	s_ashr_i32 s6, s50, 31
	v_add_co_u32_e32 v20, vcc, 16, v18
	v_addc_co_u32_e32 v21, vcc, 0, v19, vcc
	s_add_u32 s42, s49, -16
	s_mul_i32 s9, s31, s8
	s_mul_hi_u32 s10, s30, s8
	s_addc_u32 s43, s39, -1
	v_sub_co_u32_e32 v24, vcc, v18, v16
	s_add_i32 s11, s10, s9
	s_mul_i32 s10, s30, s8
	v_subbrev_co_u32_e32 v25, vcc, 0, v19, vcc
	s_lshl_b64 s[10:11], s[10:11], 4
	s_lshl_b64 s[12:13], s[26:27], 4
	v_add_co_u32_e32 v26, vcc, 16, v24
	s_add_u32 s9, s10, s12
	v_addc_co_u32_e32 v27, vcc, 0, v25, vcc
	s_addc_u32 s10, s11, s13
	v_add_co_u32_e32 v28, vcc, -16, v24
	s_add_u32 s9, s24, s9
	v_lshlrev_b32_e32 v1, 4, v0
	v_addc_co_u32_e32 v29, vcc, -1, v25, vcc
	s_addc_u32 s10, s25, s10
	s_load_dword s48, s[4:5], 0x94
	v_add_u32_e32 v17, v1, v3
	v_add_u32_e32 v59, 0x4000, v3
	v_mov_b32_e32 v3, s10
	v_add_co_u32_e32 v4, vcc, s9, v1
	s_movk_i32 s54, 0x100
	v_addc_co_u32_e32 v3, vcc, 0, v3, vcc
	v_add_co_u32_e32 v30, vcc, s54, v4
	v_mad_u64_u32 v[4:5], s[10:11], s20, v18, 0
	s_mul_i32 s9, s23, s8
	s_mul_hi_u32 s10, s22, s8
	v_add_u32_e32 v22, 16, v18
	s_add_i32 s9, s10, s9
	s_mul_i32 s8, s22, s8
	s_mov_b32 s38, s49
	v_cmp_le_i32_e64 s[0:1], s49, v18
	v_cmp_gt_i32_e64 s[4:5], s49, v18
	v_cmp_gt_i32_e64 s[14:15], s49, v22
	v_addc_co_u32_e32 v31, vcc, 0, v3, vcc
	s_lshl_b64 s[24:25], s[28:29], 4
	s_waitcnt lgkmcnt(0)
	s_lshl_b32 s49, s48, 5
	v_mul_lo_u32 v3, s20, v19
	v_mul_lo_u32 v6, s21, v18
	s_lshl_b64 s[8:9], s[8:9], 4
	s_lshl_b64 s[10:11], s[18:19], 4
	v_add3_u32 v5, v5, v3, v6
	s_add_u32 s8, s10, s8
	v_lshlrev_b64 v[4:5], 4, v[4:5]
	s_addc_u32 s9, s11, s9
	v_mov_b32_e32 v3, s9
	v_add_co_u32_e32 v4, vcc, s8, v4
	v_addc_co_u32_e32 v3, vcc, v3, v5, vcc
	v_lshlrev_b32_e32 v6, 4, v16
	v_add_co_u32_e32 v4, vcc, v4, v6
	v_addc_co_u32_e32 v3, vcc, 0, v3, vcc
	v_mov_b32_e32 v5, s17
	v_add_co_u32_e32 v4, vcc, s16, v4
	v_addc_co_u32_e32 v3, vcc, v3, v5, vcc
	v_add_co_u32_e32 v64, vcc, s54, v4
	v_addc_co_u32_e32 v65, vcc, 0, v3, vcc
	v_lshlrev_b64 v[34:35], 4, v[18:19]
	v_add_co_u32_e32 v3, vcc, s54, v34
	v_addc_co_u32_e32 v4, vcc, 0, v35, vcc
	v_mul_lo_u32 v7, s20, v4
	v_pk_mov_b32 v[4:5], s[8:9], s[8:9] op_sel:[0,1]
	v_mul_lo_u32 v8, s21, v3
	v_mad_u64_u32 v[4:5], s[8:9], s20, v3, v[4:5]
	v_add3_u32 v3, v8, v5, v7
	v_add_co_u32_e32 v4, vcc, v4, v6
	v_addc_co_u32_e32 v3, vcc, 0, v3, vcc
	v_add_u32_e32 v60, v59, v1
	v_mov_b32_e32 v5, s17
	v_add_co_u32_e32 v66, vcc, s16, v4
	v_mov_b32_e32 v2, 0
	v_cmp_le_i64_e64 s[2:3], s[38:39], v[20:21]
	v_add_u32_e32 v56, 0x100, v17
	v_add_u32_e32 v57, 0x2000, v17
	;; [unrolled: 1-line block ×6, first 2 shown]
	v_ashrrev_i32_e32 v23, 31, v22
	v_lshl_add_u32 v32, s7, 5, v16
	v_addc_co_u32_e32 v67, vcc, v5, v3, vcc
	v_mov_b32_e32 v3, 0x3ff00000
	s_branch .LBB115_4
.LBB115_3:                              ;   in Loop: Header=BB115_4 Depth=1
	s_or_b64 exec, exec, s[8:9]
	s_add_i32 s7, s48, s7
	s_cmp_le_i32 s7, s33
	v_add_u32_e32 v32, s49, v32
	s_cbranch_scc0 .LBB115_63
.LBB115_4:                              ; =>This Loop Header: Depth=1
                                        ;     Child Loop BB115_7 Depth 2
	v_lshl_add_u32 v68, s7, 5, v16
	v_pk_mov_b32 v[52:53], 0, 0
	v_ashrrev_i32_e32 v69, 31, v68
	s_mov_b64 s[18:19], 0
	s_andn2_b64 vcc, exec, s[34:35]
	v_pk_mov_b32 v[54:55], v[52:53], v[52:53] op_sel:[0,1]
	v_pk_mov_b32 v[48:49], v[52:53], v[52:53] op_sel:[0,1]
	;; [unrolled: 1-line block ×7, first 2 shown]
	s_cbranch_vccnz .LBB115_55
; %bb.5:                                ;   in Loop: Header=BB115_4 Depth=1
	v_ashrrev_i32_e32 v33, 31, v32
	v_mad_u64_u32 v[36:37], s[8:9], s24, v32, v[30:31]
	v_mul_lo_u32 v4, s25, v32
	v_mul_lo_u32 v5, s24, v33
	v_add3_u32 v37, v4, v37, v5
	v_lshlrev_b64 v[4:5], 4, v[32:33]
	v_add_co_u32_e32 v4, vcc, 0x100, v4
	v_addc_co_u32_e32 v5, vcc, 0, v5, vcc
	v_mul_lo_u32 v5, s28, v5
	v_mul_lo_u32 v6, s29, v4
	v_mad_u64_u32 v[38:39], s[8:9], s28, v4, v[30:31]
	v_add3_u32 v39, v6, v39, v5
	v_mov_b32_e32 v5, s6
	v_sub_co_u32_e32 v4, vcc, s50, v68
	v_subb_co_u32_e32 v5, vcc, v5, v69, vcc
	v_pk_mov_b32 v[40:41], 0, 0
	v_cmp_lt_i64_e32 vcc, 0, v[4:5]
	v_cmp_lt_i64_e64 s[8:9], 16, v[4:5]
	s_mov_b64 s[20:21], 0
	v_pk_mov_b32 v[42:43], v[40:41], v[40:41] op_sel:[0,1]
	v_pk_mov_b32 v[46:47], v[40:41], v[40:41] op_sel:[0,1]
	;; [unrolled: 1-line block ×7, first 2 shown]
	s_branch .LBB115_7
.LBB115_6:                              ;   in Loop: Header=BB115_7 Depth=2
	s_or_b64 exec, exec, s[12:13]
	s_waitcnt lgkmcnt(0)
	s_barrier
	ds_read_b128 v[70:73], v1
	ds_read_b128 v[74:77], v59
	ds_read_b128 v[12:15], v59 offset:16
	ds_read_b128 v[8:11], v59 offset:32
	ds_read_b128 v[4:7], v59 offset:48
	ds_read_b128 v[78:81], v1 offset:256
	s_waitcnt lgkmcnt(4)
	v_mul_f64 v[82:83], v[76:77], v[72:73]
	v_fma_f64 v[82:83], v[74:75], v[70:71], -v[82:83]
	v_mul_f64 v[84:85], v[74:75], v[72:73]
	v_fmac_f64_e32 v[84:85], v[76:77], v[70:71]
	v_add_f64 v[82:83], v[52:53], v[82:83]
	s_waitcnt lgkmcnt(0)
	v_mul_f64 v[52:53], v[76:77], v[80:81]
	v_add_f64 v[84:85], v[54:55], v[84:85]
	v_fma_f64 v[86:87], v[74:75], v[78:79], -v[52:53]
	ds_read_b128 v[52:55], v59 offset:8192
	v_mul_f64 v[74:75], v[74:75], v[80:81]
	v_fmac_f64_e32 v[74:75], v[76:77], v[78:79]
	v_add_f64 v[76:77], v[48:49], v[86:87]
	v_add_f64 v[74:75], v[50:51], v[74:75]
	ds_read_b128 v[48:51], v59 offset:8208
	s_waitcnt lgkmcnt(1)
	v_mul_f64 v[86:87], v[54:55], v[72:73]
	v_fma_f64 v[86:87], v[52:53], v[70:71], -v[86:87]
	v_mul_f64 v[72:73], v[52:53], v[72:73]
	v_fmac_f64_e32 v[72:73], v[54:55], v[70:71]
	v_add_f64 v[70:71], v[44:45], v[86:87]
	v_mul_f64 v[44:45], v[54:55], v[80:81]
	v_add_f64 v[72:73], v[46:47], v[72:73]
	v_fma_f64 v[86:87], v[52:53], v[78:79], -v[44:45]
	v_mul_f64 v[52:53], v[52:53], v[80:81]
	ds_read_b128 v[44:47], v1 offset:512
	v_fmac_f64_e32 v[52:53], v[54:55], v[78:79]
	v_add_f64 v[54:55], v[42:43], v[86:87]
	v_add_f64 v[52:53], v[40:41], v[52:53]
	ds_read_b128 v[40:43], v1 offset:768
	s_waitcnt lgkmcnt(1)
	v_mul_f64 v[78:79], v[14:15], v[46:47]
	v_fma_f64 v[78:79], v[12:13], v[44:45], -v[78:79]
	v_add_f64 v[78:79], v[82:83], v[78:79]
	v_mul_f64 v[80:81], v[12:13], v[46:47]
	s_waitcnt lgkmcnt(0)
	v_mul_f64 v[82:83], v[14:15], v[42:43]
	v_fma_f64 v[82:83], v[12:13], v[40:41], -v[82:83]
	v_mul_f64 v[12:13], v[12:13], v[42:43]
	v_fmac_f64_e32 v[12:13], v[14:15], v[40:41]
	v_fmac_f64_e32 v[80:81], v[14:15], v[44:45]
	v_add_f64 v[74:75], v[74:75], v[12:13]
	v_mul_f64 v[12:13], v[50:51], v[46:47]
	v_mul_f64 v[14:15], v[48:49], v[46:47]
	v_fma_f64 v[12:13], v[48:49], v[44:45], -v[12:13]
	v_fmac_f64_e32 v[14:15], v[50:51], v[44:45]
	v_mul_f64 v[44:45], v[50:51], v[42:43]
	v_fma_f64 v[46:47], v[48:49], v[40:41], -v[44:45]
	v_mul_f64 v[48:49], v[48:49], v[42:43]
	ds_read_b128 v[42:45], v1 offset:1024
	v_fmac_f64_e32 v[48:49], v[50:51], v[40:41]
	v_add_f64 v[40:41], v[54:55], v[46:47]
	v_add_f64 v[54:55], v[52:53], v[48:49]
	ds_read_b128 v[46:49], v1 offset:1280
	s_waitcnt lgkmcnt(1)
	v_mul_f64 v[50:51], v[10:11], v[44:45]
	v_fma_f64 v[50:51], v[8:9], v[42:43], -v[50:51]
	v_mul_f64 v[52:53], v[8:9], v[44:45]
	v_add_f64 v[80:81], v[84:85], v[80:81]
	v_add_f64 v[12:13], v[70:71], v[12:13]
	v_fmac_f64_e32 v[52:53], v[10:11], v[42:43]
	v_add_f64 v[70:71], v[78:79], v[50:51]
	s_waitcnt lgkmcnt(0)
	v_mul_f64 v[50:51], v[10:11], v[48:49]
	v_add_f64 v[14:15], v[72:73], v[14:15]
	v_add_f64 v[72:73], v[80:81], v[52:53]
	v_fma_f64 v[78:79], v[8:9], v[46:47], -v[50:51]
	ds_read_b128 v[50:53], v59 offset:8224
	v_mul_f64 v[8:9], v[8:9], v[48:49]
	v_add_f64 v[76:77], v[76:77], v[82:83]
	v_fmac_f64_e32 v[8:9], v[10:11], v[46:47]
	v_add_f64 v[76:77], v[76:77], v[78:79]
	v_add_f64 v[74:75], v[74:75], v[8:9]
	ds_read_b128 v[8:11], v59 offset:8240
	s_waitcnt lgkmcnt(1)
	v_mul_f64 v[78:79], v[52:53], v[44:45]
	v_fma_f64 v[78:79], v[50:51], v[42:43], -v[78:79]
	v_mul_f64 v[44:45], v[50:51], v[44:45]
	v_add_f64 v[78:79], v[12:13], v[78:79]
	v_mul_f64 v[12:13], v[52:53], v[48:49]
	v_fmac_f64_e32 v[44:45], v[52:53], v[42:43]
	v_fma_f64 v[42:43], v[50:51], v[46:47], -v[12:13]
	v_mul_f64 v[48:49], v[50:51], v[48:49]
	v_add_f64 v[44:45], v[14:15], v[44:45]
	ds_read_b128 v[12:15], v1 offset:1536
	v_fmac_f64_e32 v[48:49], v[52:53], v[46:47]
	v_add_f64 v[46:47], v[40:41], v[42:43]
	ds_read_b128 v[40:43], v1 offset:1792
	v_add_f64 v[48:49], v[54:55], v[48:49]
	s_waitcnt lgkmcnt(1)
	v_mul_f64 v[50:51], v[6:7], v[14:15]
	v_fma_f64 v[50:51], v[4:5], v[12:13], -v[50:51]
	v_mul_f64 v[52:53], v[4:5], v[14:15]
	s_waitcnt lgkmcnt(0)
	v_mul_f64 v[54:55], v[6:7], v[42:43]
	v_fma_f64 v[54:55], v[4:5], v[40:41], -v[54:55]
	v_mul_f64 v[4:5], v[4:5], v[42:43]
	v_fmac_f64_e32 v[4:5], v[6:7], v[40:41]
	v_fmac_f64_e32 v[52:53], v[6:7], v[12:13]
	v_add_f64 v[50:51], v[70:71], v[50:51]
	v_add_f64 v[70:71], v[74:75], v[4:5]
	v_mul_f64 v[4:5], v[10:11], v[14:15]
	v_mul_f64 v[6:7], v[8:9], v[14:15]
	v_fma_f64 v[4:5], v[8:9], v[12:13], -v[4:5]
	v_fmac_f64_e32 v[6:7], v[10:11], v[12:13]
	v_mul_f64 v[12:13], v[10:11], v[42:43]
	v_mul_f64 v[42:43], v[8:9], v[42:43]
	v_add_f64 v[6:7], v[44:45], v[6:7]
	v_fma_f64 v[44:45], v[8:9], v[40:41], -v[12:13]
	v_fmac_f64_e32 v[42:43], v[10:11], v[40:41]
	ds_read_b128 v[8:11], v59 offset:64
	ds_read_b128 v[12:15], v1 offset:2048
	v_add_f64 v[52:53], v[72:73], v[52:53]
	v_add_f64 v[72:73], v[46:47], v[44:45]
	;; [unrolled: 1-line block ×3, first 2 shown]
	ds_read_b128 v[40:43], v1 offset:2304
	ds_read_b128 v[44:47], v59 offset:80
	s_waitcnt lgkmcnt(2)
	v_mul_f64 v[48:49], v[10:11], v[14:15]
	v_add_f64 v[54:55], v[76:77], v[54:55]
	v_fma_f64 v[48:49], v[8:9], v[12:13], -v[48:49]
	v_mul_f64 v[76:77], v[8:9], v[14:15]
	v_add_f64 v[4:5], v[78:79], v[4:5]
	v_fmac_f64_e32 v[76:77], v[10:11], v[12:13]
	v_add_f64 v[78:79], v[50:51], v[48:49]
	s_waitcnt lgkmcnt(1)
	v_mul_f64 v[48:49], v[10:11], v[42:43]
	v_add_f64 v[52:53], v[52:53], v[76:77]
	v_fma_f64 v[76:77], v[8:9], v[40:41], -v[48:49]
	ds_read_b128 v[48:51], v59 offset:8256
	v_mul_f64 v[8:9], v[8:9], v[42:43]
	v_fmac_f64_e32 v[8:9], v[10:11], v[40:41]
	v_add_f64 v[54:55], v[54:55], v[76:77]
	v_add_f64 v[70:71], v[70:71], v[8:9]
	ds_read_b128 v[8:11], v59 offset:8272
	s_waitcnt lgkmcnt(1)
	v_mul_f64 v[76:77], v[50:51], v[14:15]
	v_fma_f64 v[76:77], v[48:49], v[12:13], -v[76:77]
	v_mul_f64 v[14:15], v[48:49], v[14:15]
	v_fmac_f64_e32 v[14:15], v[50:51], v[12:13]
	v_add_f64 v[76:77], v[4:5], v[76:77]
	v_mul_f64 v[4:5], v[50:51], v[42:43]
	v_add_f64 v[80:81], v[6:7], v[14:15]
	v_fma_f64 v[12:13], v[48:49], v[40:41], -v[4:5]
	v_mul_f64 v[14:15], v[48:49], v[42:43]
	ds_read_b128 v[4:7], v1 offset:2560
	v_fmac_f64_e32 v[14:15], v[50:51], v[40:41]
	v_add_f64 v[40:41], v[72:73], v[12:13]
	v_add_f64 v[42:43], v[74:75], v[14:15]
	ds_read_b128 v[12:15], v1 offset:2816
	s_waitcnt lgkmcnt(1)
	v_mul_f64 v[50:51], v[44:45], v[6:7]
	v_fmac_f64_e32 v[50:51], v[46:47], v[4:5]
	v_mul_f64 v[48:49], v[46:47], v[6:7]
	v_add_f64 v[50:51], v[52:53], v[50:51]
	s_waitcnt lgkmcnt(0)
	v_mul_f64 v[52:53], v[46:47], v[14:15]
	v_fma_f64 v[48:49], v[44:45], v[4:5], -v[48:49]
	v_fma_f64 v[52:53], v[44:45], v[12:13], -v[52:53]
	v_mul_f64 v[44:45], v[44:45], v[14:15]
	v_fmac_f64_e32 v[44:45], v[46:47], v[12:13]
	v_add_f64 v[52:53], v[54:55], v[52:53]
	v_add_f64 v[54:55], v[70:71], v[44:45]
	v_mul_f64 v[44:45], v[10:11], v[6:7]
	v_fma_f64 v[44:45], v[8:9], v[4:5], -v[44:45]
	v_mul_f64 v[6:7], v[8:9], v[6:7]
	v_fmac_f64_e32 v[6:7], v[10:11], v[4:5]
	v_add_f64 v[4:5], v[76:77], v[44:45]
	v_mul_f64 v[44:45], v[10:11], v[14:15]
	v_mul_f64 v[46:47], v[8:9], v[14:15]
	v_fma_f64 v[44:45], v[8:9], v[12:13], -v[44:45]
	v_fmac_f64_e32 v[46:47], v[10:11], v[12:13]
	ds_read_b128 v[8:11], v59 offset:96
	ds_read_b128 v[12:15], v1 offset:3072
	v_add_f64 v[70:71], v[40:41], v[44:45]
	v_add_f64 v[72:73], v[42:43], v[46:47]
	ds_read_b128 v[40:43], v1 offset:3328
	ds_read_b128 v[44:47], v59 offset:112
	v_add_f64 v[48:49], v[78:79], v[48:49]
	s_waitcnt lgkmcnt(2)
	v_mul_f64 v[74:75], v[10:11], v[14:15]
	v_fma_f64 v[74:75], v[8:9], v[12:13], -v[74:75]
	v_mul_f64 v[76:77], v[8:9], v[14:15]
	v_fmac_f64_e32 v[76:77], v[10:11], v[12:13]
	v_add_f64 v[74:75], v[48:49], v[74:75]
	s_waitcnt lgkmcnt(1)
	v_mul_f64 v[48:49], v[10:11], v[42:43]
	v_add_f64 v[76:77], v[50:51], v[76:77]
	v_fma_f64 v[78:79], v[8:9], v[40:41], -v[48:49]
	ds_read_b128 v[48:51], v59 offset:8288
	v_mul_f64 v[8:9], v[8:9], v[42:43]
	v_fmac_f64_e32 v[8:9], v[10:11], v[40:41]
	v_add_f64 v[52:53], v[52:53], v[78:79]
	v_add_f64 v[54:55], v[54:55], v[8:9]
	ds_read_b128 v[8:11], v59 offset:8304
	s_waitcnt lgkmcnt(1)
	v_mul_f64 v[78:79], v[50:51], v[14:15]
	v_mul_f64 v[14:15], v[48:49], v[14:15]
	v_add_f64 v[6:7], v[80:81], v[6:7]
	v_fma_f64 v[78:79], v[48:49], v[12:13], -v[78:79]
	v_fmac_f64_e32 v[14:15], v[50:51], v[12:13]
	v_add_f64 v[78:79], v[4:5], v[78:79]
	v_add_f64 v[80:81], v[6:7], v[14:15]
	v_mul_f64 v[4:5], v[50:51], v[42:43]
	v_mul_f64 v[14:15], v[48:49], v[42:43]
	v_fma_f64 v[12:13], v[48:49], v[40:41], -v[4:5]
	v_fmac_f64_e32 v[14:15], v[50:51], v[40:41]
	ds_read_b128 v[4:7], v1 offset:3584
	v_add_f64 v[40:41], v[70:71], v[12:13]
	v_add_f64 v[42:43], v[72:73], v[14:15]
	ds_read_b128 v[12:15], v1 offset:3840
	s_add_u32 s20, s20, 32
	s_waitcnt lgkmcnt(1)
	v_mul_f64 v[48:49], v[46:47], v[6:7]
	v_fma_f64 v[48:49], v[44:45], v[4:5], -v[48:49]
	v_mul_f64 v[50:51], v[44:45], v[6:7]
	s_waitcnt lgkmcnt(0)
	v_mul_f64 v[70:71], v[46:47], v[14:15]
	v_fma_f64 v[70:71], v[44:45], v[12:13], -v[70:71]
	v_mul_f64 v[44:45], v[44:45], v[14:15]
	v_fmac_f64_e32 v[44:45], v[46:47], v[12:13]
	v_add_f64 v[54:55], v[54:55], v[44:45]
	v_mul_f64 v[44:45], v[10:11], v[6:7]
	v_fma_f64 v[44:45], v[8:9], v[4:5], -v[44:45]
	v_mul_f64 v[6:7], v[8:9], v[6:7]
	v_fmac_f64_e32 v[50:51], v[46:47], v[4:5]
	v_fmac_f64_e32 v[6:7], v[10:11], v[4:5]
	v_add_f64 v[4:5], v[78:79], v[44:45]
	v_mul_f64 v[44:45], v[10:11], v[14:15]
	v_mul_f64 v[46:47], v[8:9], v[14:15]
	v_fma_f64 v[44:45], v[8:9], v[12:13], -v[44:45]
	v_fmac_f64_e32 v[46:47], v[10:11], v[12:13]
	ds_read_b128 v[8:11], v59 offset:128
	ds_read_b128 v[12:15], v1 offset:4096
	v_add_f64 v[52:53], v[52:53], v[70:71]
	v_add_f64 v[70:71], v[40:41], v[44:45]
	;; [unrolled: 1-line block ×3, first 2 shown]
	ds_read_b128 v[40:43], v1 offset:4352
	ds_read_b128 v[44:47], v59 offset:144
	v_add_f64 v[48:49], v[74:75], v[48:49]
	s_waitcnt lgkmcnt(2)
	v_mul_f64 v[74:75], v[10:11], v[14:15]
	v_add_f64 v[50:51], v[76:77], v[50:51]
	v_fma_f64 v[74:75], v[8:9], v[12:13], -v[74:75]
	v_mul_f64 v[76:77], v[8:9], v[14:15]
	v_fmac_f64_e32 v[76:77], v[10:11], v[12:13]
	v_add_f64 v[74:75], v[48:49], v[74:75]
	s_waitcnt lgkmcnt(1)
	v_mul_f64 v[48:49], v[10:11], v[42:43]
	v_add_f64 v[76:77], v[50:51], v[76:77]
	v_fma_f64 v[78:79], v[8:9], v[40:41], -v[48:49]
	ds_read_b128 v[48:51], v59 offset:8320
	v_mul_f64 v[8:9], v[8:9], v[42:43]
	v_fmac_f64_e32 v[8:9], v[10:11], v[40:41]
	v_add_f64 v[52:53], v[52:53], v[78:79]
	v_add_f64 v[54:55], v[54:55], v[8:9]
	ds_read_b128 v[8:11], v59 offset:8336
	s_waitcnt lgkmcnt(1)
	v_mul_f64 v[78:79], v[50:51], v[14:15]
	v_mul_f64 v[14:15], v[48:49], v[14:15]
	v_add_f64 v[6:7], v[80:81], v[6:7]
	v_fma_f64 v[78:79], v[48:49], v[12:13], -v[78:79]
	v_fmac_f64_e32 v[14:15], v[50:51], v[12:13]
	v_add_f64 v[78:79], v[4:5], v[78:79]
	v_add_f64 v[80:81], v[6:7], v[14:15]
	v_mul_f64 v[4:5], v[50:51], v[42:43]
	v_mul_f64 v[14:15], v[48:49], v[42:43]
	v_fma_f64 v[12:13], v[48:49], v[40:41], -v[4:5]
	v_fmac_f64_e32 v[14:15], v[50:51], v[40:41]
	ds_read_b128 v[4:7], v1 offset:4608
	v_add_f64 v[40:41], v[70:71], v[12:13]
	v_add_f64 v[42:43], v[72:73], v[14:15]
	ds_read_b128 v[12:15], v1 offset:4864
	s_addc_u32 s21, s21, 0
	s_waitcnt lgkmcnt(1)
	v_mul_f64 v[48:49], v[46:47], v[6:7]
	v_fma_f64 v[48:49], v[44:45], v[4:5], -v[48:49]
	v_mul_f64 v[50:51], v[44:45], v[6:7]
	s_waitcnt lgkmcnt(0)
	v_mul_f64 v[70:71], v[46:47], v[14:15]
	v_fma_f64 v[70:71], v[44:45], v[12:13], -v[70:71]
	v_mul_f64 v[44:45], v[44:45], v[14:15]
	v_fmac_f64_e32 v[44:45], v[46:47], v[12:13]
	v_add_f64 v[54:55], v[54:55], v[44:45]
	v_mul_f64 v[44:45], v[10:11], v[6:7]
	v_fma_f64 v[44:45], v[8:9], v[4:5], -v[44:45]
	v_mul_f64 v[6:7], v[8:9], v[6:7]
	v_fmac_f64_e32 v[50:51], v[46:47], v[4:5]
	v_fmac_f64_e32 v[6:7], v[10:11], v[4:5]
	v_add_f64 v[4:5], v[78:79], v[44:45]
	v_mul_f64 v[44:45], v[10:11], v[14:15]
	v_mul_f64 v[46:47], v[8:9], v[14:15]
	v_fma_f64 v[44:45], v[8:9], v[12:13], -v[44:45]
	v_fmac_f64_e32 v[46:47], v[10:11], v[12:13]
	ds_read_b128 v[8:11], v59 offset:160
	ds_read_b128 v[12:15], v1 offset:5120
	v_add_f64 v[52:53], v[52:53], v[70:71]
	v_add_f64 v[70:71], v[40:41], v[44:45]
	;; [unrolled: 1-line block ×3, first 2 shown]
	ds_read_b128 v[40:43], v1 offset:5376
	ds_read_b128 v[44:47], v59 offset:176
	v_add_f64 v[48:49], v[74:75], v[48:49]
	s_waitcnt lgkmcnt(2)
	v_mul_f64 v[74:75], v[10:11], v[14:15]
	v_add_f64 v[50:51], v[76:77], v[50:51]
	v_fma_f64 v[74:75], v[8:9], v[12:13], -v[74:75]
	v_mul_f64 v[76:77], v[8:9], v[14:15]
	v_fmac_f64_e32 v[76:77], v[10:11], v[12:13]
	v_add_f64 v[74:75], v[48:49], v[74:75]
	s_waitcnt lgkmcnt(1)
	v_mul_f64 v[48:49], v[10:11], v[42:43]
	v_add_f64 v[76:77], v[50:51], v[76:77]
	v_fma_f64 v[78:79], v[8:9], v[40:41], -v[48:49]
	ds_read_b128 v[48:51], v59 offset:8352
	v_mul_f64 v[8:9], v[8:9], v[42:43]
	v_fmac_f64_e32 v[8:9], v[10:11], v[40:41]
	v_add_f64 v[52:53], v[52:53], v[78:79]
	v_add_f64 v[54:55], v[54:55], v[8:9]
	ds_read_b128 v[8:11], v59 offset:8368
	s_waitcnt lgkmcnt(1)
	v_mul_f64 v[78:79], v[50:51], v[14:15]
	v_mul_f64 v[14:15], v[48:49], v[14:15]
	v_add_f64 v[6:7], v[80:81], v[6:7]
	v_fma_f64 v[78:79], v[48:49], v[12:13], -v[78:79]
	v_fmac_f64_e32 v[14:15], v[50:51], v[12:13]
	v_add_f64 v[78:79], v[4:5], v[78:79]
	v_add_f64 v[80:81], v[6:7], v[14:15]
	v_mul_f64 v[4:5], v[50:51], v[42:43]
	v_mul_f64 v[14:15], v[48:49], v[42:43]
	v_fma_f64 v[12:13], v[48:49], v[40:41], -v[4:5]
	v_fmac_f64_e32 v[14:15], v[50:51], v[40:41]
	ds_read_b128 v[4:7], v1 offset:5632
	v_add_f64 v[40:41], v[70:71], v[12:13]
	v_add_f64 v[42:43], v[72:73], v[14:15]
	ds_read_b128 v[12:15], v1 offset:5888
	s_sub_i32 s10, s20, 32
	s_waitcnt lgkmcnt(1)
	v_mul_f64 v[48:49], v[46:47], v[6:7]
	v_fma_f64 v[48:49], v[44:45], v[4:5], -v[48:49]
	v_mul_f64 v[50:51], v[44:45], v[6:7]
	s_waitcnt lgkmcnt(0)
	v_mul_f64 v[70:71], v[46:47], v[14:15]
	v_fma_f64 v[70:71], v[44:45], v[12:13], -v[70:71]
	v_mul_f64 v[44:45], v[44:45], v[14:15]
	v_fmac_f64_e32 v[44:45], v[46:47], v[12:13]
	v_add_f64 v[54:55], v[54:55], v[44:45]
	v_mul_f64 v[44:45], v[10:11], v[6:7]
	v_fma_f64 v[44:45], v[8:9], v[4:5], -v[44:45]
	v_mul_f64 v[6:7], v[8:9], v[6:7]
	v_fmac_f64_e32 v[50:51], v[46:47], v[4:5]
	v_fmac_f64_e32 v[6:7], v[10:11], v[4:5]
	v_add_f64 v[4:5], v[78:79], v[44:45]
	v_mul_f64 v[44:45], v[10:11], v[14:15]
	v_mul_f64 v[46:47], v[8:9], v[14:15]
	v_fma_f64 v[44:45], v[8:9], v[12:13], -v[44:45]
	v_fmac_f64_e32 v[46:47], v[10:11], v[12:13]
	ds_read_b128 v[8:11], v59 offset:192
	ds_read_b128 v[12:15], v1 offset:6144
	v_add_f64 v[52:53], v[52:53], v[70:71]
	v_add_f64 v[70:71], v[40:41], v[44:45]
	;; [unrolled: 1-line block ×3, first 2 shown]
	ds_read_b128 v[40:43], v1 offset:6400
	ds_read_b128 v[44:47], v59 offset:208
	v_add_f64 v[48:49], v[74:75], v[48:49]
	s_waitcnt lgkmcnt(2)
	v_mul_f64 v[74:75], v[10:11], v[14:15]
	v_add_f64 v[50:51], v[76:77], v[50:51]
	v_fma_f64 v[74:75], v[8:9], v[12:13], -v[74:75]
	v_mul_f64 v[76:77], v[8:9], v[14:15]
	v_fmac_f64_e32 v[76:77], v[10:11], v[12:13]
	v_add_f64 v[74:75], v[48:49], v[74:75]
	s_waitcnt lgkmcnt(1)
	v_mul_f64 v[48:49], v[10:11], v[42:43]
	v_add_f64 v[76:77], v[50:51], v[76:77]
	v_fma_f64 v[78:79], v[8:9], v[40:41], -v[48:49]
	ds_read_b128 v[48:51], v59 offset:8384
	v_mul_f64 v[8:9], v[8:9], v[42:43]
	v_fmac_f64_e32 v[8:9], v[10:11], v[40:41]
	v_add_f64 v[52:53], v[52:53], v[78:79]
	v_add_f64 v[54:55], v[54:55], v[8:9]
	ds_read_b128 v[8:11], v59 offset:8400
	s_waitcnt lgkmcnt(1)
	v_mul_f64 v[78:79], v[50:51], v[14:15]
	v_mul_f64 v[14:15], v[48:49], v[14:15]
	v_add_f64 v[6:7], v[80:81], v[6:7]
	v_fma_f64 v[78:79], v[48:49], v[12:13], -v[78:79]
	v_fmac_f64_e32 v[14:15], v[50:51], v[12:13]
	v_add_f64 v[78:79], v[4:5], v[78:79]
	v_add_f64 v[80:81], v[6:7], v[14:15]
	v_mul_f64 v[4:5], v[50:51], v[42:43]
	v_mul_f64 v[14:15], v[48:49], v[42:43]
	v_fma_f64 v[12:13], v[48:49], v[40:41], -v[4:5]
	v_fmac_f64_e32 v[14:15], v[50:51], v[40:41]
	ds_read_b128 v[4:7], v1 offset:6656
	v_add_f64 v[40:41], v[70:71], v[12:13]
	v_add_f64 v[42:43], v[72:73], v[14:15]
	ds_read_b128 v[12:15], v1 offset:6912
	s_add_u32 s18, s18, 0x200
	s_waitcnt lgkmcnt(1)
	v_mul_f64 v[48:49], v[46:47], v[6:7]
	v_fma_f64 v[48:49], v[44:45], v[4:5], -v[48:49]
	v_mul_f64 v[50:51], v[44:45], v[6:7]
	s_waitcnt lgkmcnt(0)
	v_mul_f64 v[70:71], v[46:47], v[14:15]
	v_fma_f64 v[70:71], v[44:45], v[12:13], -v[70:71]
	v_mul_f64 v[44:45], v[44:45], v[14:15]
	v_fmac_f64_e32 v[44:45], v[46:47], v[12:13]
	v_add_f64 v[54:55], v[54:55], v[44:45]
	v_mul_f64 v[44:45], v[10:11], v[6:7]
	v_fma_f64 v[44:45], v[8:9], v[4:5], -v[44:45]
	v_mul_f64 v[6:7], v[8:9], v[6:7]
	v_fmac_f64_e32 v[50:51], v[46:47], v[4:5]
	v_fmac_f64_e32 v[6:7], v[10:11], v[4:5]
	v_add_f64 v[4:5], v[78:79], v[44:45]
	v_mul_f64 v[44:45], v[10:11], v[14:15]
	v_mul_f64 v[46:47], v[8:9], v[14:15]
	v_fma_f64 v[44:45], v[8:9], v[12:13], -v[44:45]
	v_fmac_f64_e32 v[46:47], v[10:11], v[12:13]
	ds_read_b128 v[8:11], v59 offset:224
	ds_read_b128 v[12:15], v1 offset:7168
	v_add_f64 v[52:53], v[52:53], v[70:71]
	v_add_f64 v[70:71], v[40:41], v[44:45]
	;; [unrolled: 1-line block ×3, first 2 shown]
	ds_read_b128 v[40:43], v1 offset:7424
	ds_read_b128 v[44:47], v59 offset:240
	v_add_f64 v[48:49], v[74:75], v[48:49]
	s_waitcnt lgkmcnt(2)
	v_mul_f64 v[74:75], v[10:11], v[14:15]
	v_add_f64 v[50:51], v[76:77], v[50:51]
	v_fma_f64 v[74:75], v[8:9], v[12:13], -v[74:75]
	v_mul_f64 v[76:77], v[8:9], v[14:15]
	v_fmac_f64_e32 v[76:77], v[10:11], v[12:13]
	v_add_f64 v[74:75], v[48:49], v[74:75]
	s_waitcnt lgkmcnt(1)
	v_mul_f64 v[48:49], v[10:11], v[42:43]
	v_add_f64 v[76:77], v[50:51], v[76:77]
	v_fma_f64 v[78:79], v[8:9], v[40:41], -v[48:49]
	ds_read_b128 v[48:51], v59 offset:8416
	v_mul_f64 v[8:9], v[8:9], v[42:43]
	v_fmac_f64_e32 v[8:9], v[10:11], v[40:41]
	v_add_f64 v[52:53], v[52:53], v[78:79]
	v_add_f64 v[54:55], v[54:55], v[8:9]
	ds_read_b128 v[8:11], v59 offset:8432
	s_waitcnt lgkmcnt(1)
	v_mul_f64 v[78:79], v[50:51], v[14:15]
	v_mul_f64 v[14:15], v[48:49], v[14:15]
	v_add_f64 v[6:7], v[80:81], v[6:7]
	v_fma_f64 v[78:79], v[48:49], v[12:13], -v[78:79]
	v_fmac_f64_e32 v[14:15], v[50:51], v[12:13]
	v_add_f64 v[78:79], v[4:5], v[78:79]
	v_add_f64 v[80:81], v[6:7], v[14:15]
	v_mul_f64 v[4:5], v[50:51], v[42:43]
	v_mul_f64 v[14:15], v[48:49], v[42:43]
	v_fma_f64 v[12:13], v[48:49], v[40:41], -v[4:5]
	v_fmac_f64_e32 v[14:15], v[50:51], v[40:41]
	ds_read_b128 v[4:7], v1 offset:7680
	v_add_f64 v[40:41], v[70:71], v[12:13]
	v_add_f64 v[42:43], v[72:73], v[14:15]
	ds_read_b128 v[12:15], v1 offset:7936
	s_addc_u32 s19, s19, 0
	s_waitcnt lgkmcnt(1)
	v_mul_f64 v[48:49], v[46:47], v[6:7]
	v_fma_f64 v[48:49], v[44:45], v[4:5], -v[48:49]
	v_mul_f64 v[50:51], v[44:45], v[6:7]
	s_waitcnt lgkmcnt(0)
	v_mul_f64 v[70:71], v[46:47], v[14:15]
	v_fma_f64 v[70:71], v[44:45], v[12:13], -v[70:71]
	v_mul_f64 v[44:45], v[44:45], v[14:15]
	v_fmac_f64_e32 v[44:45], v[46:47], v[12:13]
	v_add_f64 v[54:55], v[54:55], v[44:45]
	v_mul_f64 v[44:45], v[10:11], v[6:7]
	v_fma_f64 v[44:45], v[8:9], v[4:5], -v[44:45]
	v_mul_f64 v[6:7], v[8:9], v[6:7]
	v_fmac_f64_e32 v[50:51], v[46:47], v[4:5]
	v_fmac_f64_e32 v[6:7], v[10:11], v[4:5]
	v_add_f64 v[4:5], v[78:79], v[44:45]
	v_mul_f64 v[44:45], v[10:11], v[14:15]
	v_mul_f64 v[46:47], v[8:9], v[14:15]
	v_fma_f64 v[44:45], v[8:9], v[12:13], -v[44:45]
	v_fmac_f64_e32 v[46:47], v[10:11], v[12:13]
	ds_read_b128 v[8:11], v59 offset:256
	ds_read_b128 v[12:15], v1 offset:8192
	v_add_f64 v[52:53], v[52:53], v[70:71]
	v_add_f64 v[70:71], v[40:41], v[44:45]
	;; [unrolled: 1-line block ×3, first 2 shown]
	ds_read_b128 v[40:43], v1 offset:8448
	ds_read_b128 v[44:47], v59 offset:272
	v_add_f64 v[48:49], v[74:75], v[48:49]
	s_waitcnt lgkmcnt(2)
	v_mul_f64 v[74:75], v[10:11], v[14:15]
	v_add_f64 v[50:51], v[76:77], v[50:51]
	v_fma_f64 v[74:75], v[8:9], v[12:13], -v[74:75]
	v_mul_f64 v[76:77], v[8:9], v[14:15]
	v_fmac_f64_e32 v[76:77], v[10:11], v[12:13]
	v_add_f64 v[74:75], v[48:49], v[74:75]
	s_waitcnt lgkmcnt(1)
	v_mul_f64 v[48:49], v[10:11], v[42:43]
	v_add_f64 v[76:77], v[50:51], v[76:77]
	v_fma_f64 v[78:79], v[8:9], v[40:41], -v[48:49]
	ds_read_b128 v[48:51], v59 offset:8448
	v_mul_f64 v[8:9], v[8:9], v[42:43]
	v_fmac_f64_e32 v[8:9], v[10:11], v[40:41]
	v_add_f64 v[52:53], v[52:53], v[78:79]
	v_add_f64 v[54:55], v[54:55], v[8:9]
	ds_read_b128 v[8:11], v59 offset:8464
	s_waitcnt lgkmcnt(1)
	v_mul_f64 v[78:79], v[50:51], v[14:15]
	v_mul_f64 v[14:15], v[48:49], v[14:15]
	v_add_f64 v[6:7], v[80:81], v[6:7]
	v_fma_f64 v[78:79], v[48:49], v[12:13], -v[78:79]
	v_fmac_f64_e32 v[14:15], v[50:51], v[12:13]
	v_add_f64 v[78:79], v[4:5], v[78:79]
	v_add_f64 v[80:81], v[6:7], v[14:15]
	v_mul_f64 v[4:5], v[50:51], v[42:43]
	v_mul_f64 v[14:15], v[48:49], v[42:43]
	v_fma_f64 v[12:13], v[48:49], v[40:41], -v[4:5]
	v_fmac_f64_e32 v[14:15], v[50:51], v[40:41]
	ds_read_b128 v[4:7], v1 offset:8704
	v_add_f64 v[40:41], v[70:71], v[12:13]
	v_add_f64 v[42:43], v[72:73], v[14:15]
	ds_read_b128 v[12:15], v1 offset:8960
	s_cmp_ge_i32 s10, s53
	s_waitcnt lgkmcnt(1)
	v_mul_f64 v[48:49], v[46:47], v[6:7]
	v_fma_f64 v[48:49], v[44:45], v[4:5], -v[48:49]
	v_mul_f64 v[50:51], v[44:45], v[6:7]
	s_waitcnt lgkmcnt(0)
	v_mul_f64 v[70:71], v[46:47], v[14:15]
	v_fma_f64 v[70:71], v[44:45], v[12:13], -v[70:71]
	v_mul_f64 v[44:45], v[44:45], v[14:15]
	v_fmac_f64_e32 v[44:45], v[46:47], v[12:13]
	v_add_f64 v[54:55], v[54:55], v[44:45]
	v_mul_f64 v[44:45], v[10:11], v[6:7]
	v_fma_f64 v[44:45], v[8:9], v[4:5], -v[44:45]
	v_mul_f64 v[6:7], v[8:9], v[6:7]
	v_fmac_f64_e32 v[50:51], v[46:47], v[4:5]
	v_fmac_f64_e32 v[6:7], v[10:11], v[4:5]
	v_add_f64 v[4:5], v[78:79], v[44:45]
	v_mul_f64 v[44:45], v[10:11], v[14:15]
	v_mul_f64 v[46:47], v[8:9], v[14:15]
	v_fma_f64 v[44:45], v[8:9], v[12:13], -v[44:45]
	v_fmac_f64_e32 v[46:47], v[10:11], v[12:13]
	ds_read_b128 v[8:11], v59 offset:288
	ds_read_b128 v[12:15], v1 offset:9216
	v_add_f64 v[52:53], v[52:53], v[70:71]
	v_add_f64 v[70:71], v[40:41], v[44:45]
	v_add_f64 v[72:73], v[42:43], v[46:47]
	ds_read_b128 v[40:43], v1 offset:9472
	ds_read_b128 v[44:47], v59 offset:304
	v_add_f64 v[48:49], v[74:75], v[48:49]
	s_waitcnt lgkmcnt(2)
	v_mul_f64 v[74:75], v[10:11], v[14:15]
	v_add_f64 v[50:51], v[76:77], v[50:51]
	v_fma_f64 v[74:75], v[8:9], v[12:13], -v[74:75]
	v_mul_f64 v[76:77], v[8:9], v[14:15]
	v_fmac_f64_e32 v[76:77], v[10:11], v[12:13]
	v_add_f64 v[74:75], v[48:49], v[74:75]
	s_waitcnt lgkmcnt(1)
	v_mul_f64 v[48:49], v[10:11], v[42:43]
	v_add_f64 v[76:77], v[50:51], v[76:77]
	v_fma_f64 v[78:79], v[8:9], v[40:41], -v[48:49]
	ds_read_b128 v[48:51], v59 offset:8480
	v_mul_f64 v[8:9], v[8:9], v[42:43]
	v_fmac_f64_e32 v[8:9], v[10:11], v[40:41]
	v_add_f64 v[52:53], v[52:53], v[78:79]
	v_add_f64 v[54:55], v[54:55], v[8:9]
	ds_read_b128 v[8:11], v59 offset:8496
	s_waitcnt lgkmcnt(1)
	v_mul_f64 v[78:79], v[50:51], v[14:15]
	v_mul_f64 v[14:15], v[48:49], v[14:15]
	v_add_f64 v[6:7], v[80:81], v[6:7]
	v_fma_f64 v[78:79], v[48:49], v[12:13], -v[78:79]
	v_fmac_f64_e32 v[14:15], v[50:51], v[12:13]
	v_add_f64 v[78:79], v[4:5], v[78:79]
	v_add_f64 v[80:81], v[6:7], v[14:15]
	v_mul_f64 v[4:5], v[50:51], v[42:43]
	v_mul_f64 v[14:15], v[48:49], v[42:43]
	v_fma_f64 v[12:13], v[48:49], v[40:41], -v[4:5]
	v_fmac_f64_e32 v[14:15], v[50:51], v[40:41]
	ds_read_b128 v[4:7], v1 offset:9728
	v_add_f64 v[40:41], v[70:71], v[12:13]
	v_add_f64 v[42:43], v[72:73], v[14:15]
	ds_read_b128 v[12:15], v1 offset:9984
	s_waitcnt lgkmcnt(1)
	v_mul_f64 v[48:49], v[46:47], v[6:7]
	v_fma_f64 v[48:49], v[44:45], v[4:5], -v[48:49]
	v_mul_f64 v[50:51], v[44:45], v[6:7]
	s_waitcnt lgkmcnt(0)
	v_mul_f64 v[70:71], v[46:47], v[14:15]
	v_fma_f64 v[70:71], v[44:45], v[12:13], -v[70:71]
	v_mul_f64 v[44:45], v[44:45], v[14:15]
	v_fmac_f64_e32 v[44:45], v[46:47], v[12:13]
	v_add_f64 v[54:55], v[54:55], v[44:45]
	v_mul_f64 v[44:45], v[10:11], v[6:7]
	v_fma_f64 v[44:45], v[8:9], v[4:5], -v[44:45]
	v_mul_f64 v[6:7], v[8:9], v[6:7]
	v_fmac_f64_e32 v[50:51], v[46:47], v[4:5]
	v_fmac_f64_e32 v[6:7], v[10:11], v[4:5]
	v_add_f64 v[4:5], v[78:79], v[44:45]
	v_mul_f64 v[44:45], v[10:11], v[14:15]
	v_mul_f64 v[46:47], v[8:9], v[14:15]
	v_fma_f64 v[44:45], v[8:9], v[12:13], -v[44:45]
	v_fmac_f64_e32 v[46:47], v[10:11], v[12:13]
	ds_read_b128 v[8:11], v59 offset:320
	ds_read_b128 v[12:15], v1 offset:10240
	v_add_f64 v[52:53], v[52:53], v[70:71]
	v_add_f64 v[70:71], v[40:41], v[44:45]
	v_add_f64 v[72:73], v[42:43], v[46:47]
	ds_read_b128 v[40:43], v1 offset:10496
	ds_read_b128 v[44:47], v59 offset:336
	v_add_f64 v[48:49], v[74:75], v[48:49]
	s_waitcnt lgkmcnt(2)
	v_mul_f64 v[74:75], v[10:11], v[14:15]
	v_add_f64 v[50:51], v[76:77], v[50:51]
	v_fma_f64 v[74:75], v[8:9], v[12:13], -v[74:75]
	v_mul_f64 v[76:77], v[8:9], v[14:15]
	v_fmac_f64_e32 v[76:77], v[10:11], v[12:13]
	v_add_f64 v[74:75], v[48:49], v[74:75]
	s_waitcnt lgkmcnt(1)
	v_mul_f64 v[48:49], v[10:11], v[42:43]
	v_add_f64 v[76:77], v[50:51], v[76:77]
	v_fma_f64 v[78:79], v[8:9], v[40:41], -v[48:49]
	ds_read_b128 v[48:51], v59 offset:8512
	v_mul_f64 v[8:9], v[8:9], v[42:43]
	v_fmac_f64_e32 v[8:9], v[10:11], v[40:41]
	v_add_f64 v[52:53], v[52:53], v[78:79]
	v_add_f64 v[54:55], v[54:55], v[8:9]
	ds_read_b128 v[8:11], v59 offset:8528
	s_waitcnt lgkmcnt(1)
	v_mul_f64 v[78:79], v[50:51], v[14:15]
	v_mul_f64 v[14:15], v[48:49], v[14:15]
	v_add_f64 v[6:7], v[80:81], v[6:7]
	v_fma_f64 v[78:79], v[48:49], v[12:13], -v[78:79]
	v_fmac_f64_e32 v[14:15], v[50:51], v[12:13]
	v_add_f64 v[78:79], v[4:5], v[78:79]
	v_add_f64 v[80:81], v[6:7], v[14:15]
	v_mul_f64 v[4:5], v[50:51], v[42:43]
	v_mul_f64 v[14:15], v[48:49], v[42:43]
	v_fma_f64 v[12:13], v[48:49], v[40:41], -v[4:5]
	v_fmac_f64_e32 v[14:15], v[50:51], v[40:41]
	ds_read_b128 v[4:7], v1 offset:10752
	v_add_f64 v[40:41], v[70:71], v[12:13]
	v_add_f64 v[42:43], v[72:73], v[14:15]
	ds_read_b128 v[12:15], v1 offset:11008
	;; [unrolled: 61-line block ×6, first 2 shown]
	s_waitcnt lgkmcnt(1)
	v_mul_f64 v[48:49], v[46:47], v[6:7]
	v_fma_f64 v[48:49], v[44:45], v[4:5], -v[48:49]
	v_mul_f64 v[50:51], v[44:45], v[6:7]
	s_waitcnt lgkmcnt(0)
	v_mul_f64 v[70:71], v[46:47], v[14:15]
	v_fma_f64 v[70:71], v[44:45], v[12:13], -v[70:71]
	v_mul_f64 v[44:45], v[44:45], v[14:15]
	v_fmac_f64_e32 v[44:45], v[46:47], v[12:13]
	v_add_f64 v[54:55], v[54:55], v[44:45]
	v_mul_f64 v[44:45], v[10:11], v[6:7]
	v_fma_f64 v[44:45], v[8:9], v[4:5], -v[44:45]
	v_mul_f64 v[6:7], v[8:9], v[6:7]
	v_fmac_f64_e32 v[50:51], v[46:47], v[4:5]
	v_fmac_f64_e32 v[6:7], v[10:11], v[4:5]
	v_add_f64 v[4:5], v[78:79], v[44:45]
	v_mul_f64 v[44:45], v[10:11], v[14:15]
	v_mul_f64 v[46:47], v[8:9], v[14:15]
	v_fma_f64 v[44:45], v[8:9], v[12:13], -v[44:45]
	v_fmac_f64_e32 v[46:47], v[10:11], v[12:13]
	ds_read_b128 v[8:11], v59 offset:480
	ds_read_b128 v[12:15], v1 offset:15360
	v_add_f64 v[52:53], v[52:53], v[70:71]
	v_add_f64 v[70:71], v[40:41], v[44:45]
	;; [unrolled: 1-line block ×3, first 2 shown]
	ds_read_b128 v[40:43], v1 offset:15616
	ds_read_b128 v[44:47], v59 offset:496
	v_add_f64 v[48:49], v[74:75], v[48:49]
	s_waitcnt lgkmcnt(2)
	v_mul_f64 v[74:75], v[10:11], v[14:15]
	v_add_f64 v[50:51], v[76:77], v[50:51]
	v_fma_f64 v[74:75], v[8:9], v[12:13], -v[74:75]
	v_mul_f64 v[76:77], v[8:9], v[14:15]
	v_fmac_f64_e32 v[76:77], v[10:11], v[12:13]
	v_add_f64 v[74:75], v[48:49], v[74:75]
	s_waitcnt lgkmcnt(1)
	v_mul_f64 v[48:49], v[10:11], v[42:43]
	v_add_f64 v[76:77], v[50:51], v[76:77]
	v_fma_f64 v[78:79], v[8:9], v[40:41], -v[48:49]
	ds_read_b128 v[48:51], v59 offset:8672
	v_mul_f64 v[8:9], v[8:9], v[42:43]
	v_fmac_f64_e32 v[8:9], v[10:11], v[40:41]
	v_add_f64 v[6:7], v[80:81], v[6:7]
	v_add_f64 v[78:79], v[52:53], v[78:79]
	;; [unrolled: 1-line block ×3, first 2 shown]
	ds_read_b128 v[8:11], v59 offset:8688
	s_waitcnt lgkmcnt(1)
	v_mul_f64 v[52:53], v[50:51], v[14:15]
	v_fma_f64 v[52:53], v[48:49], v[12:13], -v[52:53]
	v_mul_f64 v[14:15], v[48:49], v[14:15]
	v_fmac_f64_e32 v[14:15], v[50:51], v[12:13]
	v_add_f64 v[82:83], v[4:5], v[52:53]
	v_mul_f64 v[4:5], v[50:51], v[42:43]
	v_add_f64 v[84:85], v[6:7], v[14:15]
	v_fma_f64 v[12:13], v[48:49], v[40:41], -v[4:5]
	v_mul_f64 v[14:15], v[48:49], v[42:43]
	ds_read_b128 v[4:7], v1 offset:15872
	v_fmac_f64_e32 v[14:15], v[50:51], v[40:41]
	v_add_f64 v[40:41], v[70:71], v[12:13]
	v_add_f64 v[70:71], v[72:73], v[14:15]
	ds_read_b128 v[12:15], v1 offset:16128
	s_waitcnt lgkmcnt(1)
	v_mul_f64 v[42:43], v[46:47], v[6:7]
	v_fma_f64 v[42:43], v[44:45], v[4:5], -v[42:43]
	v_mul_f64 v[48:49], v[44:45], v[6:7]
	v_add_f64 v[52:53], v[74:75], v[42:43]
	s_waitcnt lgkmcnt(0)
	v_mul_f64 v[42:43], v[46:47], v[14:15]
	v_fmac_f64_e32 v[48:49], v[46:47], v[4:5]
	v_fma_f64 v[42:43], v[44:45], v[12:13], -v[42:43]
	v_add_f64 v[54:55], v[76:77], v[48:49]
	v_add_f64 v[48:49], v[78:79], v[42:43]
	v_mul_f64 v[42:43], v[10:11], v[6:7]
	v_mul_f64 v[6:7], v[8:9], v[6:7]
	;; [unrolled: 1-line block ×3, first 2 shown]
	v_fmac_f64_e32 v[6:7], v[10:11], v[4:5]
	v_fmac_f64_e32 v[44:45], v[46:47], v[12:13]
	v_fma_f64 v[42:43], v[8:9], v[4:5], -v[42:43]
	v_add_f64 v[46:47], v[84:85], v[6:7]
	v_mul_f64 v[4:5], v[10:11], v[14:15]
	v_mul_f64 v[6:7], v[8:9], v[14:15]
	v_fma_f64 v[4:5], v[8:9], v[12:13], -v[4:5]
	v_fmac_f64_e32 v[6:7], v[10:11], v[12:13]
	v_add_f64 v[50:51], v[80:81], v[44:45]
	v_add_f64 v[44:45], v[82:83], v[42:43]
	;; [unrolled: 1-line block ×4, first 2 shown]
	s_barrier
	s_cbranch_scc1 .LBB115_55
.LBB115_7:                              ;   Parent Loop BB115_4 Depth=1
                                        ; =>  This Inner Loop Header: Depth=2
	v_mov_b32_e32 v4, s21
	v_add_co_u32_e64 v8, s[10:11], s20, v16
	v_addc_co_u32_e64 v9, s[10:11], 0, v4, s[10:11]
	v_mov_b32_e32 v4, s19
	v_add_co_u32_e64 v6, s[10:11], s18, v64
	v_addc_co_u32_e64 v7, s[10:11], v65, v4, s[10:11]
	v_cmp_eq_u64_e64 s[10:11], s[20:21], v[24:25]
	v_cmp_le_i64_e64 s[12:13], s[38:39], v[8:9]
	s_and_b64 s[26:27], s[36:37], s[10:11]
	v_cmp_gt_i64_e64 s[10:11], v[8:9], v[18:19]
	s_or_b64 s[16:17], s[12:13], s[10:11]
	s_or_b64 s[16:17], s[16:17], s[26:27]
	;; [unrolled: 1-line block ×3, first 2 shown]
	s_xor_b64 s[16:17], s[16:17], -1
	s_and_saveexec_b64 s[22:23], s[16:17]
	s_xor_b64 s[16:17], exec, s[22:23]
	s_cbranch_execz .LBB115_9
; %bb.8:                                ;   in Loop: Header=BB115_7 Depth=2
	global_load_dwordx4 v[10:13], v[6:7], off offset:-256
	s_waitcnt vmcnt(0)
	ds_write2_b64 v17, v[10:11], v[12:13] offset1:1
.LBB115_9:                              ;   in Loop: Header=BB115_7 Depth=2
	s_or_saveexec_b64 s[16:17], s[16:17]
	s_xor_b64 s[22:23], s[26:27], -1
	s_xor_b64 exec, exec, s[16:17]
	s_cbranch_execz .LBB115_15
; %bb.10:                               ;   in Loop: Header=BB115_7 Depth=2
	s_and_saveexec_b64 s[30:31], s[22:23]
	s_xor_b64 s[30:31], exec, s[30:31]
	s_cbranch_execz .LBB115_12
; %bb.11:                               ;   in Loop: Header=BB115_7 Depth=2
	v_mov_b32_e32 v10, v2
	v_mov_b32_e32 v11, v2
	;; [unrolled: 1-line block ×4, first 2 shown]
	ds_write_b128 v17, v[10:13]
.LBB115_12:                             ;   in Loop: Header=BB115_7 Depth=2
	s_andn2_saveexec_b64 s[30:31], s[30:31]
	s_cbranch_execz .LBB115_14
; %bb.13:                               ;   in Loop: Header=BB115_7 Depth=2
	v_mov_b32_e32 v4, v2
	v_mov_b32_e32 v5, v2
	ds_write_b128 v17, v[2:5]
.LBB115_14:                             ;   in Loop: Header=BB115_7 Depth=2
	s_or_b64 exec, exec, s[30:31]
.LBB115_15:                             ;   in Loop: Header=BB115_7 Depth=2
	s_or_b64 exec, exec, s[16:17]
	v_cmp_eq_u64_e64 s[16:17], s[20:21], v[26:27]
	s_and_b64 s[30:31], s[36:37], s[16:17]
	v_cmp_lt_i64_e64 s[16:17], v[20:21], v[8:9]
	s_or_b64 s[12:13], s[12:13], s[16:17]
	s_or_b64 s[12:13], s[12:13], s[30:31]
	s_or_b64 s[12:13], s[2:3], s[12:13]
	s_xor_b64 s[12:13], s[12:13], -1
	s_and_saveexec_b64 s[16:17], s[12:13]
	s_xor_b64 s[16:17], exec, s[16:17]
	s_cbranch_execz .LBB115_17
; %bb.16:                               ;   in Loop: Header=BB115_7 Depth=2
	v_mov_b32_e32 v5, s19
	v_add_co_u32_e64 v4, s[12:13], s18, v66
	v_addc_co_u32_e64 v5, s[12:13], v67, v5, s[12:13]
	global_load_dwordx4 v[10:13], v[4:5], off
	s_waitcnt vmcnt(0)
	ds_write2_b64 v56, v[10:11], v[12:13] offset1:1
.LBB115_17:                             ;   in Loop: Header=BB115_7 Depth=2
	s_andn2_saveexec_b64 s[12:13], s[16:17]
	s_cbranch_execz .LBB115_23
; %bb.18:                               ;   in Loop: Header=BB115_7 Depth=2
	s_xor_b64 s[16:17], s[30:31], -1
	s_and_saveexec_b64 s[30:31], s[16:17]
	s_xor_b64 s[16:17], exec, s[30:31]
	s_cbranch_execz .LBB115_20
; %bb.19:                               ;   in Loop: Header=BB115_7 Depth=2
	v_mov_b32_e32 v10, v2
	v_mov_b32_e32 v11, v2
	;; [unrolled: 1-line block ×4, first 2 shown]
	ds_write_b128 v56, v[10:13]
.LBB115_20:                             ;   in Loop: Header=BB115_7 Depth=2
	s_andn2_saveexec_b64 s[16:17], s[16:17]
	s_cbranch_execz .LBB115_22
; %bb.21:                               ;   in Loop: Header=BB115_7 Depth=2
	v_mov_b32_e32 v4, v2
	v_mov_b32_e32 v5, v2
	ds_write_b128 v56, v[2:5]
.LBB115_22:                             ;   in Loop: Header=BB115_7 Depth=2
	s_or_b64 exec, exec, s[16:17]
.LBB115_23:                             ;   in Loop: Header=BB115_7 Depth=2
	s_or_b64 exec, exec, s[12:13]
	v_add_co_u32_e64 v4, s[12:13], 16, v8
	v_addc_co_u32_e64 v5, s[12:13], 0, v9, s[12:13]
	v_cmp_eq_u64_e64 s[16:17], s[20:21], v[28:29]
	v_cmp_le_i64_e64 s[12:13], s[38:39], v[4:5]
	s_and_b64 s[30:31], s[36:37], s[16:17]
	v_cmp_gt_i64_e64 s[16:17], v[4:5], v[18:19]
	s_or_b64 s[16:17], s[12:13], s[16:17]
	s_or_b64 s[16:17], s[16:17], s[30:31]
	;; [unrolled: 1-line block ×3, first 2 shown]
	s_xor_b64 s[16:17], s[16:17], -1
	s_and_saveexec_b64 s[54:55], s[16:17]
	s_xor_b64 s[16:17], exec, s[54:55]
	s_cbranch_execz .LBB115_25
; %bb.24:                               ;   in Loop: Header=BB115_7 Depth=2
	global_load_dwordx4 v[4:7], v[6:7], off
	s_waitcnt vmcnt(0)
	ds_write2_b64 v57, v[4:5], v[6:7] offset1:1
.LBB115_25:                             ;   in Loop: Header=BB115_7 Depth=2
	s_andn2_saveexec_b64 s[16:17], s[16:17]
	s_cbranch_execz .LBB115_31
; %bb.26:                               ;   in Loop: Header=BB115_7 Depth=2
	s_xor_b64 s[30:31], s[30:31], -1
	s_and_saveexec_b64 s[54:55], s[30:31]
	s_xor_b64 s[30:31], exec, s[54:55]
	s_cbranch_execz .LBB115_28
; %bb.27:                               ;   in Loop: Header=BB115_7 Depth=2
	v_mov_b32_e32 v4, v2
	v_mov_b32_e32 v5, v2
	;; [unrolled: 1-line block ×4, first 2 shown]
	ds_write_b128 v57, v[4:7]
.LBB115_28:                             ;   in Loop: Header=BB115_7 Depth=2
	s_andn2_saveexec_b64 s[30:31], s[30:31]
	s_cbranch_execz .LBB115_30
; %bb.29:                               ;   in Loop: Header=BB115_7 Depth=2
	v_mov_b32_e32 v4, v2
	v_mov_b32_e32 v5, v2
	ds_write_b128 v57, v[2:5]
.LBB115_30:                             ;   in Loop: Header=BB115_7 Depth=2
	s_or_b64 exec, exec, s[30:31]
.LBB115_31:                             ;   in Loop: Header=BB115_7 Depth=2
	s_or_b64 exec, exec, s[16:17]
	s_or_b64 s[10:11], s[12:13], s[10:11]
	s_or_b64 s[10:11], s[10:11], s[26:27]
	s_or_b64 s[10:11], s[2:3], s[10:11]
	s_xor_b64 s[10:11], s[10:11], -1
	s_and_saveexec_b64 s[12:13], s[10:11]
	s_xor_b64 s[12:13], exec, s[12:13]
	s_cbranch_execz .LBB115_33
; %bb.32:                               ;   in Loop: Header=BB115_7 Depth=2
	v_mov_b32_e32 v5, s19
	v_add_co_u32_e64 v4, s[10:11], s18, v66
	v_addc_co_u32_e64 v5, s[10:11], v67, v5, s[10:11]
	global_load_dwordx4 v[4:7], v[4:5], off offset:256
	s_waitcnt vmcnt(0)
	ds_write2_b64 v58, v[4:5], v[6:7] offset1:1
.LBB115_33:                             ;   in Loop: Header=BB115_7 Depth=2
	s_andn2_saveexec_b64 s[10:11], s[12:13]
	s_cbranch_execz .LBB115_39
; %bb.34:                               ;   in Loop: Header=BB115_7 Depth=2
	s_and_saveexec_b64 s[12:13], s[22:23]
	s_xor_b64 s[12:13], exec, s[12:13]
	s_cbranch_execz .LBB115_36
; %bb.35:                               ;   in Loop: Header=BB115_7 Depth=2
	v_mov_b32_e32 v4, v2
	v_mov_b32_e32 v5, v2
	;; [unrolled: 1-line block ×4, first 2 shown]
	ds_write_b128 v58, v[4:7]
.LBB115_36:                             ;   in Loop: Header=BB115_7 Depth=2
	s_andn2_saveexec_b64 s[12:13], s[12:13]
	s_cbranch_execz .LBB115_38
; %bb.37:                               ;   in Loop: Header=BB115_7 Depth=2
	v_mov_b32_e32 v4, v2
	v_mov_b32_e32 v5, v2
	ds_write_b128 v58, v[2:5]
.LBB115_38:                             ;   in Loop: Header=BB115_7 Depth=2
	s_or_b64 exec, exec, s[12:13]
.LBB115_39:                             ;   in Loop: Header=BB115_7 Depth=2
	s_or_b64 exec, exec, s[10:11]
	v_mov_b32_e32 v5, s21
	v_add_co_u32_e64 v4, s[10:11], s20, v0
	v_addc_co_u32_e64 v5, s[10:11], 0, v5, s[10:11]
	v_cmp_gt_i64_e64 s[10:11], s[38:39], v[4:5]
	s_and_b64 s[12:13], vcc, s[10:11]
	s_xor_b64 s[12:13], s[12:13], -1
	s_and_saveexec_b64 s[16:17], s[12:13]
	s_xor_b64 s[12:13], exec, s[16:17]
	s_cbranch_execz .LBB115_41
; %bb.40:                               ;   in Loop: Header=BB115_7 Depth=2
	v_mov_b32_e32 v6, v2
	v_mov_b32_e32 v7, v2
	v_mov_b32_e32 v8, v2
	v_mov_b32_e32 v9, v2
	ds_write_b128 v60, v[6:9]
.LBB115_41:                             ;   in Loop: Header=BB115_7 Depth=2
	s_or_saveexec_b64 s[16:17], s[12:13]
	v_mov_b32_e32 v7, s19
	v_add_co_u32_e64 v6, s[12:13], s18, v36
	v_addc_co_u32_e64 v7, s[12:13], v37, v7, s[12:13]
	s_xor_b64 exec, exec, s[16:17]
	s_cbranch_execz .LBB115_43
; %bb.42:                               ;   in Loop: Header=BB115_7 Depth=2
	global_load_dwordx4 v[8:11], v[6:7], off offset:-256
	s_waitcnt vmcnt(0)
	ds_write2_b64 v60, v[8:9], v[10:11] offset1:1
.LBB115_43:                             ;   in Loop: Header=BB115_7 Depth=2
	s_or_b64 exec, exec, s[16:17]
	v_cmp_gt_i64_e64 s[12:13], s[42:43], v[4:5]
	s_and_b64 s[16:17], vcc, s[12:13]
	s_xor_b64 s[16:17], s[16:17], -1
	s_and_saveexec_b64 s[22:23], s[16:17]
	s_xor_b64 s[16:17], exec, s[22:23]
	s_cbranch_execz .LBB115_45
; %bb.44:                               ;   in Loop: Header=BB115_7 Depth=2
	v_mov_b32_e32 v4, v2
	v_mov_b32_e32 v5, v2
	;; [unrolled: 1-line block ×4, first 2 shown]
	ds_write_b128 v61, v[4:7]
                                        ; implicit-def: $vgpr6_vgpr7
.LBB115_45:                             ;   in Loop: Header=BB115_7 Depth=2
	s_andn2_saveexec_b64 s[16:17], s[16:17]
	s_cbranch_execz .LBB115_47
; %bb.46:                               ;   in Loop: Header=BB115_7 Depth=2
	global_load_dwordx4 v[4:7], v[6:7], off
	s_waitcnt vmcnt(0)
	ds_write2_b64 v61, v[4:5], v[6:7] offset1:1
.LBB115_47:                             ;   in Loop: Header=BB115_7 Depth=2
	s_or_b64 exec, exec, s[16:17]
	s_and_b64 s[10:11], s[8:9], s[10:11]
	s_xor_b64 s[10:11], s[10:11], -1
	s_and_saveexec_b64 s[16:17], s[10:11]
	s_xor_b64 s[10:11], exec, s[16:17]
	s_cbranch_execz .LBB115_49
; %bb.48:                               ;   in Loop: Header=BB115_7 Depth=2
	v_mov_b32_e32 v4, v2
	v_mov_b32_e32 v5, v2
	;; [unrolled: 1-line block ×4, first 2 shown]
	ds_write_b128 v62, v[4:7]
.LBB115_49:                             ;   in Loop: Header=BB115_7 Depth=2
	s_andn2_saveexec_b64 s[16:17], s[10:11]
	s_cbranch_execz .LBB115_51
; %bb.50:                               ;   in Loop: Header=BB115_7 Depth=2
	v_mov_b32_e32 v5, s19
	v_add_co_u32_e64 v4, s[10:11], s18, v38
	v_addc_co_u32_e64 v5, s[10:11], v39, v5, s[10:11]
	global_load_dwordx4 v[4:7], v[4:5], off offset:-256
	s_waitcnt vmcnt(0)
	ds_write2_b64 v62, v[4:5], v[6:7] offset1:1
.LBB115_51:                             ;   in Loop: Header=BB115_7 Depth=2
	s_or_b64 exec, exec, s[16:17]
	s_and_b64 s[10:11], s[8:9], s[12:13]
	s_xor_b64 s[10:11], s[10:11], -1
	s_and_saveexec_b64 s[12:13], s[10:11]
	s_xor_b64 s[10:11], exec, s[12:13]
	s_cbranch_execz .LBB115_53
; %bb.52:                               ;   in Loop: Header=BB115_7 Depth=2
	v_mov_b32_e32 v4, v2
	v_mov_b32_e32 v5, v2
	;; [unrolled: 1-line block ×4, first 2 shown]
	ds_write_b128 v63, v[4:7]
.LBB115_53:                             ;   in Loop: Header=BB115_7 Depth=2
	s_andn2_saveexec_b64 s[12:13], s[10:11]
	s_cbranch_execz .LBB115_6
; %bb.54:                               ;   in Loop: Header=BB115_7 Depth=2
	v_mov_b32_e32 v5, s19
	v_add_co_u32_e64 v4, s[10:11], s18, v38
	v_addc_co_u32_e64 v5, s[10:11], v39, v5, s[10:11]
	global_load_dwordx4 v[4:7], v[4:5], off
	s_waitcnt vmcnt(0)
	ds_write2_b64 v63, v[4:5], v[6:7] offset1:1
	s_branch .LBB115_6
.LBB115_55:                             ;   in Loop: Header=BB115_4 Depth=1
	v_mul_lo_u32 v6, v69, s40
	v_mul_lo_u32 v7, v68, s41
	v_mad_u64_u32 v[4:5], s[8:9], v68, s40, 0
	v_add3_u32 v5, v5, v7, v6
	v_lshlrev_b64 v[4:5], 4, v[4:5]
	v_mov_b32_e32 v6, s52
	v_add_co_u32_e64 v4, s[8:9], s51, v4
	v_cmp_gt_i32_e32 vcc, s50, v68
	v_addc_co_u32_e64 v5, s[8:9], v6, v5, s[8:9]
	s_and_b64 s[8:9], s[4:5], vcc
	s_and_saveexec_b64 s[10:11], s[8:9]
	s_cbranch_execz .LBB115_57
; %bb.56:                               ;   in Loop: Header=BB115_4 Depth=1
	v_add_co_u32_e64 v10, s[8:9], v4, v34
	v_addc_co_u32_e64 v11, s[8:9], v5, v35, s[8:9]
	global_load_dwordx4 v[6:9], v[10:11], off
	v_mul_f64 v[12:13], s[46:47], v[54:55]
	v_mul_f64 v[14:15], s[44:45], v[54:55]
	v_fma_f64 v[12:13], s[44:45], v[52:53], -v[12:13]
	v_fmac_f64_e32 v[14:15], s[46:47], v[52:53]
	s_waitcnt vmcnt(0)
	v_add_f64 v[6:7], v[6:7], v[12:13]
	v_add_f64 v[8:9], v[8:9], v[14:15]
	global_store_dwordx4 v[10:11], v[6:9], off
.LBB115_57:                             ;   in Loop: Header=BB115_4 Depth=1
	s_or_b64 exec, exec, s[10:11]
	s_and_b64 s[10:11], s[14:15], vcc
	s_and_saveexec_b64 s[8:9], s[10:11]
	s_cbranch_execz .LBB115_59
; %bb.58:                               ;   in Loop: Header=BB115_4 Depth=1
	v_lshlrev_b64 v[6:7], 4, v[22:23]
	v_add_co_u32_e32 v8, vcc, v4, v6
	v_addc_co_u32_e32 v9, vcc, v5, v7, vcc
	global_load_dwordx4 v[4:7], v[8:9], off
	v_mul_f64 v[10:11], s[46:47], v[50:51]
	v_mul_f64 v[12:13], s[44:45], v[50:51]
	v_fma_f64 v[10:11], s[44:45], v[48:49], -v[10:11]
	v_fmac_f64_e32 v[12:13], s[46:47], v[48:49]
	s_waitcnt vmcnt(0)
	v_add_f64 v[4:5], v[4:5], v[10:11]
	v_add_f64 v[6:7], v[6:7], v[12:13]
	global_store_dwordx4 v[8:9], v[4:7], off
.LBB115_59:                             ;   in Loop: Header=BB115_4 Depth=1
	s_or_b64 exec, exec, s[8:9]
	v_add_u32_e32 v4, 16, v68
	v_ashrrev_i32_e32 v5, 31, v4
	v_cmp_gt_i32_e32 vcc, s50, v4
	v_mul_lo_u32 v6, v5, s40
	v_mul_lo_u32 v7, v4, s41
	v_mad_u64_u32 v[4:5], s[8:9], v4, s40, 0
	v_add3_u32 v5, v5, v7, v6
	v_lshlrev_b64 v[4:5], 4, v[4:5]
	v_mov_b32_e32 v6, s52
	v_add_co_u32_e64 v4, s[8:9], s51, v4
	v_addc_co_u32_e64 v5, s[8:9], v6, v5, s[8:9]
	s_and_b64 s[8:9], s[4:5], vcc
	s_and_saveexec_b64 s[10:11], s[8:9]
	s_cbranch_execz .LBB115_61
; %bb.60:                               ;   in Loop: Header=BB115_4 Depth=1
	v_add_co_u32_e64 v10, s[8:9], v4, v34
	v_addc_co_u32_e64 v11, s[8:9], v5, v35, s[8:9]
	global_load_dwordx4 v[6:9], v[10:11], off
	v_mul_f64 v[12:13], s[46:47], v[46:47]
	v_mul_f64 v[14:15], s[44:45], v[46:47]
	v_fma_f64 v[12:13], s[44:45], v[44:45], -v[12:13]
	v_fmac_f64_e32 v[14:15], s[46:47], v[44:45]
	s_waitcnt vmcnt(0)
	v_add_f64 v[6:7], v[6:7], v[12:13]
	v_add_f64 v[8:9], v[8:9], v[14:15]
	global_store_dwordx4 v[10:11], v[6:9], off
.LBB115_61:                             ;   in Loop: Header=BB115_4 Depth=1
	s_or_b64 exec, exec, s[10:11]
	s_and_b64 s[10:11], s[14:15], vcc
	s_and_saveexec_b64 s[8:9], s[10:11]
	s_cbranch_execz .LBB115_3
; %bb.62:                               ;   in Loop: Header=BB115_4 Depth=1
	v_lshlrev_b64 v[6:7], 4, v[22:23]
	v_add_co_u32_e32 v8, vcc, v4, v6
	v_addc_co_u32_e32 v9, vcc, v5, v7, vcc
	global_load_dwordx4 v[4:7], v[8:9], off
	v_mul_f64 v[10:11], s[46:47], v[40:41]
	v_mul_f64 v[12:13], s[44:45], v[40:41]
	v_fma_f64 v[10:11], s[44:45], v[42:43], -v[10:11]
	v_fmac_f64_e32 v[12:13], s[46:47], v[42:43]
	s_waitcnt vmcnt(0)
	v_add_f64 v[4:5], v[4:5], v[10:11]
	v_add_f64 v[6:7], v[6:7], v[12:13]
	global_store_dwordx4 v[8:9], v[4:7], off
	s_branch .LBB115_3
.LBB115_63:
	s_endpgm
	.section	.rodata,"a",@progbits
	.p2align	6, 0x0
	.amdhsa_kernel _ZL30rocblas_trmm_outofplace_kernelI19rocblas_complex_numIdELi32ELi2ELb1ELb1ELb1ELb0ES1_KS1_S1_Ev17rocblas_diagonal_iiT6_lPT7_lllS6_lllPT8_llli
		.amdhsa_group_segment_fixed_size 32768
		.amdhsa_private_segment_fixed_size 0
		.amdhsa_kernarg_size 400
		.amdhsa_user_sgpr_count 6
		.amdhsa_user_sgpr_private_segment_buffer 1
		.amdhsa_user_sgpr_dispatch_ptr 0
		.amdhsa_user_sgpr_queue_ptr 0
		.amdhsa_user_sgpr_kernarg_segment_ptr 1
		.amdhsa_user_sgpr_dispatch_id 0
		.amdhsa_user_sgpr_flat_scratch_init 0
		.amdhsa_user_sgpr_kernarg_preload_length 0
		.amdhsa_user_sgpr_kernarg_preload_offset 0
		.amdhsa_user_sgpr_private_segment_size 0
		.amdhsa_uses_dynamic_stack 0
		.amdhsa_system_sgpr_private_segment_wavefront_offset 0
		.amdhsa_system_sgpr_workgroup_id_x 1
		.amdhsa_system_sgpr_workgroup_id_y 1
		.amdhsa_system_sgpr_workgroup_id_z 1
		.amdhsa_system_sgpr_workgroup_info 0
		.amdhsa_system_vgpr_workitem_id 1
		.amdhsa_next_free_vgpr 88
		.amdhsa_next_free_sgpr 56
		.amdhsa_accum_offset 88
		.amdhsa_reserve_vcc 1
		.amdhsa_reserve_flat_scratch 0
		.amdhsa_float_round_mode_32 0
		.amdhsa_float_round_mode_16_64 0
		.amdhsa_float_denorm_mode_32 3
		.amdhsa_float_denorm_mode_16_64 3
		.amdhsa_dx10_clamp 1
		.amdhsa_ieee_mode 1
		.amdhsa_fp16_overflow 0
		.amdhsa_tg_split 0
		.amdhsa_exception_fp_ieee_invalid_op 0
		.amdhsa_exception_fp_denorm_src 0
		.amdhsa_exception_fp_ieee_div_zero 0
		.amdhsa_exception_fp_ieee_overflow 0
		.amdhsa_exception_fp_ieee_underflow 0
		.amdhsa_exception_fp_ieee_inexact 0
		.amdhsa_exception_int_div_zero 0
	.end_amdhsa_kernel
	.section	.text._ZL30rocblas_trmm_outofplace_kernelI19rocblas_complex_numIdELi32ELi2ELb1ELb1ELb1ELb0ES1_KS1_S1_Ev17rocblas_diagonal_iiT6_lPT7_lllS6_lllPT8_llli,"axG",@progbits,_ZL30rocblas_trmm_outofplace_kernelI19rocblas_complex_numIdELi32ELi2ELb1ELb1ELb1ELb0ES1_KS1_S1_Ev17rocblas_diagonal_iiT6_lPT7_lllS6_lllPT8_llli,comdat
.Lfunc_end115:
	.size	_ZL30rocblas_trmm_outofplace_kernelI19rocblas_complex_numIdELi32ELi2ELb1ELb1ELb1ELb0ES1_KS1_S1_Ev17rocblas_diagonal_iiT6_lPT7_lllS6_lllPT8_llli, .Lfunc_end115-_ZL30rocblas_trmm_outofplace_kernelI19rocblas_complex_numIdELi32ELi2ELb1ELb1ELb1ELb0ES1_KS1_S1_Ev17rocblas_diagonal_iiT6_lPT7_lllS6_lllPT8_llli
                                        ; -- End function
	.section	.AMDGPU.csdata,"",@progbits
; Kernel info:
; codeLenInByte = 9576
; NumSgprs: 60
; NumVgprs: 88
; NumAgprs: 0
; TotalNumVgprs: 88
; ScratchSize: 0
; MemoryBound: 0
; FloatMode: 240
; IeeeMode: 1
; LDSByteSize: 32768 bytes/workgroup (compile time only)
; SGPRBlocks: 7
; VGPRBlocks: 10
; NumSGPRsForWavesPerEU: 60
; NumVGPRsForWavesPerEU: 88
; AccumOffset: 88
; Occupancy: 5
; WaveLimiterHint : 0
; COMPUTE_PGM_RSRC2:SCRATCH_EN: 0
; COMPUTE_PGM_RSRC2:USER_SGPR: 6
; COMPUTE_PGM_RSRC2:TRAP_HANDLER: 0
; COMPUTE_PGM_RSRC2:TGID_X_EN: 1
; COMPUTE_PGM_RSRC2:TGID_Y_EN: 1
; COMPUTE_PGM_RSRC2:TGID_Z_EN: 1
; COMPUTE_PGM_RSRC2:TIDIG_COMP_CNT: 1
; COMPUTE_PGM_RSRC3_GFX90A:ACCUM_OFFSET: 21
; COMPUTE_PGM_RSRC3_GFX90A:TG_SPLIT: 0
	.section	.text._ZL30rocblas_trmm_outofplace_kernelI19rocblas_complex_numIdELi32ELi2ELb1ELb0ELb1ELb1EPKS1_S2_S1_Ev17rocblas_diagonal_iiT6_lPT7_lllS7_lllPT8_llli,"axG",@progbits,_ZL30rocblas_trmm_outofplace_kernelI19rocblas_complex_numIdELi32ELi2ELb1ELb0ELb1ELb1EPKS1_S2_S1_Ev17rocblas_diagonal_iiT6_lPT7_lllS7_lllPT8_llli,comdat
	.globl	_ZL30rocblas_trmm_outofplace_kernelI19rocblas_complex_numIdELi32ELi2ELb1ELb0ELb1ELb1EPKS1_S2_S1_Ev17rocblas_diagonal_iiT6_lPT7_lllS7_lllPT8_llli ; -- Begin function _ZL30rocblas_trmm_outofplace_kernelI19rocblas_complex_numIdELi32ELi2ELb1ELb0ELb1ELb1EPKS1_S2_S1_Ev17rocblas_diagonal_iiT6_lPT7_lllS7_lllPT8_llli
	.p2align	8
	.type	_ZL30rocblas_trmm_outofplace_kernelI19rocblas_complex_numIdELi32ELi2ELb1ELb0ELb1ELb1EPKS1_S2_S1_Ev17rocblas_diagonal_iiT6_lPT7_lllS7_lllPT8_llli,@function
_ZL30rocblas_trmm_outofplace_kernelI19rocblas_complex_numIdELi32ELi2ELb1ELb0ELb1ELb1EPKS1_S2_S1_Ev17rocblas_diagonal_iiT6_lPT7_lllS7_lllPT8_llli: ; @_ZL30rocblas_trmm_outofplace_kernelI19rocblas_complex_numIdELi32ELi2ELb1ELb0ELb1ELb1EPKS1_S2_S1_Ev17rocblas_diagonal_iiT6_lPT7_lllS7_lllPT8_llli
; %bb.0:
	s_load_dwordx16 s[12:27], s[4:5], 0x10
	s_waitcnt lgkmcnt(0)
	s_mul_i32 s0, s8, s15
	s_mul_hi_u32 s1, s8, s14
	s_add_i32 s1, s1, s0
	s_mul_i32 s0, s8, s14
	s_lshl_b64 s[0:1], s[0:1], 4
	s_add_u32 s0, s12, s0
	s_addc_u32 s1, s13, s1
	s_load_dwordx4 s[28:31], s[0:1], 0x0
	s_waitcnt lgkmcnt(0)
	v_cmp_eq_f64_e64 s[0:1], s[28:29], 0
	v_cmp_eq_f64_e64 s[2:3], s[30:31], 0
	s_and_b64 s[0:1], s[0:1], s[2:3]
	s_and_b64 vcc, exec, s[0:1]
	s_cbranch_vccnz .LBB116_63
; %bb.1:
	s_load_dwordx4 s[44:47], s[4:5], 0x0
	s_waitcnt lgkmcnt(0)
	s_add_i32 s0, s46, -1
	s_ashr_i32 s1, s0, 31
	s_lshr_b32 s1, s1, 27
	s_add_i32 s0, s0, s1
	s_ashr_i32 s33, s0, 5
	s_cmp_gt_i32 s7, s33
	s_cbranch_scc1 .LBB116_63
; %bb.2:
	s_mul_i32 s0, s8, s23
	s_mul_hi_u32 s1, s8, s22
	s_add_i32 s1, s1, s0
	s_mul_i32 s0, s8, s22
	s_load_dwordx4 s[48:51], s[4:5], 0x70
	s_load_dword s47, s[4:5], 0x8c
	s_lshl_b64 s[10:11], s[0:1], 4
	s_add_u32 s0, s16, s10
	s_load_dwordx8 s[36:43], s[4:5], 0x50
	s_addc_u32 s1, s17, s11
	s_lshl_b64 s[12:13], s[18:19], 4
	s_add_u32 s2, s0, s12
	s_addc_u32 s3, s1, s13
	s_waitcnt lgkmcnt(0)
	s_mul_i32 s0, s8, s51
	s_mul_hi_u32 s1, s8, s50
	s_add_i32 s1, s1, s0
	s_mul_i32 s0, s8, s50
	s_lshl_b64 s[0:1], s[0:1], 4
	s_add_u32 s4, s40, s0
	s_addc_u32 s5, s41, s1
	s_lshl_b64 s[0:1], s[42:43], 4
	s_add_u32 s50, s4, s0
	s_addc_u32 s51, s5, s1
	s_lshl_b32 s4, s6, 5
	v_and_b32_e32 v2, 0x3ff, v0
	v_add_u32_e32 v16, s4, v2
	v_ashrrev_i32_e32 v17, 31, v16
	v_bfe_u32 v54, v0, 10, 10
	v_mul_lo_u32 v3, v17, s20
	v_mul_lo_u32 v4, v16, s21
	v_mad_u64_u32 v[0:1], s[0:1], v16, s20, 0
	v_add3_u32 v1, v1, v4, v3
	v_add_u32_e32 v14, s4, v54
	v_lshlrev_b64 v[0:1], 4, v[0:1]
	v_ashrrev_i32_e32 v15, 31, v14
	v_mov_b32_e32 v3, s3
	v_add_co_u32_e32 v4, vcc, s2, v0
	v_addc_co_u32_e32 v3, vcc, v3, v1, vcc
	v_lshlrev_b64 v[0:1], 4, v[14:15]
	v_add_co_u32_e32 v55, vcc, v4, v0
	v_addc_co_u32_e32 v56, vcc, v3, v1, vcc
	s_sub_i32 s6, s45, s4
	s_cmp_gt_i32 s6, 0
	v_add_co_u32_e32 v18, vcc, 16, v16
	s_cselect_b64 s[18:19], -1, 0
	s_cmpk_eq_i32 s44, 0x84
	v_addc_co_u32_e32 v19, vcc, 0, v17, vcc
	s_cselect_b64 s[22:23], -1, 0
	s_ashr_i32 s35, s45, 31
	s_ashr_i32 s52, s46, 31
	v_sub_co_u32_e32 v22, vcc, v16, v14
	s_add_u32 s40, s45, -16
	v_subb_co_u32_e32 v23, vcc, v17, v15, vcc
	s_mul_i32 s9, s39, s8
	s_mul_hi_u32 s39, s38, s8
	s_addc_u32 s41, s35, -1
	v_add_co_u32_e32 v24, vcc, 16, v22
	s_add_i32 s9, s39, s9
	s_mul_i32 s8, s38, s8
	v_addc_co_u32_e32 v25, vcc, 0, v23, vcc
	s_lshl_b64 s[8:9], s[8:9], 4
	s_lshl_b64 s[26:27], s[26:27], 4
	v_add_co_u32_e32 v26, vcc, -16, v22
	s_add_u32 s8, s8, s26
	s_movk_i32 s42, 0x100
	v_addc_co_u32_e32 v27, vcc, -1, v23, vcc
	s_addc_u32 s9, s9, s27
	v_lshlrev_b64 v[28:29], 4, v[16:17]
	s_add_u32 s8, s24, s8
	v_add_co_u32_e32 v4, vcc, s42, v28
	v_lshlrev_b32_e32 v57, 4, v2
	s_addc_u32 s9, s25, s9
	v_addc_co_u32_e32 v2, vcc, 0, v29, vcc
	s_lshl_b64 s[24:25], s[36:37], 4
	s_lshl_b32 s53, s47, 5
	v_lshlrev_b32_e32 v3, 9, v54
	v_add_co_u32_e32 v30, vcc, s8, v4
	s_add_u32 s8, s12, s10
	v_add_u32_e32 v58, v57, v3
	v_add_u32_e32 v59, 0x4000, v3
	v_mov_b32_e32 v3, s9
	s_addc_u32 s9, s13, s11
	v_addc_co_u32_e32 v31, vcc, v2, v3, vcc
	v_mul_lo_u32 v5, s20, v2
	v_pk_mov_b32 v[2:3], s[8:9], s[8:9] op_sel:[0,1]
	v_mul_lo_u32 v6, s21, v4
	v_mad_u64_u32 v[2:3], s[8:9], s20, v4, v[2:3]
	v_add3_u32 v3, v6, v3, v5
	v_add_co_u32_e32 v0, vcc, v2, v0
	v_addc_co_u32_e32 v1, vcc, v3, v1, vcc
	s_mov_b32 s34, s45
	v_add_u32_e32 v60, v59, v57
	v_add_u32_e32 v20, 16, v16
	v_mov_b32_e32 v2, s17
	v_add_co_u32_e32 v64, vcc, s16, v0
	v_cmp_le_i32_e64 s[0:1], s45, v16
	v_cmp_le_i64_e64 s[2:3], s[34:35], v[18:19]
	v_add_u32_e32 v61, 0x100, v60
	v_add_u32_e32 v62, 0x2000, v60
	;; [unrolled: 1-line block ×3, first 2 shown]
	v_cmp_gt_i32_e64 s[4:5], s45, v16
	v_cmp_gt_i32_e64 s[14:15], s45, v20
	v_ashrrev_i32_e32 v21, 31, v20
	v_lshl_add_u32 v32, s7, 5, v54
	v_addc_co_u32_e32 v65, vcc, v2, v1, vcc
	v_mov_b32_e32 v0, 0
	v_mov_b32_e32 v1, 0x3ff00000
	s_branch .LBB116_4
.LBB116_3:                              ;   in Loop: Header=BB116_4 Depth=1
	s_or_b64 exec, exec, s[8:9]
	s_add_i32 s7, s47, s7
	s_cmp_le_i32 s7, s33
	v_add_u32_e32 v32, s53, v32
	s_cbranch_scc0 .LBB116_63
.LBB116_4:                              ; =>This Loop Header: Depth=1
                                        ;     Child Loop BB116_7 Depth 2
	v_lshl_add_u32 v66, s7, 5, v54
	v_pk_mov_b32 v[50:51], 0, 0
	v_ashrrev_i32_e32 v67, 31, v66
	s_mov_b64 s[20:21], 0
	s_andn2_b64 vcc, exec, s[18:19]
	v_pk_mov_b32 v[52:53], v[50:51], v[50:51] op_sel:[0,1]
	v_pk_mov_b32 v[46:47], v[50:51], v[50:51] op_sel:[0,1]
	;; [unrolled: 1-line block ×7, first 2 shown]
	s_cbranch_vccnz .LBB116_55
; %bb.5:                                ;   in Loop: Header=BB116_4 Depth=1
	v_ashrrev_i32_e32 v33, 31, v32
	v_mad_u64_u32 v[34:35], s[8:9], s24, v32, v[30:31]
	v_mul_lo_u32 v2, s25, v32
	v_mul_lo_u32 v3, s24, v33
	v_add3_u32 v35, v2, v35, v3
	v_lshlrev_b64 v[2:3], 4, v[32:33]
	v_add_co_u32_e32 v2, vcc, 0x100, v2
	v_addc_co_u32_e32 v3, vcc, 0, v3, vcc
	v_mul_lo_u32 v3, s36, v3
	v_mul_lo_u32 v4, s37, v2
	v_mad_u64_u32 v[36:37], s[8:9], s36, v2, v[30:31]
	v_add3_u32 v37, v4, v37, v3
	v_mov_b32_e32 v3, s52
	v_sub_co_u32_e32 v2, vcc, s46, v66
	v_subb_co_u32_e32 v3, vcc, v3, v67, vcc
	v_pk_mov_b32 v[38:39], 0, 0
	v_cmp_lt_i64_e32 vcc, 0, v[2:3]
	v_cmp_lt_i64_e64 s[8:9], 16, v[2:3]
	s_mov_b64 s[26:27], 0
	v_pk_mov_b32 v[40:41], v[38:39], v[38:39] op_sel:[0,1]
	v_pk_mov_b32 v[44:45], v[38:39], v[38:39] op_sel:[0,1]
	;; [unrolled: 1-line block ×7, first 2 shown]
	s_branch .LBB116_7
.LBB116_6:                              ;   in Loop: Header=BB116_7 Depth=2
	s_or_b64 exec, exec, s[12:13]
	s_waitcnt lgkmcnt(0)
	s_barrier
	ds_read_b128 v[68:71], v57
	ds_read_b128 v[72:75], v59
	ds_read_b128 v[10:13], v59 offset:16
	ds_read_b128 v[6:9], v59 offset:32
	;; [unrolled: 1-line block ×4, first 2 shown]
	s_waitcnt lgkmcnt(4)
	v_mul_f64 v[80:81], v[74:75], v[70:71]
	v_fma_f64 v[80:81], v[72:73], v[68:69], -v[80:81]
	v_mul_f64 v[82:83], v[72:73], v[70:71]
	v_fmac_f64_e32 v[82:83], v[74:75], v[68:69]
	v_add_f64 v[80:81], v[50:51], v[80:81]
	s_waitcnt lgkmcnt(0)
	v_mul_f64 v[50:51], v[74:75], v[78:79]
	v_add_f64 v[82:83], v[52:53], v[82:83]
	v_fma_f64 v[84:85], v[72:73], v[76:77], -v[50:51]
	ds_read_b128 v[50:53], v59 offset:8192
	v_mul_f64 v[72:73], v[72:73], v[78:79]
	v_fmac_f64_e32 v[72:73], v[74:75], v[76:77]
	v_add_f64 v[74:75], v[46:47], v[84:85]
	v_add_f64 v[72:73], v[48:49], v[72:73]
	ds_read_b128 v[46:49], v59 offset:8208
	s_waitcnt lgkmcnt(1)
	v_mul_f64 v[84:85], v[52:53], v[70:71]
	v_fma_f64 v[84:85], v[50:51], v[68:69], -v[84:85]
	v_mul_f64 v[70:71], v[50:51], v[70:71]
	v_fmac_f64_e32 v[70:71], v[52:53], v[68:69]
	v_add_f64 v[68:69], v[42:43], v[84:85]
	v_mul_f64 v[42:43], v[52:53], v[78:79]
	v_add_f64 v[70:71], v[44:45], v[70:71]
	v_fma_f64 v[84:85], v[50:51], v[76:77], -v[42:43]
	v_mul_f64 v[50:51], v[50:51], v[78:79]
	ds_read_b128 v[42:45], v57 offset:512
	v_fmac_f64_e32 v[50:51], v[52:53], v[76:77]
	v_add_f64 v[52:53], v[40:41], v[84:85]
	v_add_f64 v[50:51], v[38:39], v[50:51]
	ds_read_b128 v[38:41], v57 offset:768
	s_waitcnt lgkmcnt(1)
	v_mul_f64 v[76:77], v[12:13], v[44:45]
	v_fma_f64 v[76:77], v[10:11], v[42:43], -v[76:77]
	v_add_f64 v[76:77], v[80:81], v[76:77]
	v_mul_f64 v[78:79], v[10:11], v[44:45]
	s_waitcnt lgkmcnt(0)
	v_mul_f64 v[80:81], v[12:13], v[40:41]
	v_fma_f64 v[80:81], v[10:11], v[38:39], -v[80:81]
	v_mul_f64 v[10:11], v[10:11], v[40:41]
	v_fmac_f64_e32 v[10:11], v[12:13], v[38:39]
	v_fmac_f64_e32 v[78:79], v[12:13], v[42:43]
	v_add_f64 v[72:73], v[72:73], v[10:11]
	v_mul_f64 v[10:11], v[48:49], v[44:45]
	v_mul_f64 v[12:13], v[46:47], v[44:45]
	v_fma_f64 v[10:11], v[46:47], v[42:43], -v[10:11]
	v_fmac_f64_e32 v[12:13], v[48:49], v[42:43]
	v_mul_f64 v[42:43], v[48:49], v[40:41]
	v_fma_f64 v[44:45], v[46:47], v[38:39], -v[42:43]
	v_mul_f64 v[46:47], v[46:47], v[40:41]
	ds_read_b128 v[40:43], v57 offset:1024
	v_fmac_f64_e32 v[46:47], v[48:49], v[38:39]
	v_add_f64 v[38:39], v[52:53], v[44:45]
	v_add_f64 v[52:53], v[50:51], v[46:47]
	ds_read_b128 v[44:47], v57 offset:1280
	s_waitcnt lgkmcnt(1)
	v_mul_f64 v[48:49], v[8:9], v[42:43]
	v_fma_f64 v[48:49], v[6:7], v[40:41], -v[48:49]
	v_mul_f64 v[50:51], v[6:7], v[42:43]
	v_add_f64 v[78:79], v[82:83], v[78:79]
	v_add_f64 v[10:11], v[68:69], v[10:11]
	v_fmac_f64_e32 v[50:51], v[8:9], v[40:41]
	v_add_f64 v[68:69], v[76:77], v[48:49]
	s_waitcnt lgkmcnt(0)
	v_mul_f64 v[48:49], v[8:9], v[46:47]
	v_add_f64 v[12:13], v[70:71], v[12:13]
	v_add_f64 v[70:71], v[78:79], v[50:51]
	v_fma_f64 v[76:77], v[6:7], v[44:45], -v[48:49]
	ds_read_b128 v[48:51], v59 offset:8224
	v_mul_f64 v[6:7], v[6:7], v[46:47]
	v_add_f64 v[74:75], v[74:75], v[80:81]
	v_fmac_f64_e32 v[6:7], v[8:9], v[44:45]
	v_add_f64 v[74:75], v[74:75], v[76:77]
	v_add_f64 v[72:73], v[72:73], v[6:7]
	ds_read_b128 v[6:9], v59 offset:8240
	s_waitcnt lgkmcnt(1)
	v_mul_f64 v[76:77], v[50:51], v[42:43]
	v_fma_f64 v[76:77], v[48:49], v[40:41], -v[76:77]
	v_mul_f64 v[42:43], v[48:49], v[42:43]
	v_add_f64 v[76:77], v[10:11], v[76:77]
	v_mul_f64 v[10:11], v[50:51], v[46:47]
	v_fmac_f64_e32 v[42:43], v[50:51], v[40:41]
	v_fma_f64 v[40:41], v[48:49], v[44:45], -v[10:11]
	v_mul_f64 v[46:47], v[48:49], v[46:47]
	v_add_f64 v[42:43], v[12:13], v[42:43]
	ds_read_b128 v[10:13], v57 offset:1536
	v_fmac_f64_e32 v[46:47], v[50:51], v[44:45]
	v_add_f64 v[44:45], v[38:39], v[40:41]
	ds_read_b128 v[38:41], v57 offset:1792
	v_add_f64 v[46:47], v[52:53], v[46:47]
	s_waitcnt lgkmcnt(1)
	v_mul_f64 v[48:49], v[4:5], v[12:13]
	v_fma_f64 v[48:49], v[2:3], v[10:11], -v[48:49]
	v_mul_f64 v[50:51], v[2:3], v[12:13]
	s_waitcnt lgkmcnt(0)
	v_mul_f64 v[52:53], v[4:5], v[40:41]
	v_fma_f64 v[52:53], v[2:3], v[38:39], -v[52:53]
	v_mul_f64 v[2:3], v[2:3], v[40:41]
	v_fmac_f64_e32 v[2:3], v[4:5], v[38:39]
	v_fmac_f64_e32 v[50:51], v[4:5], v[10:11]
	v_add_f64 v[48:49], v[68:69], v[48:49]
	v_add_f64 v[68:69], v[72:73], v[2:3]
	v_mul_f64 v[2:3], v[8:9], v[12:13]
	v_mul_f64 v[4:5], v[6:7], v[12:13]
	v_fma_f64 v[2:3], v[6:7], v[10:11], -v[2:3]
	v_fmac_f64_e32 v[4:5], v[8:9], v[10:11]
	v_mul_f64 v[10:11], v[8:9], v[40:41]
	v_mul_f64 v[40:41], v[6:7], v[40:41]
	v_add_f64 v[4:5], v[42:43], v[4:5]
	v_fma_f64 v[42:43], v[6:7], v[38:39], -v[10:11]
	v_fmac_f64_e32 v[40:41], v[8:9], v[38:39]
	ds_read_b128 v[6:9], v59 offset:64
	ds_read_b128 v[10:13], v57 offset:2048
	v_add_f64 v[50:51], v[70:71], v[50:51]
	v_add_f64 v[70:71], v[44:45], v[42:43]
	;; [unrolled: 1-line block ×3, first 2 shown]
	ds_read_b128 v[38:41], v57 offset:2304
	ds_read_b128 v[42:45], v59 offset:80
	s_waitcnt lgkmcnt(2)
	v_mul_f64 v[46:47], v[8:9], v[12:13]
	v_add_f64 v[52:53], v[74:75], v[52:53]
	v_fma_f64 v[46:47], v[6:7], v[10:11], -v[46:47]
	v_mul_f64 v[74:75], v[6:7], v[12:13]
	v_add_f64 v[2:3], v[76:77], v[2:3]
	v_fmac_f64_e32 v[74:75], v[8:9], v[10:11]
	v_add_f64 v[76:77], v[48:49], v[46:47]
	s_waitcnt lgkmcnt(1)
	v_mul_f64 v[46:47], v[8:9], v[40:41]
	v_add_f64 v[50:51], v[50:51], v[74:75]
	v_fma_f64 v[74:75], v[6:7], v[38:39], -v[46:47]
	ds_read_b128 v[46:49], v59 offset:8256
	v_mul_f64 v[6:7], v[6:7], v[40:41]
	v_fmac_f64_e32 v[6:7], v[8:9], v[38:39]
	v_add_f64 v[52:53], v[52:53], v[74:75]
	v_add_f64 v[68:69], v[68:69], v[6:7]
	ds_read_b128 v[6:9], v59 offset:8272
	s_waitcnt lgkmcnt(1)
	v_mul_f64 v[74:75], v[48:49], v[12:13]
	v_fma_f64 v[74:75], v[46:47], v[10:11], -v[74:75]
	v_mul_f64 v[12:13], v[46:47], v[12:13]
	v_fmac_f64_e32 v[12:13], v[48:49], v[10:11]
	v_add_f64 v[74:75], v[2:3], v[74:75]
	v_mul_f64 v[2:3], v[48:49], v[40:41]
	v_add_f64 v[78:79], v[4:5], v[12:13]
	v_fma_f64 v[10:11], v[46:47], v[38:39], -v[2:3]
	v_mul_f64 v[12:13], v[46:47], v[40:41]
	ds_read_b128 v[2:5], v57 offset:2560
	v_fmac_f64_e32 v[12:13], v[48:49], v[38:39]
	v_add_f64 v[38:39], v[70:71], v[10:11]
	v_add_f64 v[40:41], v[72:73], v[12:13]
	ds_read_b128 v[10:13], v57 offset:2816
	s_waitcnt lgkmcnt(1)
	v_mul_f64 v[48:49], v[42:43], v[4:5]
	v_fmac_f64_e32 v[48:49], v[44:45], v[2:3]
	v_mul_f64 v[46:47], v[44:45], v[4:5]
	v_add_f64 v[48:49], v[50:51], v[48:49]
	s_waitcnt lgkmcnt(0)
	v_mul_f64 v[50:51], v[44:45], v[12:13]
	v_fma_f64 v[46:47], v[42:43], v[2:3], -v[46:47]
	v_fma_f64 v[50:51], v[42:43], v[10:11], -v[50:51]
	v_mul_f64 v[42:43], v[42:43], v[12:13]
	v_fmac_f64_e32 v[42:43], v[44:45], v[10:11]
	v_add_f64 v[50:51], v[52:53], v[50:51]
	v_add_f64 v[52:53], v[68:69], v[42:43]
	v_mul_f64 v[42:43], v[8:9], v[4:5]
	v_fma_f64 v[42:43], v[6:7], v[2:3], -v[42:43]
	v_mul_f64 v[4:5], v[6:7], v[4:5]
	v_fmac_f64_e32 v[4:5], v[8:9], v[2:3]
	v_add_f64 v[2:3], v[74:75], v[42:43]
	v_mul_f64 v[42:43], v[8:9], v[12:13]
	v_mul_f64 v[44:45], v[6:7], v[12:13]
	v_fma_f64 v[42:43], v[6:7], v[10:11], -v[42:43]
	v_fmac_f64_e32 v[44:45], v[8:9], v[10:11]
	ds_read_b128 v[6:9], v59 offset:96
	ds_read_b128 v[10:13], v57 offset:3072
	v_add_f64 v[68:69], v[38:39], v[42:43]
	v_add_f64 v[70:71], v[40:41], v[44:45]
	ds_read_b128 v[38:41], v57 offset:3328
	ds_read_b128 v[42:45], v59 offset:112
	v_add_f64 v[46:47], v[76:77], v[46:47]
	s_waitcnt lgkmcnt(2)
	v_mul_f64 v[72:73], v[8:9], v[12:13]
	v_fma_f64 v[72:73], v[6:7], v[10:11], -v[72:73]
	v_mul_f64 v[74:75], v[6:7], v[12:13]
	v_fmac_f64_e32 v[74:75], v[8:9], v[10:11]
	v_add_f64 v[72:73], v[46:47], v[72:73]
	s_waitcnt lgkmcnt(1)
	v_mul_f64 v[46:47], v[8:9], v[40:41]
	v_add_f64 v[74:75], v[48:49], v[74:75]
	v_fma_f64 v[76:77], v[6:7], v[38:39], -v[46:47]
	ds_read_b128 v[46:49], v59 offset:8288
	v_mul_f64 v[6:7], v[6:7], v[40:41]
	v_fmac_f64_e32 v[6:7], v[8:9], v[38:39]
	v_add_f64 v[50:51], v[50:51], v[76:77]
	v_add_f64 v[52:53], v[52:53], v[6:7]
	ds_read_b128 v[6:9], v59 offset:8304
	s_waitcnt lgkmcnt(1)
	v_mul_f64 v[76:77], v[48:49], v[12:13]
	v_mul_f64 v[12:13], v[46:47], v[12:13]
	v_add_f64 v[4:5], v[78:79], v[4:5]
	v_fma_f64 v[76:77], v[46:47], v[10:11], -v[76:77]
	v_fmac_f64_e32 v[12:13], v[48:49], v[10:11]
	v_add_f64 v[76:77], v[2:3], v[76:77]
	v_add_f64 v[78:79], v[4:5], v[12:13]
	v_mul_f64 v[2:3], v[48:49], v[40:41]
	v_mul_f64 v[12:13], v[46:47], v[40:41]
	v_fma_f64 v[10:11], v[46:47], v[38:39], -v[2:3]
	v_fmac_f64_e32 v[12:13], v[48:49], v[38:39]
	ds_read_b128 v[2:5], v57 offset:3584
	v_add_f64 v[38:39], v[68:69], v[10:11]
	v_add_f64 v[40:41], v[70:71], v[12:13]
	ds_read_b128 v[10:13], v57 offset:3840
	s_add_u32 s26, s26, 32
	s_waitcnt lgkmcnt(1)
	v_mul_f64 v[46:47], v[44:45], v[4:5]
	v_fma_f64 v[46:47], v[42:43], v[2:3], -v[46:47]
	v_mul_f64 v[48:49], v[42:43], v[4:5]
	s_waitcnt lgkmcnt(0)
	v_mul_f64 v[68:69], v[44:45], v[12:13]
	v_fma_f64 v[68:69], v[42:43], v[10:11], -v[68:69]
	v_mul_f64 v[42:43], v[42:43], v[12:13]
	v_fmac_f64_e32 v[42:43], v[44:45], v[10:11]
	v_add_f64 v[52:53], v[52:53], v[42:43]
	v_mul_f64 v[42:43], v[8:9], v[4:5]
	v_fma_f64 v[42:43], v[6:7], v[2:3], -v[42:43]
	v_mul_f64 v[4:5], v[6:7], v[4:5]
	v_fmac_f64_e32 v[48:49], v[44:45], v[2:3]
	v_fmac_f64_e32 v[4:5], v[8:9], v[2:3]
	v_add_f64 v[2:3], v[76:77], v[42:43]
	v_mul_f64 v[42:43], v[8:9], v[12:13]
	v_mul_f64 v[44:45], v[6:7], v[12:13]
	v_fma_f64 v[42:43], v[6:7], v[10:11], -v[42:43]
	v_fmac_f64_e32 v[44:45], v[8:9], v[10:11]
	ds_read_b128 v[6:9], v59 offset:128
	ds_read_b128 v[10:13], v57 offset:4096
	v_add_f64 v[50:51], v[50:51], v[68:69]
	v_add_f64 v[68:69], v[38:39], v[42:43]
	;; [unrolled: 1-line block ×3, first 2 shown]
	ds_read_b128 v[38:41], v57 offset:4352
	ds_read_b128 v[42:45], v59 offset:144
	v_add_f64 v[46:47], v[72:73], v[46:47]
	s_waitcnt lgkmcnt(2)
	v_mul_f64 v[72:73], v[8:9], v[12:13]
	v_add_f64 v[48:49], v[74:75], v[48:49]
	v_fma_f64 v[72:73], v[6:7], v[10:11], -v[72:73]
	v_mul_f64 v[74:75], v[6:7], v[12:13]
	v_fmac_f64_e32 v[74:75], v[8:9], v[10:11]
	v_add_f64 v[72:73], v[46:47], v[72:73]
	s_waitcnt lgkmcnt(1)
	v_mul_f64 v[46:47], v[8:9], v[40:41]
	v_add_f64 v[74:75], v[48:49], v[74:75]
	v_fma_f64 v[76:77], v[6:7], v[38:39], -v[46:47]
	ds_read_b128 v[46:49], v59 offset:8320
	v_mul_f64 v[6:7], v[6:7], v[40:41]
	v_fmac_f64_e32 v[6:7], v[8:9], v[38:39]
	v_add_f64 v[50:51], v[50:51], v[76:77]
	v_add_f64 v[52:53], v[52:53], v[6:7]
	ds_read_b128 v[6:9], v59 offset:8336
	s_waitcnt lgkmcnt(1)
	v_mul_f64 v[76:77], v[48:49], v[12:13]
	v_mul_f64 v[12:13], v[46:47], v[12:13]
	v_add_f64 v[4:5], v[78:79], v[4:5]
	v_fma_f64 v[76:77], v[46:47], v[10:11], -v[76:77]
	v_fmac_f64_e32 v[12:13], v[48:49], v[10:11]
	v_add_f64 v[76:77], v[2:3], v[76:77]
	v_add_f64 v[78:79], v[4:5], v[12:13]
	v_mul_f64 v[2:3], v[48:49], v[40:41]
	v_mul_f64 v[12:13], v[46:47], v[40:41]
	v_fma_f64 v[10:11], v[46:47], v[38:39], -v[2:3]
	v_fmac_f64_e32 v[12:13], v[48:49], v[38:39]
	ds_read_b128 v[2:5], v57 offset:4608
	v_add_f64 v[38:39], v[68:69], v[10:11]
	v_add_f64 v[40:41], v[70:71], v[12:13]
	ds_read_b128 v[10:13], v57 offset:4864
	s_addc_u32 s27, s27, 0
	s_waitcnt lgkmcnt(1)
	v_mul_f64 v[46:47], v[44:45], v[4:5]
	v_fma_f64 v[46:47], v[42:43], v[2:3], -v[46:47]
	v_mul_f64 v[48:49], v[42:43], v[4:5]
	s_waitcnt lgkmcnt(0)
	v_mul_f64 v[68:69], v[44:45], v[12:13]
	v_fma_f64 v[68:69], v[42:43], v[10:11], -v[68:69]
	v_mul_f64 v[42:43], v[42:43], v[12:13]
	v_fmac_f64_e32 v[42:43], v[44:45], v[10:11]
	v_add_f64 v[52:53], v[52:53], v[42:43]
	v_mul_f64 v[42:43], v[8:9], v[4:5]
	v_fma_f64 v[42:43], v[6:7], v[2:3], -v[42:43]
	v_mul_f64 v[4:5], v[6:7], v[4:5]
	v_fmac_f64_e32 v[48:49], v[44:45], v[2:3]
	v_fmac_f64_e32 v[4:5], v[8:9], v[2:3]
	v_add_f64 v[2:3], v[76:77], v[42:43]
	v_mul_f64 v[42:43], v[8:9], v[12:13]
	v_mul_f64 v[44:45], v[6:7], v[12:13]
	v_fma_f64 v[42:43], v[6:7], v[10:11], -v[42:43]
	v_fmac_f64_e32 v[44:45], v[8:9], v[10:11]
	ds_read_b128 v[6:9], v59 offset:160
	ds_read_b128 v[10:13], v57 offset:5120
	v_add_f64 v[50:51], v[50:51], v[68:69]
	v_add_f64 v[68:69], v[38:39], v[42:43]
	;; [unrolled: 1-line block ×3, first 2 shown]
	ds_read_b128 v[38:41], v57 offset:5376
	ds_read_b128 v[42:45], v59 offset:176
	v_add_f64 v[46:47], v[72:73], v[46:47]
	s_waitcnt lgkmcnt(2)
	v_mul_f64 v[72:73], v[8:9], v[12:13]
	v_add_f64 v[48:49], v[74:75], v[48:49]
	v_fma_f64 v[72:73], v[6:7], v[10:11], -v[72:73]
	v_mul_f64 v[74:75], v[6:7], v[12:13]
	v_fmac_f64_e32 v[74:75], v[8:9], v[10:11]
	v_add_f64 v[72:73], v[46:47], v[72:73]
	s_waitcnt lgkmcnt(1)
	v_mul_f64 v[46:47], v[8:9], v[40:41]
	v_add_f64 v[74:75], v[48:49], v[74:75]
	v_fma_f64 v[76:77], v[6:7], v[38:39], -v[46:47]
	ds_read_b128 v[46:49], v59 offset:8352
	v_mul_f64 v[6:7], v[6:7], v[40:41]
	v_fmac_f64_e32 v[6:7], v[8:9], v[38:39]
	v_add_f64 v[50:51], v[50:51], v[76:77]
	v_add_f64 v[52:53], v[52:53], v[6:7]
	ds_read_b128 v[6:9], v59 offset:8368
	s_waitcnt lgkmcnt(1)
	v_mul_f64 v[76:77], v[48:49], v[12:13]
	v_mul_f64 v[12:13], v[46:47], v[12:13]
	v_add_f64 v[4:5], v[78:79], v[4:5]
	v_fma_f64 v[76:77], v[46:47], v[10:11], -v[76:77]
	v_fmac_f64_e32 v[12:13], v[48:49], v[10:11]
	v_add_f64 v[76:77], v[2:3], v[76:77]
	v_add_f64 v[78:79], v[4:5], v[12:13]
	v_mul_f64 v[2:3], v[48:49], v[40:41]
	v_mul_f64 v[12:13], v[46:47], v[40:41]
	v_fma_f64 v[10:11], v[46:47], v[38:39], -v[2:3]
	v_fmac_f64_e32 v[12:13], v[48:49], v[38:39]
	ds_read_b128 v[2:5], v57 offset:5632
	v_add_f64 v[38:39], v[68:69], v[10:11]
	v_add_f64 v[40:41], v[70:71], v[12:13]
	ds_read_b128 v[10:13], v57 offset:5888
	s_add_u32 s20, s20, 0x200
	s_waitcnt lgkmcnt(1)
	v_mul_f64 v[46:47], v[44:45], v[4:5]
	v_fma_f64 v[46:47], v[42:43], v[2:3], -v[46:47]
	v_mul_f64 v[48:49], v[42:43], v[4:5]
	s_waitcnt lgkmcnt(0)
	v_mul_f64 v[68:69], v[44:45], v[12:13]
	v_fma_f64 v[68:69], v[42:43], v[10:11], -v[68:69]
	v_mul_f64 v[42:43], v[42:43], v[12:13]
	v_fmac_f64_e32 v[42:43], v[44:45], v[10:11]
	v_add_f64 v[52:53], v[52:53], v[42:43]
	v_mul_f64 v[42:43], v[8:9], v[4:5]
	v_fma_f64 v[42:43], v[6:7], v[2:3], -v[42:43]
	v_mul_f64 v[4:5], v[6:7], v[4:5]
	v_fmac_f64_e32 v[48:49], v[44:45], v[2:3]
	v_fmac_f64_e32 v[4:5], v[8:9], v[2:3]
	v_add_f64 v[2:3], v[76:77], v[42:43]
	v_mul_f64 v[42:43], v[8:9], v[12:13]
	v_mul_f64 v[44:45], v[6:7], v[12:13]
	v_fma_f64 v[42:43], v[6:7], v[10:11], -v[42:43]
	v_fmac_f64_e32 v[44:45], v[8:9], v[10:11]
	ds_read_b128 v[6:9], v59 offset:192
	ds_read_b128 v[10:13], v57 offset:6144
	v_add_f64 v[50:51], v[50:51], v[68:69]
	v_add_f64 v[68:69], v[38:39], v[42:43]
	;; [unrolled: 1-line block ×3, first 2 shown]
	ds_read_b128 v[38:41], v57 offset:6400
	ds_read_b128 v[42:45], v59 offset:208
	v_add_f64 v[46:47], v[72:73], v[46:47]
	s_waitcnt lgkmcnt(2)
	v_mul_f64 v[72:73], v[8:9], v[12:13]
	v_add_f64 v[48:49], v[74:75], v[48:49]
	v_fma_f64 v[72:73], v[6:7], v[10:11], -v[72:73]
	v_mul_f64 v[74:75], v[6:7], v[12:13]
	v_fmac_f64_e32 v[74:75], v[8:9], v[10:11]
	v_add_f64 v[72:73], v[46:47], v[72:73]
	s_waitcnt lgkmcnt(1)
	v_mul_f64 v[46:47], v[8:9], v[40:41]
	v_add_f64 v[74:75], v[48:49], v[74:75]
	v_fma_f64 v[76:77], v[6:7], v[38:39], -v[46:47]
	ds_read_b128 v[46:49], v59 offset:8384
	v_mul_f64 v[6:7], v[6:7], v[40:41]
	v_fmac_f64_e32 v[6:7], v[8:9], v[38:39]
	v_add_f64 v[50:51], v[50:51], v[76:77]
	v_add_f64 v[52:53], v[52:53], v[6:7]
	ds_read_b128 v[6:9], v59 offset:8400
	s_waitcnt lgkmcnt(1)
	v_mul_f64 v[76:77], v[48:49], v[12:13]
	v_mul_f64 v[12:13], v[46:47], v[12:13]
	v_add_f64 v[4:5], v[78:79], v[4:5]
	v_fma_f64 v[76:77], v[46:47], v[10:11], -v[76:77]
	v_fmac_f64_e32 v[12:13], v[48:49], v[10:11]
	v_add_f64 v[76:77], v[2:3], v[76:77]
	v_add_f64 v[78:79], v[4:5], v[12:13]
	v_mul_f64 v[2:3], v[48:49], v[40:41]
	v_mul_f64 v[12:13], v[46:47], v[40:41]
	v_fma_f64 v[10:11], v[46:47], v[38:39], -v[2:3]
	v_fmac_f64_e32 v[12:13], v[48:49], v[38:39]
	ds_read_b128 v[2:5], v57 offset:6656
	v_add_f64 v[38:39], v[68:69], v[10:11]
	v_add_f64 v[40:41], v[70:71], v[12:13]
	ds_read_b128 v[10:13], v57 offset:6912
	s_addc_u32 s21, s21, 0
	s_waitcnt lgkmcnt(1)
	v_mul_f64 v[46:47], v[44:45], v[4:5]
	v_fma_f64 v[46:47], v[42:43], v[2:3], -v[46:47]
	v_mul_f64 v[48:49], v[42:43], v[4:5]
	s_waitcnt lgkmcnt(0)
	v_mul_f64 v[68:69], v[44:45], v[12:13]
	v_fma_f64 v[68:69], v[42:43], v[10:11], -v[68:69]
	v_mul_f64 v[42:43], v[42:43], v[12:13]
	v_fmac_f64_e32 v[42:43], v[44:45], v[10:11]
	v_add_f64 v[52:53], v[52:53], v[42:43]
	v_mul_f64 v[42:43], v[8:9], v[4:5]
	v_fma_f64 v[42:43], v[6:7], v[2:3], -v[42:43]
	v_mul_f64 v[4:5], v[6:7], v[4:5]
	v_fmac_f64_e32 v[48:49], v[44:45], v[2:3]
	v_fmac_f64_e32 v[4:5], v[8:9], v[2:3]
	v_add_f64 v[2:3], v[76:77], v[42:43]
	v_mul_f64 v[42:43], v[8:9], v[12:13]
	v_mul_f64 v[44:45], v[6:7], v[12:13]
	v_fma_f64 v[42:43], v[6:7], v[10:11], -v[42:43]
	v_fmac_f64_e32 v[44:45], v[8:9], v[10:11]
	ds_read_b128 v[6:9], v59 offset:224
	ds_read_b128 v[10:13], v57 offset:7168
	v_add_f64 v[50:51], v[50:51], v[68:69]
	v_add_f64 v[68:69], v[38:39], v[42:43]
	;; [unrolled: 1-line block ×3, first 2 shown]
	ds_read_b128 v[38:41], v57 offset:7424
	ds_read_b128 v[42:45], v59 offset:240
	v_add_f64 v[46:47], v[72:73], v[46:47]
	s_waitcnt lgkmcnt(2)
	v_mul_f64 v[72:73], v[8:9], v[12:13]
	v_add_f64 v[48:49], v[74:75], v[48:49]
	v_fma_f64 v[72:73], v[6:7], v[10:11], -v[72:73]
	v_mul_f64 v[74:75], v[6:7], v[12:13]
	v_fmac_f64_e32 v[74:75], v[8:9], v[10:11]
	v_add_f64 v[72:73], v[46:47], v[72:73]
	s_waitcnt lgkmcnt(1)
	v_mul_f64 v[46:47], v[8:9], v[40:41]
	v_add_f64 v[74:75], v[48:49], v[74:75]
	v_fma_f64 v[76:77], v[6:7], v[38:39], -v[46:47]
	ds_read_b128 v[46:49], v59 offset:8416
	v_mul_f64 v[6:7], v[6:7], v[40:41]
	v_fmac_f64_e32 v[6:7], v[8:9], v[38:39]
	v_add_f64 v[50:51], v[50:51], v[76:77]
	v_add_f64 v[52:53], v[52:53], v[6:7]
	ds_read_b128 v[6:9], v59 offset:8432
	s_waitcnt lgkmcnt(1)
	v_mul_f64 v[76:77], v[48:49], v[12:13]
	v_mul_f64 v[12:13], v[46:47], v[12:13]
	v_add_f64 v[4:5], v[78:79], v[4:5]
	v_fma_f64 v[76:77], v[46:47], v[10:11], -v[76:77]
	v_fmac_f64_e32 v[12:13], v[48:49], v[10:11]
	v_add_f64 v[76:77], v[2:3], v[76:77]
	v_add_f64 v[78:79], v[4:5], v[12:13]
	v_mul_f64 v[2:3], v[48:49], v[40:41]
	v_mul_f64 v[12:13], v[46:47], v[40:41]
	v_fma_f64 v[10:11], v[46:47], v[38:39], -v[2:3]
	v_fmac_f64_e32 v[12:13], v[48:49], v[38:39]
	ds_read_b128 v[2:5], v57 offset:7680
	v_add_f64 v[38:39], v[68:69], v[10:11]
	v_add_f64 v[40:41], v[70:71], v[12:13]
	ds_read_b128 v[10:13], v57 offset:7936
	s_cmp_ge_i32 s26, s6
	s_waitcnt lgkmcnt(1)
	v_mul_f64 v[46:47], v[44:45], v[4:5]
	v_fma_f64 v[46:47], v[42:43], v[2:3], -v[46:47]
	v_mul_f64 v[48:49], v[42:43], v[4:5]
	s_waitcnt lgkmcnt(0)
	v_mul_f64 v[68:69], v[44:45], v[12:13]
	v_fma_f64 v[68:69], v[42:43], v[10:11], -v[68:69]
	v_mul_f64 v[42:43], v[42:43], v[12:13]
	v_fmac_f64_e32 v[42:43], v[44:45], v[10:11]
	v_add_f64 v[52:53], v[52:53], v[42:43]
	v_mul_f64 v[42:43], v[8:9], v[4:5]
	v_fma_f64 v[42:43], v[6:7], v[2:3], -v[42:43]
	v_mul_f64 v[4:5], v[6:7], v[4:5]
	v_fmac_f64_e32 v[48:49], v[44:45], v[2:3]
	v_fmac_f64_e32 v[4:5], v[8:9], v[2:3]
	v_add_f64 v[2:3], v[76:77], v[42:43]
	v_mul_f64 v[42:43], v[8:9], v[12:13]
	v_mul_f64 v[44:45], v[6:7], v[12:13]
	v_fma_f64 v[42:43], v[6:7], v[10:11], -v[42:43]
	v_fmac_f64_e32 v[44:45], v[8:9], v[10:11]
	ds_read_b128 v[6:9], v59 offset:256
	ds_read_b128 v[10:13], v57 offset:8192
	v_add_f64 v[50:51], v[50:51], v[68:69]
	v_add_f64 v[68:69], v[38:39], v[42:43]
	v_add_f64 v[70:71], v[40:41], v[44:45]
	ds_read_b128 v[38:41], v57 offset:8448
	ds_read_b128 v[42:45], v59 offset:272
	v_add_f64 v[46:47], v[72:73], v[46:47]
	s_waitcnt lgkmcnt(2)
	v_mul_f64 v[72:73], v[8:9], v[12:13]
	v_add_f64 v[48:49], v[74:75], v[48:49]
	v_fma_f64 v[72:73], v[6:7], v[10:11], -v[72:73]
	v_mul_f64 v[74:75], v[6:7], v[12:13]
	v_fmac_f64_e32 v[74:75], v[8:9], v[10:11]
	v_add_f64 v[72:73], v[46:47], v[72:73]
	s_waitcnt lgkmcnt(1)
	v_mul_f64 v[46:47], v[8:9], v[40:41]
	v_add_f64 v[74:75], v[48:49], v[74:75]
	v_fma_f64 v[76:77], v[6:7], v[38:39], -v[46:47]
	ds_read_b128 v[46:49], v59 offset:8448
	v_mul_f64 v[6:7], v[6:7], v[40:41]
	v_fmac_f64_e32 v[6:7], v[8:9], v[38:39]
	v_add_f64 v[50:51], v[50:51], v[76:77]
	v_add_f64 v[52:53], v[52:53], v[6:7]
	ds_read_b128 v[6:9], v59 offset:8464
	s_waitcnt lgkmcnt(1)
	v_mul_f64 v[76:77], v[48:49], v[12:13]
	v_mul_f64 v[12:13], v[46:47], v[12:13]
	v_add_f64 v[4:5], v[78:79], v[4:5]
	v_fma_f64 v[76:77], v[46:47], v[10:11], -v[76:77]
	v_fmac_f64_e32 v[12:13], v[48:49], v[10:11]
	v_add_f64 v[76:77], v[2:3], v[76:77]
	v_add_f64 v[78:79], v[4:5], v[12:13]
	v_mul_f64 v[2:3], v[48:49], v[40:41]
	v_mul_f64 v[12:13], v[46:47], v[40:41]
	v_fma_f64 v[10:11], v[46:47], v[38:39], -v[2:3]
	v_fmac_f64_e32 v[12:13], v[48:49], v[38:39]
	ds_read_b128 v[2:5], v57 offset:8704
	v_add_f64 v[38:39], v[68:69], v[10:11]
	v_add_f64 v[40:41], v[70:71], v[12:13]
	ds_read_b128 v[10:13], v57 offset:8960
	s_waitcnt lgkmcnt(1)
	v_mul_f64 v[46:47], v[44:45], v[4:5]
	v_fma_f64 v[46:47], v[42:43], v[2:3], -v[46:47]
	v_mul_f64 v[48:49], v[42:43], v[4:5]
	s_waitcnt lgkmcnt(0)
	v_mul_f64 v[68:69], v[44:45], v[12:13]
	v_fma_f64 v[68:69], v[42:43], v[10:11], -v[68:69]
	v_mul_f64 v[42:43], v[42:43], v[12:13]
	v_fmac_f64_e32 v[42:43], v[44:45], v[10:11]
	v_add_f64 v[52:53], v[52:53], v[42:43]
	v_mul_f64 v[42:43], v[8:9], v[4:5]
	v_fma_f64 v[42:43], v[6:7], v[2:3], -v[42:43]
	v_mul_f64 v[4:5], v[6:7], v[4:5]
	v_fmac_f64_e32 v[48:49], v[44:45], v[2:3]
	v_fmac_f64_e32 v[4:5], v[8:9], v[2:3]
	v_add_f64 v[2:3], v[76:77], v[42:43]
	v_mul_f64 v[42:43], v[8:9], v[12:13]
	v_mul_f64 v[44:45], v[6:7], v[12:13]
	v_fma_f64 v[42:43], v[6:7], v[10:11], -v[42:43]
	v_fmac_f64_e32 v[44:45], v[8:9], v[10:11]
	ds_read_b128 v[6:9], v59 offset:288
	ds_read_b128 v[10:13], v57 offset:9216
	v_add_f64 v[50:51], v[50:51], v[68:69]
	v_add_f64 v[68:69], v[38:39], v[42:43]
	v_add_f64 v[70:71], v[40:41], v[44:45]
	ds_read_b128 v[38:41], v57 offset:9472
	ds_read_b128 v[42:45], v59 offset:304
	v_add_f64 v[46:47], v[72:73], v[46:47]
	s_waitcnt lgkmcnt(2)
	v_mul_f64 v[72:73], v[8:9], v[12:13]
	v_add_f64 v[48:49], v[74:75], v[48:49]
	v_fma_f64 v[72:73], v[6:7], v[10:11], -v[72:73]
	v_mul_f64 v[74:75], v[6:7], v[12:13]
	v_fmac_f64_e32 v[74:75], v[8:9], v[10:11]
	v_add_f64 v[72:73], v[46:47], v[72:73]
	s_waitcnt lgkmcnt(1)
	v_mul_f64 v[46:47], v[8:9], v[40:41]
	v_add_f64 v[74:75], v[48:49], v[74:75]
	v_fma_f64 v[76:77], v[6:7], v[38:39], -v[46:47]
	ds_read_b128 v[46:49], v59 offset:8480
	v_mul_f64 v[6:7], v[6:7], v[40:41]
	v_fmac_f64_e32 v[6:7], v[8:9], v[38:39]
	v_add_f64 v[50:51], v[50:51], v[76:77]
	v_add_f64 v[52:53], v[52:53], v[6:7]
	ds_read_b128 v[6:9], v59 offset:8496
	s_waitcnt lgkmcnt(1)
	v_mul_f64 v[76:77], v[48:49], v[12:13]
	v_mul_f64 v[12:13], v[46:47], v[12:13]
	v_add_f64 v[4:5], v[78:79], v[4:5]
	v_fma_f64 v[76:77], v[46:47], v[10:11], -v[76:77]
	v_fmac_f64_e32 v[12:13], v[48:49], v[10:11]
	v_add_f64 v[76:77], v[2:3], v[76:77]
	v_add_f64 v[78:79], v[4:5], v[12:13]
	v_mul_f64 v[2:3], v[48:49], v[40:41]
	v_mul_f64 v[12:13], v[46:47], v[40:41]
	v_fma_f64 v[10:11], v[46:47], v[38:39], -v[2:3]
	v_fmac_f64_e32 v[12:13], v[48:49], v[38:39]
	ds_read_b128 v[2:5], v57 offset:9728
	v_add_f64 v[38:39], v[68:69], v[10:11]
	v_add_f64 v[40:41], v[70:71], v[12:13]
	ds_read_b128 v[10:13], v57 offset:9984
	;; [unrolled: 61-line block ×7, first 2 shown]
	s_waitcnt lgkmcnt(1)
	v_mul_f64 v[46:47], v[44:45], v[4:5]
	v_fma_f64 v[46:47], v[42:43], v[2:3], -v[46:47]
	v_mul_f64 v[48:49], v[42:43], v[4:5]
	s_waitcnt lgkmcnt(0)
	v_mul_f64 v[68:69], v[44:45], v[12:13]
	v_fma_f64 v[68:69], v[42:43], v[10:11], -v[68:69]
	v_mul_f64 v[42:43], v[42:43], v[12:13]
	v_fmac_f64_e32 v[42:43], v[44:45], v[10:11]
	v_add_f64 v[52:53], v[52:53], v[42:43]
	v_mul_f64 v[42:43], v[8:9], v[4:5]
	v_fma_f64 v[42:43], v[6:7], v[2:3], -v[42:43]
	v_mul_f64 v[4:5], v[6:7], v[4:5]
	v_fmac_f64_e32 v[48:49], v[44:45], v[2:3]
	v_fmac_f64_e32 v[4:5], v[8:9], v[2:3]
	v_add_f64 v[2:3], v[76:77], v[42:43]
	v_mul_f64 v[42:43], v[8:9], v[12:13]
	v_mul_f64 v[44:45], v[6:7], v[12:13]
	v_fma_f64 v[42:43], v[6:7], v[10:11], -v[42:43]
	v_fmac_f64_e32 v[44:45], v[8:9], v[10:11]
	ds_read_b128 v[6:9], v59 offset:480
	ds_read_b128 v[10:13], v57 offset:15360
	v_add_f64 v[50:51], v[50:51], v[68:69]
	v_add_f64 v[68:69], v[38:39], v[42:43]
	;; [unrolled: 1-line block ×3, first 2 shown]
	ds_read_b128 v[38:41], v57 offset:15616
	ds_read_b128 v[42:45], v59 offset:496
	v_add_f64 v[46:47], v[72:73], v[46:47]
	s_waitcnt lgkmcnt(2)
	v_mul_f64 v[72:73], v[8:9], v[12:13]
	v_add_f64 v[48:49], v[74:75], v[48:49]
	v_fma_f64 v[72:73], v[6:7], v[10:11], -v[72:73]
	v_mul_f64 v[74:75], v[6:7], v[12:13]
	v_fmac_f64_e32 v[74:75], v[8:9], v[10:11]
	v_add_f64 v[72:73], v[46:47], v[72:73]
	s_waitcnt lgkmcnt(1)
	v_mul_f64 v[46:47], v[8:9], v[40:41]
	v_add_f64 v[74:75], v[48:49], v[74:75]
	v_fma_f64 v[76:77], v[6:7], v[38:39], -v[46:47]
	ds_read_b128 v[46:49], v59 offset:8672
	v_mul_f64 v[6:7], v[6:7], v[40:41]
	v_fmac_f64_e32 v[6:7], v[8:9], v[38:39]
	v_add_f64 v[4:5], v[78:79], v[4:5]
	v_add_f64 v[76:77], v[50:51], v[76:77]
	;; [unrolled: 1-line block ×3, first 2 shown]
	ds_read_b128 v[6:9], v59 offset:8688
	s_waitcnt lgkmcnt(1)
	v_mul_f64 v[50:51], v[48:49], v[12:13]
	v_fma_f64 v[50:51], v[46:47], v[10:11], -v[50:51]
	v_mul_f64 v[12:13], v[46:47], v[12:13]
	v_fmac_f64_e32 v[12:13], v[48:49], v[10:11]
	v_add_f64 v[80:81], v[2:3], v[50:51]
	v_mul_f64 v[2:3], v[48:49], v[40:41]
	v_add_f64 v[82:83], v[4:5], v[12:13]
	v_fma_f64 v[10:11], v[46:47], v[38:39], -v[2:3]
	v_mul_f64 v[12:13], v[46:47], v[40:41]
	ds_read_b128 v[2:5], v57 offset:15872
	v_fmac_f64_e32 v[12:13], v[48:49], v[38:39]
	v_add_f64 v[38:39], v[68:69], v[10:11]
	v_add_f64 v[68:69], v[70:71], v[12:13]
	ds_read_b128 v[10:13], v57 offset:16128
	s_waitcnt lgkmcnt(1)
	v_mul_f64 v[40:41], v[44:45], v[4:5]
	v_fma_f64 v[40:41], v[42:43], v[2:3], -v[40:41]
	v_mul_f64 v[46:47], v[42:43], v[4:5]
	v_add_f64 v[50:51], v[72:73], v[40:41]
	s_waitcnt lgkmcnt(0)
	v_mul_f64 v[40:41], v[44:45], v[12:13]
	v_fmac_f64_e32 v[46:47], v[44:45], v[2:3]
	v_fma_f64 v[40:41], v[42:43], v[10:11], -v[40:41]
	v_add_f64 v[52:53], v[74:75], v[46:47]
	v_add_f64 v[46:47], v[76:77], v[40:41]
	v_mul_f64 v[40:41], v[8:9], v[4:5]
	v_mul_f64 v[4:5], v[6:7], v[4:5]
	;; [unrolled: 1-line block ×3, first 2 shown]
	v_fmac_f64_e32 v[4:5], v[8:9], v[2:3]
	v_fmac_f64_e32 v[42:43], v[44:45], v[10:11]
	v_fma_f64 v[40:41], v[6:7], v[2:3], -v[40:41]
	v_add_f64 v[44:45], v[82:83], v[4:5]
	v_mul_f64 v[2:3], v[8:9], v[12:13]
	v_mul_f64 v[4:5], v[6:7], v[12:13]
	v_fma_f64 v[2:3], v[6:7], v[10:11], -v[2:3]
	v_fmac_f64_e32 v[4:5], v[8:9], v[10:11]
	v_add_f64 v[48:49], v[78:79], v[42:43]
	v_add_f64 v[42:43], v[80:81], v[40:41]
	;; [unrolled: 1-line block ×4, first 2 shown]
	s_barrier
	s_cbranch_scc1 .LBB116_55
.LBB116_7:                              ;   Parent Loop BB116_4 Depth=1
                                        ; =>  This Inner Loop Header: Depth=2
	v_mov_b32_e32 v2, s27
	v_add_co_u32_e64 v6, s[10:11], s26, v14
	v_addc_co_u32_e64 v7, s[10:11], v15, v2, s[10:11]
	v_mov_b32_e32 v2, s21
	v_add_co_u32_e64 v4, s[10:11], s20, v55
	v_addc_co_u32_e64 v5, s[10:11], v56, v2, s[10:11]
	v_cmp_eq_u64_e64 s[10:11], s[26:27], v[22:23]
	v_cmp_le_i64_e64 s[12:13], s[34:35], v[6:7]
	s_and_b64 s[42:43], s[22:23], s[10:11]
	v_cmp_lt_i64_e64 s[10:11], v[6:7], v[16:17]
	s_or_b64 s[16:17], s[12:13], s[10:11]
	s_or_b64 s[16:17], s[16:17], s[42:43]
	s_or_b64 s[16:17], s[0:1], s[16:17]
	s_xor_b64 s[16:17], s[16:17], -1
	s_and_saveexec_b64 s[38:39], s[16:17]
	s_xor_b64 s[16:17], exec, s[38:39]
	s_cbranch_execz .LBB116_9
; %bb.8:                                ;   in Loop: Header=BB116_7 Depth=2
	global_load_dwordx4 v[8:11], v[4:5], off
	s_waitcnt vmcnt(0)
	v_xor_b32_e32 v11, 0x80000000, v11
	ds_write_b128 v58, v[8:11]
.LBB116_9:                              ;   in Loop: Header=BB116_7 Depth=2
	s_or_saveexec_b64 s[16:17], s[16:17]
	s_xor_b64 s[38:39], s[42:43], -1
	s_xor_b64 exec, exec, s[16:17]
	s_cbranch_execz .LBB116_15
; %bb.10:                               ;   in Loop: Header=BB116_7 Depth=2
	s_and_saveexec_b64 s[44:45], s[38:39]
	s_xor_b64 s[44:45], exec, s[44:45]
	s_cbranch_execz .LBB116_12
; %bb.11:                               ;   in Loop: Header=BB116_7 Depth=2
	v_mov_b32_e32 v8, v0
	v_mov_b32_e32 v9, v0
	;; [unrolled: 1-line block ×4, first 2 shown]
	ds_write_b128 v58, v[8:11]
.LBB116_12:                             ;   in Loop: Header=BB116_7 Depth=2
	s_andn2_saveexec_b64 s[44:45], s[44:45]
	s_cbranch_execz .LBB116_14
; %bb.13:                               ;   in Loop: Header=BB116_7 Depth=2
	v_mov_b32_e32 v2, v0
	v_mov_b32_e32 v3, v0
	ds_write_b128 v58, v[0:3]
.LBB116_14:                             ;   in Loop: Header=BB116_7 Depth=2
	s_or_b64 exec, exec, s[44:45]
.LBB116_15:                             ;   in Loop: Header=BB116_7 Depth=2
	s_or_b64 exec, exec, s[16:17]
	v_cmp_eq_u64_e64 s[16:17], s[26:27], v[24:25]
	s_and_b64 s[44:45], s[22:23], s[16:17]
	v_cmp_gt_i64_e64 s[16:17], v[18:19], v[6:7]
	s_or_b64 s[12:13], s[12:13], s[16:17]
	s_or_b64 s[12:13], s[12:13], s[44:45]
	;; [unrolled: 1-line block ×3, first 2 shown]
	s_xor_b64 s[12:13], s[12:13], -1
	s_and_saveexec_b64 s[16:17], s[12:13]
	s_xor_b64 s[16:17], exec, s[16:17]
	s_cbranch_execz .LBB116_17
; %bb.16:                               ;   in Loop: Header=BB116_7 Depth=2
	v_mov_b32_e32 v3, s21
	v_add_co_u32_e64 v2, s[12:13], s20, v64
	v_addc_co_u32_e64 v3, s[12:13], v65, v3, s[12:13]
	global_load_dwordx4 v[8:11], v[2:3], off
	s_waitcnt vmcnt(0)
	v_xor_b32_e32 v11, 0x80000000, v11
	ds_write_b128 v58, v[8:11] offset:256
.LBB116_17:                             ;   in Loop: Header=BB116_7 Depth=2
	s_andn2_saveexec_b64 s[12:13], s[16:17]
	s_cbranch_execz .LBB116_23
; %bb.18:                               ;   in Loop: Header=BB116_7 Depth=2
	s_xor_b64 s[16:17], s[44:45], -1
	s_and_saveexec_b64 s[44:45], s[16:17]
	s_xor_b64 s[16:17], exec, s[44:45]
	s_cbranch_execz .LBB116_20
; %bb.19:                               ;   in Loop: Header=BB116_7 Depth=2
	v_mov_b32_e32 v8, v0
	v_mov_b32_e32 v9, v0
	;; [unrolled: 1-line block ×4, first 2 shown]
	ds_write_b128 v58, v[8:11] offset:256
.LBB116_20:                             ;   in Loop: Header=BB116_7 Depth=2
	s_andn2_saveexec_b64 s[16:17], s[16:17]
	s_cbranch_execz .LBB116_22
; %bb.21:                               ;   in Loop: Header=BB116_7 Depth=2
	v_mov_b32_e32 v2, v0
	v_mov_b32_e32 v3, v0
	ds_write_b128 v58, v[0:3] offset:256
.LBB116_22:                             ;   in Loop: Header=BB116_7 Depth=2
	s_or_b64 exec, exec, s[16:17]
.LBB116_23:                             ;   in Loop: Header=BB116_7 Depth=2
	s_or_b64 exec, exec, s[12:13]
	v_add_co_u32_e64 v2, s[12:13], 16, v6
	v_addc_co_u32_e64 v3, s[12:13], 0, v7, s[12:13]
	v_cmp_eq_u64_e64 s[16:17], s[26:27], v[26:27]
	v_cmp_le_i64_e64 s[12:13], s[34:35], v[2:3]
	s_and_b64 s[44:45], s[22:23], s[16:17]
	v_cmp_lt_i64_e64 s[16:17], v[2:3], v[16:17]
	s_or_b64 s[16:17], s[12:13], s[16:17]
	s_or_b64 s[16:17], s[16:17], s[44:45]
	s_or_b64 s[16:17], s[0:1], s[16:17]
	s_xor_b64 s[16:17], s[16:17], -1
	s_and_saveexec_b64 s[54:55], s[16:17]
	s_xor_b64 s[16:17], exec, s[54:55]
	s_cbranch_execz .LBB116_25
; %bb.24:                               ;   in Loop: Header=BB116_7 Depth=2
	global_load_dwordx4 v[2:5], v[4:5], off offset:256
	s_waitcnt vmcnt(0)
	v_xor_b32_e32 v5, 0x80000000, v5
	ds_write_b128 v58, v[2:5] offset:8192
.LBB116_25:                             ;   in Loop: Header=BB116_7 Depth=2
	s_andn2_saveexec_b64 s[16:17], s[16:17]
	s_cbranch_execz .LBB116_31
; %bb.26:                               ;   in Loop: Header=BB116_7 Depth=2
	s_xor_b64 s[44:45], s[44:45], -1
	s_and_saveexec_b64 s[54:55], s[44:45]
	s_xor_b64 s[44:45], exec, s[54:55]
	s_cbranch_execz .LBB116_28
; %bb.27:                               ;   in Loop: Header=BB116_7 Depth=2
	v_mov_b32_e32 v2, v0
	v_mov_b32_e32 v3, v0
	;; [unrolled: 1-line block ×4, first 2 shown]
	ds_write_b128 v58, v[2:5] offset:8192
.LBB116_28:                             ;   in Loop: Header=BB116_7 Depth=2
	s_andn2_saveexec_b64 s[44:45], s[44:45]
	s_cbranch_execz .LBB116_30
; %bb.29:                               ;   in Loop: Header=BB116_7 Depth=2
	v_mov_b32_e32 v2, v0
	v_mov_b32_e32 v3, v0
	ds_write_b128 v58, v[0:3] offset:8192
.LBB116_30:                             ;   in Loop: Header=BB116_7 Depth=2
	s_or_b64 exec, exec, s[44:45]
.LBB116_31:                             ;   in Loop: Header=BB116_7 Depth=2
	s_or_b64 exec, exec, s[16:17]
	s_or_b64 s[10:11], s[12:13], s[10:11]
	s_or_b64 s[10:11], s[10:11], s[42:43]
	;; [unrolled: 1-line block ×3, first 2 shown]
	s_xor_b64 s[10:11], s[10:11], -1
	s_and_saveexec_b64 s[12:13], s[10:11]
	s_xor_b64 s[12:13], exec, s[12:13]
	s_cbranch_execz .LBB116_33
; %bb.32:                               ;   in Loop: Header=BB116_7 Depth=2
	v_mov_b32_e32 v3, s21
	v_add_co_u32_e64 v2, s[10:11], s20, v64
	v_addc_co_u32_e64 v3, s[10:11], v65, v3, s[10:11]
	global_load_dwordx4 v[2:5], v[2:3], off offset:256
	s_waitcnt vmcnt(0)
	v_xor_b32_e32 v5, 0x80000000, v5
	ds_write_b128 v58, v[2:5] offset:8448
.LBB116_33:                             ;   in Loop: Header=BB116_7 Depth=2
	s_andn2_saveexec_b64 s[10:11], s[12:13]
	s_cbranch_execz .LBB116_39
; %bb.34:                               ;   in Loop: Header=BB116_7 Depth=2
	s_and_saveexec_b64 s[12:13], s[38:39]
	s_xor_b64 s[12:13], exec, s[12:13]
	s_cbranch_execz .LBB116_36
; %bb.35:                               ;   in Loop: Header=BB116_7 Depth=2
	v_mov_b32_e32 v2, v0
	v_mov_b32_e32 v3, v0
	;; [unrolled: 1-line block ×4, first 2 shown]
	ds_write_b128 v58, v[2:5] offset:8448
.LBB116_36:                             ;   in Loop: Header=BB116_7 Depth=2
	s_andn2_saveexec_b64 s[12:13], s[12:13]
	s_cbranch_execz .LBB116_38
; %bb.37:                               ;   in Loop: Header=BB116_7 Depth=2
	v_mov_b32_e32 v2, v0
	v_mov_b32_e32 v3, v0
	ds_write_b128 v58, v[0:3] offset:8448
.LBB116_38:                             ;   in Loop: Header=BB116_7 Depth=2
	s_or_b64 exec, exec, s[12:13]
.LBB116_39:                             ;   in Loop: Header=BB116_7 Depth=2
	s_or_b64 exec, exec, s[10:11]
	v_mov_b32_e32 v3, s27
	v_add_co_u32_e64 v2, s[10:11], s26, v16
	v_addc_co_u32_e64 v3, s[10:11], v17, v3, s[10:11]
	v_cmp_gt_i64_e64 s[10:11], s[34:35], v[2:3]
	s_and_b64 s[12:13], vcc, s[10:11]
	s_xor_b64 s[12:13], s[12:13], -1
	s_and_saveexec_b64 s[16:17], s[12:13]
	s_xor_b64 s[12:13], exec, s[16:17]
	s_cbranch_execz .LBB116_41
; %bb.40:                               ;   in Loop: Header=BB116_7 Depth=2
	v_mov_b32_e32 v4, v0
	v_mov_b32_e32 v5, v0
	;; [unrolled: 1-line block ×4, first 2 shown]
	ds_write_b128 v60, v[4:7]
.LBB116_41:                             ;   in Loop: Header=BB116_7 Depth=2
	s_or_saveexec_b64 s[16:17], s[12:13]
	v_mov_b32_e32 v5, s21
	v_add_co_u32_e64 v4, s[12:13], s20, v34
	v_addc_co_u32_e64 v5, s[12:13], v35, v5, s[12:13]
	s_xor_b64 exec, exec, s[16:17]
	s_cbranch_execz .LBB116_43
; %bb.42:                               ;   in Loop: Header=BB116_7 Depth=2
	global_load_dwordx4 v[6:9], v[4:5], off offset:-256
	s_waitcnt vmcnt(0)
	ds_write2_b64 v60, v[6:7], v[8:9] offset1:1
.LBB116_43:                             ;   in Loop: Header=BB116_7 Depth=2
	s_or_b64 exec, exec, s[16:17]
	v_cmp_gt_i64_e64 s[12:13], s[40:41], v[2:3]
	s_and_b64 s[16:17], vcc, s[12:13]
	s_xor_b64 s[16:17], s[16:17], -1
	s_and_saveexec_b64 s[38:39], s[16:17]
	s_xor_b64 s[16:17], exec, s[38:39]
	s_cbranch_execz .LBB116_45
; %bb.44:                               ;   in Loop: Header=BB116_7 Depth=2
	v_mov_b32_e32 v2, v0
	v_mov_b32_e32 v3, v0
	;; [unrolled: 1-line block ×4, first 2 shown]
	ds_write_b128 v61, v[2:5]
                                        ; implicit-def: $vgpr4_vgpr5
.LBB116_45:                             ;   in Loop: Header=BB116_7 Depth=2
	s_andn2_saveexec_b64 s[16:17], s[16:17]
	s_cbranch_execz .LBB116_47
; %bb.46:                               ;   in Loop: Header=BB116_7 Depth=2
	global_load_dwordx4 v[2:5], v[4:5], off
	s_waitcnt vmcnt(0)
	ds_write2_b64 v61, v[2:3], v[4:5] offset1:1
.LBB116_47:                             ;   in Loop: Header=BB116_7 Depth=2
	s_or_b64 exec, exec, s[16:17]
	s_and_b64 s[10:11], s[8:9], s[10:11]
	s_xor_b64 s[10:11], s[10:11], -1
	s_and_saveexec_b64 s[16:17], s[10:11]
	s_xor_b64 s[10:11], exec, s[16:17]
	s_cbranch_execz .LBB116_49
; %bb.48:                               ;   in Loop: Header=BB116_7 Depth=2
	v_mov_b32_e32 v2, v0
	v_mov_b32_e32 v3, v0
	;; [unrolled: 1-line block ×4, first 2 shown]
	ds_write_b128 v62, v[2:5]
.LBB116_49:                             ;   in Loop: Header=BB116_7 Depth=2
	s_andn2_saveexec_b64 s[16:17], s[10:11]
	s_cbranch_execz .LBB116_51
; %bb.50:                               ;   in Loop: Header=BB116_7 Depth=2
	v_mov_b32_e32 v3, s21
	v_add_co_u32_e64 v2, s[10:11], s20, v36
	v_addc_co_u32_e64 v3, s[10:11], v37, v3, s[10:11]
	global_load_dwordx4 v[2:5], v[2:3], off offset:-256
	s_waitcnt vmcnt(0)
	ds_write2_b64 v62, v[2:3], v[4:5] offset1:1
.LBB116_51:                             ;   in Loop: Header=BB116_7 Depth=2
	s_or_b64 exec, exec, s[16:17]
	s_and_b64 s[10:11], s[8:9], s[12:13]
	s_xor_b64 s[10:11], s[10:11], -1
	s_and_saveexec_b64 s[12:13], s[10:11]
	s_xor_b64 s[10:11], exec, s[12:13]
	s_cbranch_execz .LBB116_53
; %bb.52:                               ;   in Loop: Header=BB116_7 Depth=2
	v_mov_b32_e32 v2, v0
	v_mov_b32_e32 v3, v0
	;; [unrolled: 1-line block ×4, first 2 shown]
	ds_write_b128 v63, v[2:5]
.LBB116_53:                             ;   in Loop: Header=BB116_7 Depth=2
	s_andn2_saveexec_b64 s[12:13], s[10:11]
	s_cbranch_execz .LBB116_6
; %bb.54:                               ;   in Loop: Header=BB116_7 Depth=2
	v_mov_b32_e32 v3, s21
	v_add_co_u32_e64 v2, s[10:11], s20, v36
	v_addc_co_u32_e64 v3, s[10:11], v37, v3, s[10:11]
	global_load_dwordx4 v[2:5], v[2:3], off
	s_waitcnt vmcnt(0)
	ds_write2_b64 v63, v[2:3], v[4:5] offset1:1
	s_branch .LBB116_6
.LBB116_55:                             ;   in Loop: Header=BB116_4 Depth=1
	v_mul_lo_u32 v4, v67, s48
	v_mul_lo_u32 v5, v66, s49
	v_mad_u64_u32 v[2:3], s[8:9], v66, s48, 0
	v_add3_u32 v3, v3, v5, v4
	v_lshlrev_b64 v[2:3], 4, v[2:3]
	v_mov_b32_e32 v4, s51
	v_add_co_u32_e64 v2, s[8:9], s50, v2
	v_cmp_gt_i32_e32 vcc, s46, v66
	v_addc_co_u32_e64 v3, s[8:9], v4, v3, s[8:9]
	s_and_b64 s[8:9], s[4:5], vcc
	s_and_saveexec_b64 s[10:11], s[8:9]
	s_cbranch_execz .LBB116_57
; %bb.56:                               ;   in Loop: Header=BB116_4 Depth=1
	v_add_co_u32_e64 v8, s[8:9], v2, v28
	v_addc_co_u32_e64 v9, s[8:9], v3, v29, s[8:9]
	global_load_dwordx4 v[4:7], v[8:9], off
	v_mul_f64 v[10:11], s[30:31], v[52:53]
	v_mul_f64 v[12:13], s[28:29], v[52:53]
	v_fma_f64 v[10:11], s[28:29], v[50:51], -v[10:11]
	v_fmac_f64_e32 v[12:13], s[30:31], v[50:51]
	s_waitcnt vmcnt(0)
	v_add_f64 v[4:5], v[4:5], v[10:11]
	v_add_f64 v[6:7], v[6:7], v[12:13]
	global_store_dwordx4 v[8:9], v[4:7], off
.LBB116_57:                             ;   in Loop: Header=BB116_4 Depth=1
	s_or_b64 exec, exec, s[10:11]
	s_and_b64 s[10:11], s[14:15], vcc
	s_and_saveexec_b64 s[8:9], s[10:11]
	s_cbranch_execz .LBB116_59
; %bb.58:                               ;   in Loop: Header=BB116_4 Depth=1
	v_lshlrev_b64 v[4:5], 4, v[20:21]
	v_add_co_u32_e32 v6, vcc, v2, v4
	v_addc_co_u32_e32 v7, vcc, v3, v5, vcc
	global_load_dwordx4 v[2:5], v[6:7], off
	v_mul_f64 v[8:9], s[30:31], v[48:49]
	v_mul_f64 v[10:11], s[28:29], v[48:49]
	v_fma_f64 v[8:9], s[28:29], v[46:47], -v[8:9]
	v_fmac_f64_e32 v[10:11], s[30:31], v[46:47]
	s_waitcnt vmcnt(0)
	v_add_f64 v[2:3], v[2:3], v[8:9]
	v_add_f64 v[4:5], v[4:5], v[10:11]
	global_store_dwordx4 v[6:7], v[2:5], off
.LBB116_59:                             ;   in Loop: Header=BB116_4 Depth=1
	s_or_b64 exec, exec, s[8:9]
	v_add_u32_e32 v2, 16, v66
	v_ashrrev_i32_e32 v3, 31, v2
	v_cmp_gt_i32_e32 vcc, s46, v2
	v_mul_lo_u32 v4, v3, s48
	v_mul_lo_u32 v5, v2, s49
	v_mad_u64_u32 v[2:3], s[8:9], v2, s48, 0
	v_add3_u32 v3, v3, v5, v4
	v_lshlrev_b64 v[2:3], 4, v[2:3]
	v_mov_b32_e32 v4, s51
	v_add_co_u32_e64 v2, s[8:9], s50, v2
	v_addc_co_u32_e64 v3, s[8:9], v4, v3, s[8:9]
	s_and_b64 s[8:9], s[4:5], vcc
	s_and_saveexec_b64 s[10:11], s[8:9]
	s_cbranch_execz .LBB116_61
; %bb.60:                               ;   in Loop: Header=BB116_4 Depth=1
	v_add_co_u32_e64 v8, s[8:9], v2, v28
	v_addc_co_u32_e64 v9, s[8:9], v3, v29, s[8:9]
	global_load_dwordx4 v[4:7], v[8:9], off
	v_mul_f64 v[10:11], s[30:31], v[44:45]
	v_mul_f64 v[12:13], s[28:29], v[44:45]
	v_fma_f64 v[10:11], s[28:29], v[42:43], -v[10:11]
	v_fmac_f64_e32 v[12:13], s[30:31], v[42:43]
	s_waitcnt vmcnt(0)
	v_add_f64 v[4:5], v[4:5], v[10:11]
	v_add_f64 v[6:7], v[6:7], v[12:13]
	global_store_dwordx4 v[8:9], v[4:7], off
.LBB116_61:                             ;   in Loop: Header=BB116_4 Depth=1
	s_or_b64 exec, exec, s[10:11]
	s_and_b64 s[10:11], s[14:15], vcc
	s_and_saveexec_b64 s[8:9], s[10:11]
	s_cbranch_execz .LBB116_3
; %bb.62:                               ;   in Loop: Header=BB116_4 Depth=1
	v_lshlrev_b64 v[4:5], 4, v[20:21]
	v_add_co_u32_e32 v6, vcc, v2, v4
	v_addc_co_u32_e32 v7, vcc, v3, v5, vcc
	global_load_dwordx4 v[2:5], v[6:7], off
	v_mul_f64 v[8:9], s[30:31], v[38:39]
	v_mul_f64 v[10:11], s[28:29], v[38:39]
	v_fma_f64 v[8:9], s[28:29], v[40:41], -v[8:9]
	v_fmac_f64_e32 v[10:11], s[30:31], v[40:41]
	s_waitcnt vmcnt(0)
	v_add_f64 v[2:3], v[2:3], v[8:9]
	v_add_f64 v[4:5], v[4:5], v[10:11]
	global_store_dwordx4 v[6:7], v[2:5], off
	s_branch .LBB116_3
.LBB116_63:
	s_endpgm
	.section	.rodata,"a",@progbits
	.p2align	6, 0x0
	.amdhsa_kernel _ZL30rocblas_trmm_outofplace_kernelI19rocblas_complex_numIdELi32ELi2ELb1ELb0ELb1ELb1EPKS1_S2_S1_Ev17rocblas_diagonal_iiT6_lPT7_lllS7_lllPT8_llli
		.amdhsa_group_segment_fixed_size 32768
		.amdhsa_private_segment_fixed_size 0
		.amdhsa_kernarg_size 392
		.amdhsa_user_sgpr_count 6
		.amdhsa_user_sgpr_private_segment_buffer 1
		.amdhsa_user_sgpr_dispatch_ptr 0
		.amdhsa_user_sgpr_queue_ptr 0
		.amdhsa_user_sgpr_kernarg_segment_ptr 1
		.amdhsa_user_sgpr_dispatch_id 0
		.amdhsa_user_sgpr_flat_scratch_init 0
		.amdhsa_user_sgpr_kernarg_preload_length 0
		.amdhsa_user_sgpr_kernarg_preload_offset 0
		.amdhsa_user_sgpr_private_segment_size 0
		.amdhsa_uses_dynamic_stack 0
		.amdhsa_system_sgpr_private_segment_wavefront_offset 0
		.amdhsa_system_sgpr_workgroup_id_x 1
		.amdhsa_system_sgpr_workgroup_id_y 1
		.amdhsa_system_sgpr_workgroup_id_z 1
		.amdhsa_system_sgpr_workgroup_info 0
		.amdhsa_system_vgpr_workitem_id 1
		.amdhsa_next_free_vgpr 86
		.amdhsa_next_free_sgpr 56
		.amdhsa_accum_offset 88
		.amdhsa_reserve_vcc 1
		.amdhsa_reserve_flat_scratch 0
		.amdhsa_float_round_mode_32 0
		.amdhsa_float_round_mode_16_64 0
		.amdhsa_float_denorm_mode_32 3
		.amdhsa_float_denorm_mode_16_64 3
		.amdhsa_dx10_clamp 1
		.amdhsa_ieee_mode 1
		.amdhsa_fp16_overflow 0
		.amdhsa_tg_split 0
		.amdhsa_exception_fp_ieee_invalid_op 0
		.amdhsa_exception_fp_denorm_src 0
		.amdhsa_exception_fp_ieee_div_zero 0
		.amdhsa_exception_fp_ieee_overflow 0
		.amdhsa_exception_fp_ieee_underflow 0
		.amdhsa_exception_fp_ieee_inexact 0
		.amdhsa_exception_int_div_zero 0
	.end_amdhsa_kernel
	.section	.text._ZL30rocblas_trmm_outofplace_kernelI19rocblas_complex_numIdELi32ELi2ELb1ELb0ELb1ELb1EPKS1_S2_S1_Ev17rocblas_diagonal_iiT6_lPT7_lllS7_lllPT8_llli,"axG",@progbits,_ZL30rocblas_trmm_outofplace_kernelI19rocblas_complex_numIdELi32ELi2ELb1ELb0ELb1ELb1EPKS1_S2_S1_Ev17rocblas_diagonal_iiT6_lPT7_lllS7_lllPT8_llli,comdat
.Lfunc_end116:
	.size	_ZL30rocblas_trmm_outofplace_kernelI19rocblas_complex_numIdELi32ELi2ELb1ELb0ELb1ELb1EPKS1_S2_S1_Ev17rocblas_diagonal_iiT6_lPT7_lllS7_lllPT8_llli, .Lfunc_end116-_ZL30rocblas_trmm_outofplace_kernelI19rocblas_complex_numIdELi32ELi2ELb1ELb0ELb1ELb1EPKS1_S2_S1_Ev17rocblas_diagonal_iiT6_lPT7_lllS7_lllPT8_llli
                                        ; -- End function
	.section	.AMDGPU.csdata,"",@progbits
; Kernel info:
; codeLenInByte = 9620
; NumSgprs: 60
; NumVgprs: 86
; NumAgprs: 0
; TotalNumVgprs: 86
; ScratchSize: 0
; MemoryBound: 0
; FloatMode: 240
; IeeeMode: 1
; LDSByteSize: 32768 bytes/workgroup (compile time only)
; SGPRBlocks: 7
; VGPRBlocks: 10
; NumSGPRsForWavesPerEU: 60
; NumVGPRsForWavesPerEU: 86
; AccumOffset: 88
; Occupancy: 5
; WaveLimiterHint : 0
; COMPUTE_PGM_RSRC2:SCRATCH_EN: 0
; COMPUTE_PGM_RSRC2:USER_SGPR: 6
; COMPUTE_PGM_RSRC2:TRAP_HANDLER: 0
; COMPUTE_PGM_RSRC2:TGID_X_EN: 1
; COMPUTE_PGM_RSRC2:TGID_Y_EN: 1
; COMPUTE_PGM_RSRC2:TGID_Z_EN: 1
; COMPUTE_PGM_RSRC2:TIDIG_COMP_CNT: 1
; COMPUTE_PGM_RSRC3_GFX90A:ACCUM_OFFSET: 21
; COMPUTE_PGM_RSRC3_GFX90A:TG_SPLIT: 0
	.section	.text._ZL30rocblas_trmm_outofplace_kernelI19rocblas_complex_numIdELi32ELi2ELb1ELb0ELb1ELb1ES1_KS1_S1_Ev17rocblas_diagonal_iiT6_lPT7_lllS6_lllPT8_llli,"axG",@progbits,_ZL30rocblas_trmm_outofplace_kernelI19rocblas_complex_numIdELi32ELi2ELb1ELb0ELb1ELb1ES1_KS1_S1_Ev17rocblas_diagonal_iiT6_lPT7_lllS6_lllPT8_llli,comdat
	.globl	_ZL30rocblas_trmm_outofplace_kernelI19rocblas_complex_numIdELi32ELi2ELb1ELb0ELb1ELb1ES1_KS1_S1_Ev17rocblas_diagonal_iiT6_lPT7_lllS6_lllPT8_llli ; -- Begin function _ZL30rocblas_trmm_outofplace_kernelI19rocblas_complex_numIdELi32ELi2ELb1ELb0ELb1ELb1ES1_KS1_S1_Ev17rocblas_diagonal_iiT6_lPT7_lllS6_lllPT8_llli
	.p2align	8
	.type	_ZL30rocblas_trmm_outofplace_kernelI19rocblas_complex_numIdELi32ELi2ELb1ELb0ELb1ELb1ES1_KS1_S1_Ev17rocblas_diagonal_iiT6_lPT7_lllS6_lllPT8_llli,@function
_ZL30rocblas_trmm_outofplace_kernelI19rocblas_complex_numIdELi32ELi2ELb1ELb0ELb1ELb1ES1_KS1_S1_Ev17rocblas_diagonal_iiT6_lPT7_lllS6_lllPT8_llli: ; @_ZL30rocblas_trmm_outofplace_kernelI19rocblas_complex_numIdELi32ELi2ELb1ELb0ELb1ELb1ES1_KS1_S1_Ev17rocblas_diagonal_iiT6_lPT7_lllS6_lllPT8_llli
; %bb.0:
	s_load_dwordx4 s[28:31], s[4:5], 0x10
	s_waitcnt lgkmcnt(0)
	v_cmp_eq_f64_e64 s[0:1], s[28:29], 0
	v_cmp_eq_f64_e64 s[2:3], s[30:31], 0
	s_and_b64 s[0:1], s[0:1], s[2:3]
	s_and_b64 vcc, exec, s[0:1]
	s_cbranch_vccnz .LBB117_63
; %bb.1:
	s_load_dwordx4 s[44:47], s[4:5], 0x0
	s_waitcnt lgkmcnt(0)
	s_add_i32 s0, s46, -1
	s_ashr_i32 s1, s0, 31
	s_lshr_b32 s1, s1, 27
	s_add_i32 s0, s0, s1
	s_ashr_i32 s33, s0, 5
	s_cmp_gt_i32 s7, s33
	s_cbranch_scc1 .LBB117_63
; %bb.2:
	s_load_dwordx16 s[12:27], s[4:5], 0x28
	s_load_dwordx8 s[36:43], s[4:5], 0x68
	v_and_b32_e32 v2, 0x3ff, v0
	v_bfe_u32 v54, v0, 10, 10
	s_load_dword s52, s[4:5], 0x94
	s_waitcnt lgkmcnt(0)
	s_mul_i32 s1, s8, s19
	s_mul_hi_u32 s2, s8, s18
	s_mul_i32 s0, s8, s18
	s_add_i32 s1, s2, s1
	s_lshl_b64 s[10:11], s[0:1], 4
	s_add_u32 s0, s12, s10
	s_addc_u32 s1, s13, s11
	s_lshl_b64 s[48:49], s[14:15], 4
	s_add_u32 s2, s0, s48
	s_addc_u32 s3, s1, s49
	s_mul_i32 s0, s8, s43
	s_mul_hi_u32 s1, s8, s42
	s_add_i32 s1, s1, s0
	s_mul_i32 s0, s8, s42
	s_lshl_b64 s[0:1], s[0:1], 4
	s_add_u32 s9, s36, s0
	s_addc_u32 s14, s37, s1
	s_lshl_b64 s[0:1], s[38:39], 4
	s_add_u32 s47, s9, s0
	s_addc_u32 s50, s14, s1
	s_lshl_b32 s6, s6, 5
	v_add_u32_e32 v16, s6, v2
	v_ashrrev_i32_e32 v17, 31, v16
	v_mul_lo_u32 v3, v17, s16
	v_mul_lo_u32 v4, v16, s17
	v_mad_u64_u32 v[0:1], s[0:1], v16, s16, 0
	v_add3_u32 v1, v1, v4, v3
	v_add_u32_e32 v14, s6, v54
	v_lshlrev_b64 v[0:1], 4, v[0:1]
	v_ashrrev_i32_e32 v15, 31, v14
	v_mov_b32_e32 v3, s3
	v_add_co_u32_e32 v4, vcc, s2, v0
	v_addc_co_u32_e32 v3, vcc, v3, v1, vcc
	v_lshlrev_b64 v[0:1], 4, v[14:15]
	v_add_co_u32_e32 v55, vcc, v4, v0
	v_addc_co_u32_e32 v56, vcc, v3, v1, vcc
	s_sub_i32 s6, s45, s6
	s_cmp_gt_i32 s6, 0
	v_add_co_u32_e32 v18, vcc, 16, v16
	s_cselect_b64 s[18:19], -1, 0
	s_cmpk_eq_i32 s44, 0x84
	v_addc_co_u32_e32 v19, vcc, 0, v17, vcc
	s_cselect_b64 s[34:35], -1, 0
	s_ashr_i32 s37, s45, 31
	s_ashr_i32 s51, s46, 31
	v_sub_co_u32_e32 v22, vcc, v16, v14
	s_add_u32 s38, s45, -16
	v_subb_co_u32_e32 v23, vcc, v17, v15, vcc
	s_mul_i32 s9, s27, s8
	s_mul_hi_u32 s27, s26, s8
	s_addc_u32 s39, s37, -1
	v_add_co_u32_e32 v24, vcc, 16, v22
	s_add_i32 s9, s27, s9
	s_mul_i32 s8, s26, s8
	v_addc_co_u32_e32 v25, vcc, 0, v23, vcc
	s_lshl_b64 s[8:9], s[8:9], 4
	s_lshl_b64 s[22:23], s[22:23], 4
	v_add_co_u32_e32 v26, vcc, -16, v22
	s_add_u32 s8, s8, s22
	s_movk_i32 s42, 0x100
	v_addc_co_u32_e32 v27, vcc, -1, v23, vcc
	s_addc_u32 s9, s9, s23
	v_lshlrev_b64 v[28:29], 4, v[16:17]
	s_add_u32 s8, s20, s8
	v_add_co_u32_e32 v4, vcc, s42, v28
	v_lshlrev_b32_e32 v57, 4, v2
	s_addc_u32 s9, s21, s9
	v_addc_co_u32_e32 v2, vcc, 0, v29, vcc
	s_lshl_b64 s[20:21], s[24:25], 4
	s_lshl_b32 s53, s52, 5
	v_lshlrev_b32_e32 v3, 9, v54
	v_add_co_u32_e32 v30, vcc, s8, v4
	s_add_u32 s8, s48, s10
	v_add_u32_e32 v58, v57, v3
	v_add_u32_e32 v59, 0x4000, v3
	v_mov_b32_e32 v3, s9
	s_addc_u32 s9, s49, s11
	v_addc_co_u32_e32 v31, vcc, v2, v3, vcc
	v_mul_lo_u32 v5, s16, v2
	v_pk_mov_b32 v[2:3], s[8:9], s[8:9] op_sel:[0,1]
	v_mul_lo_u32 v6, s17, v4
	v_mad_u64_u32 v[2:3], s[8:9], s16, v4, v[2:3]
	v_add3_u32 v3, v6, v3, v5
	v_add_co_u32_e32 v0, vcc, v2, v0
	v_addc_co_u32_e32 v1, vcc, v3, v1, vcc
	s_mov_b32 s36, s45
	v_add_u32_e32 v60, v59, v57
	v_add_u32_e32 v20, 16, v16
	v_mov_b32_e32 v2, s13
	v_add_co_u32_e32 v64, vcc, s12, v0
	v_cmp_le_i32_e64 s[0:1], s45, v16
	v_cmp_le_i64_e64 s[2:3], s[36:37], v[18:19]
	v_add_u32_e32 v61, 0x100, v60
	v_add_u32_e32 v62, 0x2000, v60
	;; [unrolled: 1-line block ×3, first 2 shown]
	v_cmp_gt_i32_e64 s[4:5], s45, v16
	v_cmp_gt_i32_e64 s[14:15], s45, v20
	v_ashrrev_i32_e32 v21, 31, v20
	v_lshl_add_u32 v32, s7, 5, v54
	v_addc_co_u32_e32 v65, vcc, v2, v1, vcc
	v_mov_b32_e32 v0, 0
	v_mov_b32_e32 v1, 0x3ff00000
	s_branch .LBB117_4
.LBB117_3:                              ;   in Loop: Header=BB117_4 Depth=1
	s_or_b64 exec, exec, s[8:9]
	s_add_i32 s7, s52, s7
	s_cmp_le_i32 s7, s33
	v_add_u32_e32 v32, s53, v32
	s_cbranch_scc0 .LBB117_63
.LBB117_4:                              ; =>This Loop Header: Depth=1
                                        ;     Child Loop BB117_7 Depth 2
	v_lshl_add_u32 v66, s7, 5, v54
	v_pk_mov_b32 v[50:51], 0, 0
	v_ashrrev_i32_e32 v67, 31, v66
	s_mov_b64 s[22:23], 0
	s_andn2_b64 vcc, exec, s[18:19]
	v_pk_mov_b32 v[52:53], v[50:51], v[50:51] op_sel:[0,1]
	v_pk_mov_b32 v[46:47], v[50:51], v[50:51] op_sel:[0,1]
	v_pk_mov_b32 v[48:49], v[50:51], v[50:51] op_sel:[0,1]
	v_pk_mov_b32 v[42:43], v[50:51], v[50:51] op_sel:[0,1]
	v_pk_mov_b32 v[44:45], v[50:51], v[50:51] op_sel:[0,1]
	v_pk_mov_b32 v[40:41], v[50:51], v[50:51] op_sel:[0,1]
	v_pk_mov_b32 v[38:39], v[50:51], v[50:51] op_sel:[0,1]
	s_cbranch_vccnz .LBB117_55
; %bb.5:                                ;   in Loop: Header=BB117_4 Depth=1
	v_ashrrev_i32_e32 v33, 31, v32
	v_mad_u64_u32 v[34:35], s[8:9], s20, v32, v[30:31]
	v_mul_lo_u32 v2, s21, v32
	v_mul_lo_u32 v3, s20, v33
	v_add3_u32 v35, v2, v35, v3
	v_lshlrev_b64 v[2:3], 4, v[32:33]
	v_add_co_u32_e32 v2, vcc, 0x100, v2
	v_addc_co_u32_e32 v3, vcc, 0, v3, vcc
	v_mul_lo_u32 v3, s24, v3
	v_mul_lo_u32 v4, s25, v2
	v_mad_u64_u32 v[36:37], s[8:9], s24, v2, v[30:31]
	v_add3_u32 v37, v4, v37, v3
	v_mov_b32_e32 v3, s51
	v_sub_co_u32_e32 v2, vcc, s46, v66
	v_subb_co_u32_e32 v3, vcc, v3, v67, vcc
	v_pk_mov_b32 v[38:39], 0, 0
	v_cmp_lt_i64_e32 vcc, 0, v[2:3]
	v_cmp_lt_i64_e64 s[8:9], 16, v[2:3]
	s_mov_b64 s[26:27], 0
	v_pk_mov_b32 v[40:41], v[38:39], v[38:39] op_sel:[0,1]
	v_pk_mov_b32 v[44:45], v[38:39], v[38:39] op_sel:[0,1]
	;; [unrolled: 1-line block ×7, first 2 shown]
	s_branch .LBB117_7
.LBB117_6:                              ;   in Loop: Header=BB117_7 Depth=2
	s_or_b64 exec, exec, s[12:13]
	s_waitcnt lgkmcnt(0)
	s_barrier
	ds_read_b128 v[68:71], v57
	ds_read_b128 v[72:75], v59
	ds_read_b128 v[10:13], v59 offset:16
	ds_read_b128 v[6:9], v59 offset:32
	;; [unrolled: 1-line block ×4, first 2 shown]
	s_waitcnt lgkmcnt(4)
	v_mul_f64 v[80:81], v[74:75], v[70:71]
	v_fma_f64 v[80:81], v[72:73], v[68:69], -v[80:81]
	v_mul_f64 v[82:83], v[72:73], v[70:71]
	v_fmac_f64_e32 v[82:83], v[74:75], v[68:69]
	v_add_f64 v[80:81], v[50:51], v[80:81]
	s_waitcnt lgkmcnt(0)
	v_mul_f64 v[50:51], v[74:75], v[78:79]
	v_add_f64 v[82:83], v[52:53], v[82:83]
	v_fma_f64 v[84:85], v[72:73], v[76:77], -v[50:51]
	ds_read_b128 v[50:53], v59 offset:8192
	v_mul_f64 v[72:73], v[72:73], v[78:79]
	v_fmac_f64_e32 v[72:73], v[74:75], v[76:77]
	v_add_f64 v[74:75], v[46:47], v[84:85]
	v_add_f64 v[72:73], v[48:49], v[72:73]
	ds_read_b128 v[46:49], v59 offset:8208
	s_waitcnt lgkmcnt(1)
	v_mul_f64 v[84:85], v[52:53], v[70:71]
	v_fma_f64 v[84:85], v[50:51], v[68:69], -v[84:85]
	v_mul_f64 v[70:71], v[50:51], v[70:71]
	v_fmac_f64_e32 v[70:71], v[52:53], v[68:69]
	v_add_f64 v[68:69], v[42:43], v[84:85]
	v_mul_f64 v[42:43], v[52:53], v[78:79]
	v_add_f64 v[70:71], v[44:45], v[70:71]
	v_fma_f64 v[84:85], v[50:51], v[76:77], -v[42:43]
	v_mul_f64 v[50:51], v[50:51], v[78:79]
	ds_read_b128 v[42:45], v57 offset:512
	v_fmac_f64_e32 v[50:51], v[52:53], v[76:77]
	v_add_f64 v[52:53], v[40:41], v[84:85]
	v_add_f64 v[50:51], v[38:39], v[50:51]
	ds_read_b128 v[38:41], v57 offset:768
	s_waitcnt lgkmcnt(1)
	v_mul_f64 v[76:77], v[12:13], v[44:45]
	v_fma_f64 v[76:77], v[10:11], v[42:43], -v[76:77]
	v_add_f64 v[76:77], v[80:81], v[76:77]
	v_mul_f64 v[78:79], v[10:11], v[44:45]
	s_waitcnt lgkmcnt(0)
	v_mul_f64 v[80:81], v[12:13], v[40:41]
	v_fma_f64 v[80:81], v[10:11], v[38:39], -v[80:81]
	v_mul_f64 v[10:11], v[10:11], v[40:41]
	v_fmac_f64_e32 v[10:11], v[12:13], v[38:39]
	v_fmac_f64_e32 v[78:79], v[12:13], v[42:43]
	v_add_f64 v[72:73], v[72:73], v[10:11]
	v_mul_f64 v[10:11], v[48:49], v[44:45]
	v_mul_f64 v[12:13], v[46:47], v[44:45]
	v_fma_f64 v[10:11], v[46:47], v[42:43], -v[10:11]
	v_fmac_f64_e32 v[12:13], v[48:49], v[42:43]
	v_mul_f64 v[42:43], v[48:49], v[40:41]
	v_fma_f64 v[44:45], v[46:47], v[38:39], -v[42:43]
	v_mul_f64 v[46:47], v[46:47], v[40:41]
	ds_read_b128 v[40:43], v57 offset:1024
	v_fmac_f64_e32 v[46:47], v[48:49], v[38:39]
	v_add_f64 v[38:39], v[52:53], v[44:45]
	v_add_f64 v[52:53], v[50:51], v[46:47]
	ds_read_b128 v[44:47], v57 offset:1280
	s_waitcnt lgkmcnt(1)
	v_mul_f64 v[48:49], v[8:9], v[42:43]
	v_fma_f64 v[48:49], v[6:7], v[40:41], -v[48:49]
	v_mul_f64 v[50:51], v[6:7], v[42:43]
	v_add_f64 v[78:79], v[82:83], v[78:79]
	v_add_f64 v[10:11], v[68:69], v[10:11]
	v_fmac_f64_e32 v[50:51], v[8:9], v[40:41]
	v_add_f64 v[68:69], v[76:77], v[48:49]
	s_waitcnt lgkmcnt(0)
	v_mul_f64 v[48:49], v[8:9], v[46:47]
	v_add_f64 v[12:13], v[70:71], v[12:13]
	v_add_f64 v[70:71], v[78:79], v[50:51]
	v_fma_f64 v[76:77], v[6:7], v[44:45], -v[48:49]
	ds_read_b128 v[48:51], v59 offset:8224
	v_mul_f64 v[6:7], v[6:7], v[46:47]
	v_add_f64 v[74:75], v[74:75], v[80:81]
	v_fmac_f64_e32 v[6:7], v[8:9], v[44:45]
	v_add_f64 v[74:75], v[74:75], v[76:77]
	v_add_f64 v[72:73], v[72:73], v[6:7]
	ds_read_b128 v[6:9], v59 offset:8240
	s_waitcnt lgkmcnt(1)
	v_mul_f64 v[76:77], v[50:51], v[42:43]
	v_fma_f64 v[76:77], v[48:49], v[40:41], -v[76:77]
	v_mul_f64 v[42:43], v[48:49], v[42:43]
	v_add_f64 v[76:77], v[10:11], v[76:77]
	v_mul_f64 v[10:11], v[50:51], v[46:47]
	v_fmac_f64_e32 v[42:43], v[50:51], v[40:41]
	v_fma_f64 v[40:41], v[48:49], v[44:45], -v[10:11]
	v_mul_f64 v[46:47], v[48:49], v[46:47]
	v_add_f64 v[42:43], v[12:13], v[42:43]
	ds_read_b128 v[10:13], v57 offset:1536
	v_fmac_f64_e32 v[46:47], v[50:51], v[44:45]
	v_add_f64 v[44:45], v[38:39], v[40:41]
	ds_read_b128 v[38:41], v57 offset:1792
	v_add_f64 v[46:47], v[52:53], v[46:47]
	s_waitcnt lgkmcnt(1)
	v_mul_f64 v[48:49], v[4:5], v[12:13]
	v_fma_f64 v[48:49], v[2:3], v[10:11], -v[48:49]
	v_mul_f64 v[50:51], v[2:3], v[12:13]
	s_waitcnt lgkmcnt(0)
	v_mul_f64 v[52:53], v[4:5], v[40:41]
	v_fma_f64 v[52:53], v[2:3], v[38:39], -v[52:53]
	v_mul_f64 v[2:3], v[2:3], v[40:41]
	v_fmac_f64_e32 v[2:3], v[4:5], v[38:39]
	v_fmac_f64_e32 v[50:51], v[4:5], v[10:11]
	v_add_f64 v[48:49], v[68:69], v[48:49]
	v_add_f64 v[68:69], v[72:73], v[2:3]
	v_mul_f64 v[2:3], v[8:9], v[12:13]
	v_mul_f64 v[4:5], v[6:7], v[12:13]
	v_fma_f64 v[2:3], v[6:7], v[10:11], -v[2:3]
	v_fmac_f64_e32 v[4:5], v[8:9], v[10:11]
	v_mul_f64 v[10:11], v[8:9], v[40:41]
	v_mul_f64 v[40:41], v[6:7], v[40:41]
	v_add_f64 v[4:5], v[42:43], v[4:5]
	v_fma_f64 v[42:43], v[6:7], v[38:39], -v[10:11]
	v_fmac_f64_e32 v[40:41], v[8:9], v[38:39]
	ds_read_b128 v[6:9], v59 offset:64
	ds_read_b128 v[10:13], v57 offset:2048
	v_add_f64 v[50:51], v[70:71], v[50:51]
	v_add_f64 v[70:71], v[44:45], v[42:43]
	;; [unrolled: 1-line block ×3, first 2 shown]
	ds_read_b128 v[38:41], v57 offset:2304
	ds_read_b128 v[42:45], v59 offset:80
	s_waitcnt lgkmcnt(2)
	v_mul_f64 v[46:47], v[8:9], v[12:13]
	v_add_f64 v[52:53], v[74:75], v[52:53]
	v_fma_f64 v[46:47], v[6:7], v[10:11], -v[46:47]
	v_mul_f64 v[74:75], v[6:7], v[12:13]
	v_add_f64 v[2:3], v[76:77], v[2:3]
	v_fmac_f64_e32 v[74:75], v[8:9], v[10:11]
	v_add_f64 v[76:77], v[48:49], v[46:47]
	s_waitcnt lgkmcnt(1)
	v_mul_f64 v[46:47], v[8:9], v[40:41]
	v_add_f64 v[50:51], v[50:51], v[74:75]
	v_fma_f64 v[74:75], v[6:7], v[38:39], -v[46:47]
	ds_read_b128 v[46:49], v59 offset:8256
	v_mul_f64 v[6:7], v[6:7], v[40:41]
	v_fmac_f64_e32 v[6:7], v[8:9], v[38:39]
	v_add_f64 v[52:53], v[52:53], v[74:75]
	v_add_f64 v[68:69], v[68:69], v[6:7]
	ds_read_b128 v[6:9], v59 offset:8272
	s_waitcnt lgkmcnt(1)
	v_mul_f64 v[74:75], v[48:49], v[12:13]
	v_fma_f64 v[74:75], v[46:47], v[10:11], -v[74:75]
	v_mul_f64 v[12:13], v[46:47], v[12:13]
	v_fmac_f64_e32 v[12:13], v[48:49], v[10:11]
	v_add_f64 v[74:75], v[2:3], v[74:75]
	v_mul_f64 v[2:3], v[48:49], v[40:41]
	v_add_f64 v[78:79], v[4:5], v[12:13]
	v_fma_f64 v[10:11], v[46:47], v[38:39], -v[2:3]
	v_mul_f64 v[12:13], v[46:47], v[40:41]
	ds_read_b128 v[2:5], v57 offset:2560
	v_fmac_f64_e32 v[12:13], v[48:49], v[38:39]
	v_add_f64 v[38:39], v[70:71], v[10:11]
	v_add_f64 v[40:41], v[72:73], v[12:13]
	ds_read_b128 v[10:13], v57 offset:2816
	s_waitcnt lgkmcnt(1)
	v_mul_f64 v[48:49], v[42:43], v[4:5]
	v_fmac_f64_e32 v[48:49], v[44:45], v[2:3]
	v_mul_f64 v[46:47], v[44:45], v[4:5]
	v_add_f64 v[48:49], v[50:51], v[48:49]
	s_waitcnt lgkmcnt(0)
	v_mul_f64 v[50:51], v[44:45], v[12:13]
	v_fma_f64 v[46:47], v[42:43], v[2:3], -v[46:47]
	v_fma_f64 v[50:51], v[42:43], v[10:11], -v[50:51]
	v_mul_f64 v[42:43], v[42:43], v[12:13]
	v_fmac_f64_e32 v[42:43], v[44:45], v[10:11]
	v_add_f64 v[50:51], v[52:53], v[50:51]
	v_add_f64 v[52:53], v[68:69], v[42:43]
	v_mul_f64 v[42:43], v[8:9], v[4:5]
	v_fma_f64 v[42:43], v[6:7], v[2:3], -v[42:43]
	v_mul_f64 v[4:5], v[6:7], v[4:5]
	v_fmac_f64_e32 v[4:5], v[8:9], v[2:3]
	v_add_f64 v[2:3], v[74:75], v[42:43]
	v_mul_f64 v[42:43], v[8:9], v[12:13]
	v_mul_f64 v[44:45], v[6:7], v[12:13]
	v_fma_f64 v[42:43], v[6:7], v[10:11], -v[42:43]
	v_fmac_f64_e32 v[44:45], v[8:9], v[10:11]
	ds_read_b128 v[6:9], v59 offset:96
	ds_read_b128 v[10:13], v57 offset:3072
	v_add_f64 v[68:69], v[38:39], v[42:43]
	v_add_f64 v[70:71], v[40:41], v[44:45]
	ds_read_b128 v[38:41], v57 offset:3328
	ds_read_b128 v[42:45], v59 offset:112
	v_add_f64 v[46:47], v[76:77], v[46:47]
	s_waitcnt lgkmcnt(2)
	v_mul_f64 v[72:73], v[8:9], v[12:13]
	v_fma_f64 v[72:73], v[6:7], v[10:11], -v[72:73]
	v_mul_f64 v[74:75], v[6:7], v[12:13]
	v_fmac_f64_e32 v[74:75], v[8:9], v[10:11]
	v_add_f64 v[72:73], v[46:47], v[72:73]
	s_waitcnt lgkmcnt(1)
	v_mul_f64 v[46:47], v[8:9], v[40:41]
	v_add_f64 v[74:75], v[48:49], v[74:75]
	v_fma_f64 v[76:77], v[6:7], v[38:39], -v[46:47]
	ds_read_b128 v[46:49], v59 offset:8288
	v_mul_f64 v[6:7], v[6:7], v[40:41]
	v_fmac_f64_e32 v[6:7], v[8:9], v[38:39]
	v_add_f64 v[50:51], v[50:51], v[76:77]
	v_add_f64 v[52:53], v[52:53], v[6:7]
	ds_read_b128 v[6:9], v59 offset:8304
	s_waitcnt lgkmcnt(1)
	v_mul_f64 v[76:77], v[48:49], v[12:13]
	v_mul_f64 v[12:13], v[46:47], v[12:13]
	v_add_f64 v[4:5], v[78:79], v[4:5]
	v_fma_f64 v[76:77], v[46:47], v[10:11], -v[76:77]
	v_fmac_f64_e32 v[12:13], v[48:49], v[10:11]
	v_add_f64 v[76:77], v[2:3], v[76:77]
	v_add_f64 v[78:79], v[4:5], v[12:13]
	v_mul_f64 v[2:3], v[48:49], v[40:41]
	v_mul_f64 v[12:13], v[46:47], v[40:41]
	v_fma_f64 v[10:11], v[46:47], v[38:39], -v[2:3]
	v_fmac_f64_e32 v[12:13], v[48:49], v[38:39]
	ds_read_b128 v[2:5], v57 offset:3584
	v_add_f64 v[38:39], v[68:69], v[10:11]
	v_add_f64 v[40:41], v[70:71], v[12:13]
	ds_read_b128 v[10:13], v57 offset:3840
	s_add_u32 s26, s26, 32
	s_waitcnt lgkmcnt(1)
	v_mul_f64 v[46:47], v[44:45], v[4:5]
	v_fma_f64 v[46:47], v[42:43], v[2:3], -v[46:47]
	v_mul_f64 v[48:49], v[42:43], v[4:5]
	s_waitcnt lgkmcnt(0)
	v_mul_f64 v[68:69], v[44:45], v[12:13]
	v_fma_f64 v[68:69], v[42:43], v[10:11], -v[68:69]
	v_mul_f64 v[42:43], v[42:43], v[12:13]
	v_fmac_f64_e32 v[42:43], v[44:45], v[10:11]
	v_add_f64 v[52:53], v[52:53], v[42:43]
	v_mul_f64 v[42:43], v[8:9], v[4:5]
	v_fma_f64 v[42:43], v[6:7], v[2:3], -v[42:43]
	v_mul_f64 v[4:5], v[6:7], v[4:5]
	v_fmac_f64_e32 v[48:49], v[44:45], v[2:3]
	v_fmac_f64_e32 v[4:5], v[8:9], v[2:3]
	v_add_f64 v[2:3], v[76:77], v[42:43]
	v_mul_f64 v[42:43], v[8:9], v[12:13]
	v_mul_f64 v[44:45], v[6:7], v[12:13]
	v_fma_f64 v[42:43], v[6:7], v[10:11], -v[42:43]
	v_fmac_f64_e32 v[44:45], v[8:9], v[10:11]
	ds_read_b128 v[6:9], v59 offset:128
	ds_read_b128 v[10:13], v57 offset:4096
	v_add_f64 v[50:51], v[50:51], v[68:69]
	v_add_f64 v[68:69], v[38:39], v[42:43]
	;; [unrolled: 1-line block ×3, first 2 shown]
	ds_read_b128 v[38:41], v57 offset:4352
	ds_read_b128 v[42:45], v59 offset:144
	v_add_f64 v[46:47], v[72:73], v[46:47]
	s_waitcnt lgkmcnt(2)
	v_mul_f64 v[72:73], v[8:9], v[12:13]
	v_add_f64 v[48:49], v[74:75], v[48:49]
	v_fma_f64 v[72:73], v[6:7], v[10:11], -v[72:73]
	v_mul_f64 v[74:75], v[6:7], v[12:13]
	v_fmac_f64_e32 v[74:75], v[8:9], v[10:11]
	v_add_f64 v[72:73], v[46:47], v[72:73]
	s_waitcnt lgkmcnt(1)
	v_mul_f64 v[46:47], v[8:9], v[40:41]
	v_add_f64 v[74:75], v[48:49], v[74:75]
	v_fma_f64 v[76:77], v[6:7], v[38:39], -v[46:47]
	ds_read_b128 v[46:49], v59 offset:8320
	v_mul_f64 v[6:7], v[6:7], v[40:41]
	v_fmac_f64_e32 v[6:7], v[8:9], v[38:39]
	v_add_f64 v[50:51], v[50:51], v[76:77]
	v_add_f64 v[52:53], v[52:53], v[6:7]
	ds_read_b128 v[6:9], v59 offset:8336
	s_waitcnt lgkmcnt(1)
	v_mul_f64 v[76:77], v[48:49], v[12:13]
	v_mul_f64 v[12:13], v[46:47], v[12:13]
	v_add_f64 v[4:5], v[78:79], v[4:5]
	v_fma_f64 v[76:77], v[46:47], v[10:11], -v[76:77]
	v_fmac_f64_e32 v[12:13], v[48:49], v[10:11]
	v_add_f64 v[76:77], v[2:3], v[76:77]
	v_add_f64 v[78:79], v[4:5], v[12:13]
	v_mul_f64 v[2:3], v[48:49], v[40:41]
	v_mul_f64 v[12:13], v[46:47], v[40:41]
	v_fma_f64 v[10:11], v[46:47], v[38:39], -v[2:3]
	v_fmac_f64_e32 v[12:13], v[48:49], v[38:39]
	ds_read_b128 v[2:5], v57 offset:4608
	v_add_f64 v[38:39], v[68:69], v[10:11]
	v_add_f64 v[40:41], v[70:71], v[12:13]
	ds_read_b128 v[10:13], v57 offset:4864
	s_addc_u32 s27, s27, 0
	s_waitcnt lgkmcnt(1)
	v_mul_f64 v[46:47], v[44:45], v[4:5]
	v_fma_f64 v[46:47], v[42:43], v[2:3], -v[46:47]
	v_mul_f64 v[48:49], v[42:43], v[4:5]
	s_waitcnt lgkmcnt(0)
	v_mul_f64 v[68:69], v[44:45], v[12:13]
	v_fma_f64 v[68:69], v[42:43], v[10:11], -v[68:69]
	v_mul_f64 v[42:43], v[42:43], v[12:13]
	v_fmac_f64_e32 v[42:43], v[44:45], v[10:11]
	v_add_f64 v[52:53], v[52:53], v[42:43]
	v_mul_f64 v[42:43], v[8:9], v[4:5]
	v_fma_f64 v[42:43], v[6:7], v[2:3], -v[42:43]
	v_mul_f64 v[4:5], v[6:7], v[4:5]
	v_fmac_f64_e32 v[48:49], v[44:45], v[2:3]
	v_fmac_f64_e32 v[4:5], v[8:9], v[2:3]
	v_add_f64 v[2:3], v[76:77], v[42:43]
	v_mul_f64 v[42:43], v[8:9], v[12:13]
	v_mul_f64 v[44:45], v[6:7], v[12:13]
	v_fma_f64 v[42:43], v[6:7], v[10:11], -v[42:43]
	v_fmac_f64_e32 v[44:45], v[8:9], v[10:11]
	ds_read_b128 v[6:9], v59 offset:160
	ds_read_b128 v[10:13], v57 offset:5120
	v_add_f64 v[50:51], v[50:51], v[68:69]
	v_add_f64 v[68:69], v[38:39], v[42:43]
	;; [unrolled: 1-line block ×3, first 2 shown]
	ds_read_b128 v[38:41], v57 offset:5376
	ds_read_b128 v[42:45], v59 offset:176
	v_add_f64 v[46:47], v[72:73], v[46:47]
	s_waitcnt lgkmcnt(2)
	v_mul_f64 v[72:73], v[8:9], v[12:13]
	v_add_f64 v[48:49], v[74:75], v[48:49]
	v_fma_f64 v[72:73], v[6:7], v[10:11], -v[72:73]
	v_mul_f64 v[74:75], v[6:7], v[12:13]
	v_fmac_f64_e32 v[74:75], v[8:9], v[10:11]
	v_add_f64 v[72:73], v[46:47], v[72:73]
	s_waitcnt lgkmcnt(1)
	v_mul_f64 v[46:47], v[8:9], v[40:41]
	v_add_f64 v[74:75], v[48:49], v[74:75]
	v_fma_f64 v[76:77], v[6:7], v[38:39], -v[46:47]
	ds_read_b128 v[46:49], v59 offset:8352
	v_mul_f64 v[6:7], v[6:7], v[40:41]
	v_fmac_f64_e32 v[6:7], v[8:9], v[38:39]
	v_add_f64 v[50:51], v[50:51], v[76:77]
	v_add_f64 v[52:53], v[52:53], v[6:7]
	ds_read_b128 v[6:9], v59 offset:8368
	s_waitcnt lgkmcnt(1)
	v_mul_f64 v[76:77], v[48:49], v[12:13]
	v_mul_f64 v[12:13], v[46:47], v[12:13]
	v_add_f64 v[4:5], v[78:79], v[4:5]
	v_fma_f64 v[76:77], v[46:47], v[10:11], -v[76:77]
	v_fmac_f64_e32 v[12:13], v[48:49], v[10:11]
	v_add_f64 v[76:77], v[2:3], v[76:77]
	v_add_f64 v[78:79], v[4:5], v[12:13]
	v_mul_f64 v[2:3], v[48:49], v[40:41]
	v_mul_f64 v[12:13], v[46:47], v[40:41]
	v_fma_f64 v[10:11], v[46:47], v[38:39], -v[2:3]
	v_fmac_f64_e32 v[12:13], v[48:49], v[38:39]
	ds_read_b128 v[2:5], v57 offset:5632
	v_add_f64 v[38:39], v[68:69], v[10:11]
	v_add_f64 v[40:41], v[70:71], v[12:13]
	ds_read_b128 v[10:13], v57 offset:5888
	s_add_u32 s22, s22, 0x200
	s_waitcnt lgkmcnt(1)
	v_mul_f64 v[46:47], v[44:45], v[4:5]
	v_fma_f64 v[46:47], v[42:43], v[2:3], -v[46:47]
	v_mul_f64 v[48:49], v[42:43], v[4:5]
	s_waitcnt lgkmcnt(0)
	v_mul_f64 v[68:69], v[44:45], v[12:13]
	v_fma_f64 v[68:69], v[42:43], v[10:11], -v[68:69]
	v_mul_f64 v[42:43], v[42:43], v[12:13]
	v_fmac_f64_e32 v[42:43], v[44:45], v[10:11]
	v_add_f64 v[52:53], v[52:53], v[42:43]
	v_mul_f64 v[42:43], v[8:9], v[4:5]
	v_fma_f64 v[42:43], v[6:7], v[2:3], -v[42:43]
	v_mul_f64 v[4:5], v[6:7], v[4:5]
	v_fmac_f64_e32 v[48:49], v[44:45], v[2:3]
	v_fmac_f64_e32 v[4:5], v[8:9], v[2:3]
	v_add_f64 v[2:3], v[76:77], v[42:43]
	v_mul_f64 v[42:43], v[8:9], v[12:13]
	v_mul_f64 v[44:45], v[6:7], v[12:13]
	v_fma_f64 v[42:43], v[6:7], v[10:11], -v[42:43]
	v_fmac_f64_e32 v[44:45], v[8:9], v[10:11]
	ds_read_b128 v[6:9], v59 offset:192
	ds_read_b128 v[10:13], v57 offset:6144
	v_add_f64 v[50:51], v[50:51], v[68:69]
	v_add_f64 v[68:69], v[38:39], v[42:43]
	;; [unrolled: 1-line block ×3, first 2 shown]
	ds_read_b128 v[38:41], v57 offset:6400
	ds_read_b128 v[42:45], v59 offset:208
	v_add_f64 v[46:47], v[72:73], v[46:47]
	s_waitcnt lgkmcnt(2)
	v_mul_f64 v[72:73], v[8:9], v[12:13]
	v_add_f64 v[48:49], v[74:75], v[48:49]
	v_fma_f64 v[72:73], v[6:7], v[10:11], -v[72:73]
	v_mul_f64 v[74:75], v[6:7], v[12:13]
	v_fmac_f64_e32 v[74:75], v[8:9], v[10:11]
	v_add_f64 v[72:73], v[46:47], v[72:73]
	s_waitcnt lgkmcnt(1)
	v_mul_f64 v[46:47], v[8:9], v[40:41]
	v_add_f64 v[74:75], v[48:49], v[74:75]
	v_fma_f64 v[76:77], v[6:7], v[38:39], -v[46:47]
	ds_read_b128 v[46:49], v59 offset:8384
	v_mul_f64 v[6:7], v[6:7], v[40:41]
	v_fmac_f64_e32 v[6:7], v[8:9], v[38:39]
	v_add_f64 v[50:51], v[50:51], v[76:77]
	v_add_f64 v[52:53], v[52:53], v[6:7]
	ds_read_b128 v[6:9], v59 offset:8400
	s_waitcnt lgkmcnt(1)
	v_mul_f64 v[76:77], v[48:49], v[12:13]
	v_mul_f64 v[12:13], v[46:47], v[12:13]
	v_add_f64 v[4:5], v[78:79], v[4:5]
	v_fma_f64 v[76:77], v[46:47], v[10:11], -v[76:77]
	v_fmac_f64_e32 v[12:13], v[48:49], v[10:11]
	v_add_f64 v[76:77], v[2:3], v[76:77]
	v_add_f64 v[78:79], v[4:5], v[12:13]
	v_mul_f64 v[2:3], v[48:49], v[40:41]
	v_mul_f64 v[12:13], v[46:47], v[40:41]
	v_fma_f64 v[10:11], v[46:47], v[38:39], -v[2:3]
	v_fmac_f64_e32 v[12:13], v[48:49], v[38:39]
	ds_read_b128 v[2:5], v57 offset:6656
	v_add_f64 v[38:39], v[68:69], v[10:11]
	v_add_f64 v[40:41], v[70:71], v[12:13]
	ds_read_b128 v[10:13], v57 offset:6912
	s_addc_u32 s23, s23, 0
	s_waitcnt lgkmcnt(1)
	v_mul_f64 v[46:47], v[44:45], v[4:5]
	v_fma_f64 v[46:47], v[42:43], v[2:3], -v[46:47]
	v_mul_f64 v[48:49], v[42:43], v[4:5]
	s_waitcnt lgkmcnt(0)
	v_mul_f64 v[68:69], v[44:45], v[12:13]
	v_fma_f64 v[68:69], v[42:43], v[10:11], -v[68:69]
	v_mul_f64 v[42:43], v[42:43], v[12:13]
	v_fmac_f64_e32 v[42:43], v[44:45], v[10:11]
	v_add_f64 v[52:53], v[52:53], v[42:43]
	v_mul_f64 v[42:43], v[8:9], v[4:5]
	v_fma_f64 v[42:43], v[6:7], v[2:3], -v[42:43]
	v_mul_f64 v[4:5], v[6:7], v[4:5]
	v_fmac_f64_e32 v[48:49], v[44:45], v[2:3]
	v_fmac_f64_e32 v[4:5], v[8:9], v[2:3]
	v_add_f64 v[2:3], v[76:77], v[42:43]
	v_mul_f64 v[42:43], v[8:9], v[12:13]
	v_mul_f64 v[44:45], v[6:7], v[12:13]
	v_fma_f64 v[42:43], v[6:7], v[10:11], -v[42:43]
	v_fmac_f64_e32 v[44:45], v[8:9], v[10:11]
	ds_read_b128 v[6:9], v59 offset:224
	ds_read_b128 v[10:13], v57 offset:7168
	v_add_f64 v[50:51], v[50:51], v[68:69]
	v_add_f64 v[68:69], v[38:39], v[42:43]
	;; [unrolled: 1-line block ×3, first 2 shown]
	ds_read_b128 v[38:41], v57 offset:7424
	ds_read_b128 v[42:45], v59 offset:240
	v_add_f64 v[46:47], v[72:73], v[46:47]
	s_waitcnt lgkmcnt(2)
	v_mul_f64 v[72:73], v[8:9], v[12:13]
	v_add_f64 v[48:49], v[74:75], v[48:49]
	v_fma_f64 v[72:73], v[6:7], v[10:11], -v[72:73]
	v_mul_f64 v[74:75], v[6:7], v[12:13]
	v_fmac_f64_e32 v[74:75], v[8:9], v[10:11]
	v_add_f64 v[72:73], v[46:47], v[72:73]
	s_waitcnt lgkmcnt(1)
	v_mul_f64 v[46:47], v[8:9], v[40:41]
	v_add_f64 v[74:75], v[48:49], v[74:75]
	v_fma_f64 v[76:77], v[6:7], v[38:39], -v[46:47]
	ds_read_b128 v[46:49], v59 offset:8416
	v_mul_f64 v[6:7], v[6:7], v[40:41]
	v_fmac_f64_e32 v[6:7], v[8:9], v[38:39]
	v_add_f64 v[50:51], v[50:51], v[76:77]
	v_add_f64 v[52:53], v[52:53], v[6:7]
	ds_read_b128 v[6:9], v59 offset:8432
	s_waitcnt lgkmcnt(1)
	v_mul_f64 v[76:77], v[48:49], v[12:13]
	v_mul_f64 v[12:13], v[46:47], v[12:13]
	v_add_f64 v[4:5], v[78:79], v[4:5]
	v_fma_f64 v[76:77], v[46:47], v[10:11], -v[76:77]
	v_fmac_f64_e32 v[12:13], v[48:49], v[10:11]
	v_add_f64 v[76:77], v[2:3], v[76:77]
	v_add_f64 v[78:79], v[4:5], v[12:13]
	v_mul_f64 v[2:3], v[48:49], v[40:41]
	v_mul_f64 v[12:13], v[46:47], v[40:41]
	v_fma_f64 v[10:11], v[46:47], v[38:39], -v[2:3]
	v_fmac_f64_e32 v[12:13], v[48:49], v[38:39]
	ds_read_b128 v[2:5], v57 offset:7680
	v_add_f64 v[38:39], v[68:69], v[10:11]
	v_add_f64 v[40:41], v[70:71], v[12:13]
	ds_read_b128 v[10:13], v57 offset:7936
	s_cmp_ge_i32 s26, s6
	s_waitcnt lgkmcnt(1)
	v_mul_f64 v[46:47], v[44:45], v[4:5]
	v_fma_f64 v[46:47], v[42:43], v[2:3], -v[46:47]
	v_mul_f64 v[48:49], v[42:43], v[4:5]
	s_waitcnt lgkmcnt(0)
	v_mul_f64 v[68:69], v[44:45], v[12:13]
	v_fma_f64 v[68:69], v[42:43], v[10:11], -v[68:69]
	v_mul_f64 v[42:43], v[42:43], v[12:13]
	v_fmac_f64_e32 v[42:43], v[44:45], v[10:11]
	v_add_f64 v[52:53], v[52:53], v[42:43]
	v_mul_f64 v[42:43], v[8:9], v[4:5]
	v_fma_f64 v[42:43], v[6:7], v[2:3], -v[42:43]
	v_mul_f64 v[4:5], v[6:7], v[4:5]
	v_fmac_f64_e32 v[48:49], v[44:45], v[2:3]
	v_fmac_f64_e32 v[4:5], v[8:9], v[2:3]
	v_add_f64 v[2:3], v[76:77], v[42:43]
	v_mul_f64 v[42:43], v[8:9], v[12:13]
	v_mul_f64 v[44:45], v[6:7], v[12:13]
	v_fma_f64 v[42:43], v[6:7], v[10:11], -v[42:43]
	v_fmac_f64_e32 v[44:45], v[8:9], v[10:11]
	ds_read_b128 v[6:9], v59 offset:256
	ds_read_b128 v[10:13], v57 offset:8192
	v_add_f64 v[50:51], v[50:51], v[68:69]
	v_add_f64 v[68:69], v[38:39], v[42:43]
	v_add_f64 v[70:71], v[40:41], v[44:45]
	ds_read_b128 v[38:41], v57 offset:8448
	ds_read_b128 v[42:45], v59 offset:272
	v_add_f64 v[46:47], v[72:73], v[46:47]
	s_waitcnt lgkmcnt(2)
	v_mul_f64 v[72:73], v[8:9], v[12:13]
	v_add_f64 v[48:49], v[74:75], v[48:49]
	v_fma_f64 v[72:73], v[6:7], v[10:11], -v[72:73]
	v_mul_f64 v[74:75], v[6:7], v[12:13]
	v_fmac_f64_e32 v[74:75], v[8:9], v[10:11]
	v_add_f64 v[72:73], v[46:47], v[72:73]
	s_waitcnt lgkmcnt(1)
	v_mul_f64 v[46:47], v[8:9], v[40:41]
	v_add_f64 v[74:75], v[48:49], v[74:75]
	v_fma_f64 v[76:77], v[6:7], v[38:39], -v[46:47]
	ds_read_b128 v[46:49], v59 offset:8448
	v_mul_f64 v[6:7], v[6:7], v[40:41]
	v_fmac_f64_e32 v[6:7], v[8:9], v[38:39]
	v_add_f64 v[50:51], v[50:51], v[76:77]
	v_add_f64 v[52:53], v[52:53], v[6:7]
	ds_read_b128 v[6:9], v59 offset:8464
	s_waitcnt lgkmcnt(1)
	v_mul_f64 v[76:77], v[48:49], v[12:13]
	v_mul_f64 v[12:13], v[46:47], v[12:13]
	v_add_f64 v[4:5], v[78:79], v[4:5]
	v_fma_f64 v[76:77], v[46:47], v[10:11], -v[76:77]
	v_fmac_f64_e32 v[12:13], v[48:49], v[10:11]
	v_add_f64 v[76:77], v[2:3], v[76:77]
	v_add_f64 v[78:79], v[4:5], v[12:13]
	v_mul_f64 v[2:3], v[48:49], v[40:41]
	v_mul_f64 v[12:13], v[46:47], v[40:41]
	v_fma_f64 v[10:11], v[46:47], v[38:39], -v[2:3]
	v_fmac_f64_e32 v[12:13], v[48:49], v[38:39]
	ds_read_b128 v[2:5], v57 offset:8704
	v_add_f64 v[38:39], v[68:69], v[10:11]
	v_add_f64 v[40:41], v[70:71], v[12:13]
	ds_read_b128 v[10:13], v57 offset:8960
	s_waitcnt lgkmcnt(1)
	v_mul_f64 v[46:47], v[44:45], v[4:5]
	v_fma_f64 v[46:47], v[42:43], v[2:3], -v[46:47]
	v_mul_f64 v[48:49], v[42:43], v[4:5]
	s_waitcnt lgkmcnt(0)
	v_mul_f64 v[68:69], v[44:45], v[12:13]
	v_fma_f64 v[68:69], v[42:43], v[10:11], -v[68:69]
	v_mul_f64 v[42:43], v[42:43], v[12:13]
	v_fmac_f64_e32 v[42:43], v[44:45], v[10:11]
	v_add_f64 v[52:53], v[52:53], v[42:43]
	v_mul_f64 v[42:43], v[8:9], v[4:5]
	v_fma_f64 v[42:43], v[6:7], v[2:3], -v[42:43]
	v_mul_f64 v[4:5], v[6:7], v[4:5]
	v_fmac_f64_e32 v[48:49], v[44:45], v[2:3]
	v_fmac_f64_e32 v[4:5], v[8:9], v[2:3]
	v_add_f64 v[2:3], v[76:77], v[42:43]
	v_mul_f64 v[42:43], v[8:9], v[12:13]
	v_mul_f64 v[44:45], v[6:7], v[12:13]
	v_fma_f64 v[42:43], v[6:7], v[10:11], -v[42:43]
	v_fmac_f64_e32 v[44:45], v[8:9], v[10:11]
	ds_read_b128 v[6:9], v59 offset:288
	ds_read_b128 v[10:13], v57 offset:9216
	v_add_f64 v[50:51], v[50:51], v[68:69]
	v_add_f64 v[68:69], v[38:39], v[42:43]
	v_add_f64 v[70:71], v[40:41], v[44:45]
	ds_read_b128 v[38:41], v57 offset:9472
	ds_read_b128 v[42:45], v59 offset:304
	v_add_f64 v[46:47], v[72:73], v[46:47]
	s_waitcnt lgkmcnt(2)
	v_mul_f64 v[72:73], v[8:9], v[12:13]
	v_add_f64 v[48:49], v[74:75], v[48:49]
	v_fma_f64 v[72:73], v[6:7], v[10:11], -v[72:73]
	v_mul_f64 v[74:75], v[6:7], v[12:13]
	v_fmac_f64_e32 v[74:75], v[8:9], v[10:11]
	v_add_f64 v[72:73], v[46:47], v[72:73]
	s_waitcnt lgkmcnt(1)
	v_mul_f64 v[46:47], v[8:9], v[40:41]
	v_add_f64 v[74:75], v[48:49], v[74:75]
	v_fma_f64 v[76:77], v[6:7], v[38:39], -v[46:47]
	ds_read_b128 v[46:49], v59 offset:8480
	v_mul_f64 v[6:7], v[6:7], v[40:41]
	v_fmac_f64_e32 v[6:7], v[8:9], v[38:39]
	v_add_f64 v[50:51], v[50:51], v[76:77]
	v_add_f64 v[52:53], v[52:53], v[6:7]
	ds_read_b128 v[6:9], v59 offset:8496
	s_waitcnt lgkmcnt(1)
	v_mul_f64 v[76:77], v[48:49], v[12:13]
	v_mul_f64 v[12:13], v[46:47], v[12:13]
	v_add_f64 v[4:5], v[78:79], v[4:5]
	v_fma_f64 v[76:77], v[46:47], v[10:11], -v[76:77]
	v_fmac_f64_e32 v[12:13], v[48:49], v[10:11]
	v_add_f64 v[76:77], v[2:3], v[76:77]
	v_add_f64 v[78:79], v[4:5], v[12:13]
	v_mul_f64 v[2:3], v[48:49], v[40:41]
	v_mul_f64 v[12:13], v[46:47], v[40:41]
	v_fma_f64 v[10:11], v[46:47], v[38:39], -v[2:3]
	v_fmac_f64_e32 v[12:13], v[48:49], v[38:39]
	ds_read_b128 v[2:5], v57 offset:9728
	v_add_f64 v[38:39], v[68:69], v[10:11]
	v_add_f64 v[40:41], v[70:71], v[12:13]
	ds_read_b128 v[10:13], v57 offset:9984
	;; [unrolled: 61-line block ×7, first 2 shown]
	s_waitcnt lgkmcnt(1)
	v_mul_f64 v[46:47], v[44:45], v[4:5]
	v_fma_f64 v[46:47], v[42:43], v[2:3], -v[46:47]
	v_mul_f64 v[48:49], v[42:43], v[4:5]
	s_waitcnt lgkmcnt(0)
	v_mul_f64 v[68:69], v[44:45], v[12:13]
	v_fma_f64 v[68:69], v[42:43], v[10:11], -v[68:69]
	v_mul_f64 v[42:43], v[42:43], v[12:13]
	v_fmac_f64_e32 v[42:43], v[44:45], v[10:11]
	v_add_f64 v[52:53], v[52:53], v[42:43]
	v_mul_f64 v[42:43], v[8:9], v[4:5]
	v_fma_f64 v[42:43], v[6:7], v[2:3], -v[42:43]
	v_mul_f64 v[4:5], v[6:7], v[4:5]
	v_fmac_f64_e32 v[48:49], v[44:45], v[2:3]
	v_fmac_f64_e32 v[4:5], v[8:9], v[2:3]
	v_add_f64 v[2:3], v[76:77], v[42:43]
	v_mul_f64 v[42:43], v[8:9], v[12:13]
	v_mul_f64 v[44:45], v[6:7], v[12:13]
	v_fma_f64 v[42:43], v[6:7], v[10:11], -v[42:43]
	v_fmac_f64_e32 v[44:45], v[8:9], v[10:11]
	ds_read_b128 v[6:9], v59 offset:480
	ds_read_b128 v[10:13], v57 offset:15360
	v_add_f64 v[50:51], v[50:51], v[68:69]
	v_add_f64 v[68:69], v[38:39], v[42:43]
	;; [unrolled: 1-line block ×3, first 2 shown]
	ds_read_b128 v[38:41], v57 offset:15616
	ds_read_b128 v[42:45], v59 offset:496
	v_add_f64 v[46:47], v[72:73], v[46:47]
	s_waitcnt lgkmcnt(2)
	v_mul_f64 v[72:73], v[8:9], v[12:13]
	v_add_f64 v[48:49], v[74:75], v[48:49]
	v_fma_f64 v[72:73], v[6:7], v[10:11], -v[72:73]
	v_mul_f64 v[74:75], v[6:7], v[12:13]
	v_fmac_f64_e32 v[74:75], v[8:9], v[10:11]
	v_add_f64 v[72:73], v[46:47], v[72:73]
	s_waitcnt lgkmcnt(1)
	v_mul_f64 v[46:47], v[8:9], v[40:41]
	v_add_f64 v[74:75], v[48:49], v[74:75]
	v_fma_f64 v[76:77], v[6:7], v[38:39], -v[46:47]
	ds_read_b128 v[46:49], v59 offset:8672
	v_mul_f64 v[6:7], v[6:7], v[40:41]
	v_fmac_f64_e32 v[6:7], v[8:9], v[38:39]
	v_add_f64 v[4:5], v[78:79], v[4:5]
	v_add_f64 v[76:77], v[50:51], v[76:77]
	;; [unrolled: 1-line block ×3, first 2 shown]
	ds_read_b128 v[6:9], v59 offset:8688
	s_waitcnt lgkmcnt(1)
	v_mul_f64 v[50:51], v[48:49], v[12:13]
	v_fma_f64 v[50:51], v[46:47], v[10:11], -v[50:51]
	v_mul_f64 v[12:13], v[46:47], v[12:13]
	v_fmac_f64_e32 v[12:13], v[48:49], v[10:11]
	v_add_f64 v[80:81], v[2:3], v[50:51]
	v_mul_f64 v[2:3], v[48:49], v[40:41]
	v_add_f64 v[82:83], v[4:5], v[12:13]
	v_fma_f64 v[10:11], v[46:47], v[38:39], -v[2:3]
	v_mul_f64 v[12:13], v[46:47], v[40:41]
	ds_read_b128 v[2:5], v57 offset:15872
	v_fmac_f64_e32 v[12:13], v[48:49], v[38:39]
	v_add_f64 v[38:39], v[68:69], v[10:11]
	v_add_f64 v[68:69], v[70:71], v[12:13]
	ds_read_b128 v[10:13], v57 offset:16128
	s_waitcnt lgkmcnt(1)
	v_mul_f64 v[40:41], v[44:45], v[4:5]
	v_fma_f64 v[40:41], v[42:43], v[2:3], -v[40:41]
	v_mul_f64 v[46:47], v[42:43], v[4:5]
	v_add_f64 v[50:51], v[72:73], v[40:41]
	s_waitcnt lgkmcnt(0)
	v_mul_f64 v[40:41], v[44:45], v[12:13]
	v_fmac_f64_e32 v[46:47], v[44:45], v[2:3]
	v_fma_f64 v[40:41], v[42:43], v[10:11], -v[40:41]
	v_add_f64 v[52:53], v[74:75], v[46:47]
	v_add_f64 v[46:47], v[76:77], v[40:41]
	v_mul_f64 v[40:41], v[8:9], v[4:5]
	v_mul_f64 v[4:5], v[6:7], v[4:5]
	;; [unrolled: 1-line block ×3, first 2 shown]
	v_fmac_f64_e32 v[4:5], v[8:9], v[2:3]
	v_fmac_f64_e32 v[42:43], v[44:45], v[10:11]
	v_fma_f64 v[40:41], v[6:7], v[2:3], -v[40:41]
	v_add_f64 v[44:45], v[82:83], v[4:5]
	v_mul_f64 v[2:3], v[8:9], v[12:13]
	v_mul_f64 v[4:5], v[6:7], v[12:13]
	v_fma_f64 v[2:3], v[6:7], v[10:11], -v[2:3]
	v_fmac_f64_e32 v[4:5], v[8:9], v[10:11]
	v_add_f64 v[48:49], v[78:79], v[42:43]
	v_add_f64 v[42:43], v[80:81], v[40:41]
	;; [unrolled: 1-line block ×4, first 2 shown]
	s_barrier
	s_cbranch_scc1 .LBB117_55
.LBB117_7:                              ;   Parent Loop BB117_4 Depth=1
                                        ; =>  This Inner Loop Header: Depth=2
	v_mov_b32_e32 v2, s27
	v_add_co_u32_e64 v6, s[10:11], s26, v14
	v_addc_co_u32_e64 v7, s[10:11], v15, v2, s[10:11]
	v_mov_b32_e32 v2, s23
	v_add_co_u32_e64 v4, s[10:11], s22, v55
	v_addc_co_u32_e64 v5, s[10:11], v56, v2, s[10:11]
	v_cmp_eq_u64_e64 s[10:11], s[26:27], v[22:23]
	v_cmp_le_i64_e64 s[12:13], s[36:37], v[6:7]
	s_and_b64 s[44:45], s[34:35], s[10:11]
	v_cmp_lt_i64_e64 s[10:11], v[6:7], v[16:17]
	s_or_b64 s[16:17], s[12:13], s[10:11]
	s_or_b64 s[16:17], s[16:17], s[44:45]
	;; [unrolled: 1-line block ×3, first 2 shown]
	s_xor_b64 s[16:17], s[16:17], -1
	s_and_saveexec_b64 s[42:43], s[16:17]
	s_xor_b64 s[16:17], exec, s[42:43]
	s_cbranch_execz .LBB117_9
; %bb.8:                                ;   in Loop: Header=BB117_7 Depth=2
	global_load_dwordx4 v[8:11], v[4:5], off
	s_waitcnt vmcnt(0)
	v_xor_b32_e32 v11, 0x80000000, v11
	ds_write_b128 v58, v[8:11]
.LBB117_9:                              ;   in Loop: Header=BB117_7 Depth=2
	s_or_saveexec_b64 s[16:17], s[16:17]
	s_xor_b64 s[42:43], s[44:45], -1
	s_xor_b64 exec, exec, s[16:17]
	s_cbranch_execz .LBB117_15
; %bb.10:                               ;   in Loop: Header=BB117_7 Depth=2
	s_and_saveexec_b64 s[48:49], s[42:43]
	s_xor_b64 s[48:49], exec, s[48:49]
	s_cbranch_execz .LBB117_12
; %bb.11:                               ;   in Loop: Header=BB117_7 Depth=2
	v_mov_b32_e32 v8, v0
	v_mov_b32_e32 v9, v0
	;; [unrolled: 1-line block ×4, first 2 shown]
	ds_write_b128 v58, v[8:11]
.LBB117_12:                             ;   in Loop: Header=BB117_7 Depth=2
	s_andn2_saveexec_b64 s[48:49], s[48:49]
	s_cbranch_execz .LBB117_14
; %bb.13:                               ;   in Loop: Header=BB117_7 Depth=2
	v_mov_b32_e32 v2, v0
	v_mov_b32_e32 v3, v0
	ds_write_b128 v58, v[0:3]
.LBB117_14:                             ;   in Loop: Header=BB117_7 Depth=2
	s_or_b64 exec, exec, s[48:49]
.LBB117_15:                             ;   in Loop: Header=BB117_7 Depth=2
	s_or_b64 exec, exec, s[16:17]
	v_cmp_eq_u64_e64 s[16:17], s[26:27], v[24:25]
	s_and_b64 s[48:49], s[34:35], s[16:17]
	v_cmp_gt_i64_e64 s[16:17], v[18:19], v[6:7]
	s_or_b64 s[12:13], s[12:13], s[16:17]
	s_or_b64 s[12:13], s[12:13], s[48:49]
	;; [unrolled: 1-line block ×3, first 2 shown]
	s_xor_b64 s[12:13], s[12:13], -1
	s_and_saveexec_b64 s[16:17], s[12:13]
	s_xor_b64 s[16:17], exec, s[16:17]
	s_cbranch_execz .LBB117_17
; %bb.16:                               ;   in Loop: Header=BB117_7 Depth=2
	v_mov_b32_e32 v3, s23
	v_add_co_u32_e64 v2, s[12:13], s22, v64
	v_addc_co_u32_e64 v3, s[12:13], v65, v3, s[12:13]
	global_load_dwordx4 v[8:11], v[2:3], off
	s_waitcnt vmcnt(0)
	v_xor_b32_e32 v11, 0x80000000, v11
	ds_write_b128 v58, v[8:11] offset:256
.LBB117_17:                             ;   in Loop: Header=BB117_7 Depth=2
	s_andn2_saveexec_b64 s[12:13], s[16:17]
	s_cbranch_execz .LBB117_23
; %bb.18:                               ;   in Loop: Header=BB117_7 Depth=2
	s_xor_b64 s[16:17], s[48:49], -1
	s_and_saveexec_b64 s[48:49], s[16:17]
	s_xor_b64 s[16:17], exec, s[48:49]
	s_cbranch_execz .LBB117_20
; %bb.19:                               ;   in Loop: Header=BB117_7 Depth=2
	v_mov_b32_e32 v8, v0
	v_mov_b32_e32 v9, v0
	;; [unrolled: 1-line block ×4, first 2 shown]
	ds_write_b128 v58, v[8:11] offset:256
.LBB117_20:                             ;   in Loop: Header=BB117_7 Depth=2
	s_andn2_saveexec_b64 s[16:17], s[16:17]
	s_cbranch_execz .LBB117_22
; %bb.21:                               ;   in Loop: Header=BB117_7 Depth=2
	v_mov_b32_e32 v2, v0
	v_mov_b32_e32 v3, v0
	ds_write_b128 v58, v[0:3] offset:256
.LBB117_22:                             ;   in Loop: Header=BB117_7 Depth=2
	s_or_b64 exec, exec, s[16:17]
.LBB117_23:                             ;   in Loop: Header=BB117_7 Depth=2
	s_or_b64 exec, exec, s[12:13]
	v_add_co_u32_e64 v2, s[12:13], 16, v6
	v_addc_co_u32_e64 v3, s[12:13], 0, v7, s[12:13]
	v_cmp_eq_u64_e64 s[16:17], s[26:27], v[26:27]
	v_cmp_le_i64_e64 s[12:13], s[36:37], v[2:3]
	s_and_b64 s[48:49], s[34:35], s[16:17]
	v_cmp_lt_i64_e64 s[16:17], v[2:3], v[16:17]
	s_or_b64 s[16:17], s[12:13], s[16:17]
	s_or_b64 s[16:17], s[16:17], s[48:49]
	;; [unrolled: 1-line block ×3, first 2 shown]
	s_xor_b64 s[16:17], s[16:17], -1
	s_and_saveexec_b64 s[54:55], s[16:17]
	s_xor_b64 s[16:17], exec, s[54:55]
	s_cbranch_execz .LBB117_25
; %bb.24:                               ;   in Loop: Header=BB117_7 Depth=2
	global_load_dwordx4 v[2:5], v[4:5], off offset:256
	s_waitcnt vmcnt(0)
	v_xor_b32_e32 v5, 0x80000000, v5
	ds_write_b128 v58, v[2:5] offset:8192
.LBB117_25:                             ;   in Loop: Header=BB117_7 Depth=2
	s_andn2_saveexec_b64 s[16:17], s[16:17]
	s_cbranch_execz .LBB117_31
; %bb.26:                               ;   in Loop: Header=BB117_7 Depth=2
	s_xor_b64 s[48:49], s[48:49], -1
	s_and_saveexec_b64 s[54:55], s[48:49]
	s_xor_b64 s[48:49], exec, s[54:55]
	s_cbranch_execz .LBB117_28
; %bb.27:                               ;   in Loop: Header=BB117_7 Depth=2
	v_mov_b32_e32 v2, v0
	v_mov_b32_e32 v3, v0
	;; [unrolled: 1-line block ×4, first 2 shown]
	ds_write_b128 v58, v[2:5] offset:8192
.LBB117_28:                             ;   in Loop: Header=BB117_7 Depth=2
	s_andn2_saveexec_b64 s[48:49], s[48:49]
	s_cbranch_execz .LBB117_30
; %bb.29:                               ;   in Loop: Header=BB117_7 Depth=2
	v_mov_b32_e32 v2, v0
	v_mov_b32_e32 v3, v0
	ds_write_b128 v58, v[0:3] offset:8192
.LBB117_30:                             ;   in Loop: Header=BB117_7 Depth=2
	s_or_b64 exec, exec, s[48:49]
.LBB117_31:                             ;   in Loop: Header=BB117_7 Depth=2
	s_or_b64 exec, exec, s[16:17]
	s_or_b64 s[10:11], s[12:13], s[10:11]
	s_or_b64 s[10:11], s[10:11], s[44:45]
	;; [unrolled: 1-line block ×3, first 2 shown]
	s_xor_b64 s[10:11], s[10:11], -1
	s_and_saveexec_b64 s[12:13], s[10:11]
	s_xor_b64 s[12:13], exec, s[12:13]
	s_cbranch_execz .LBB117_33
; %bb.32:                               ;   in Loop: Header=BB117_7 Depth=2
	v_mov_b32_e32 v3, s23
	v_add_co_u32_e64 v2, s[10:11], s22, v64
	v_addc_co_u32_e64 v3, s[10:11], v65, v3, s[10:11]
	global_load_dwordx4 v[2:5], v[2:3], off offset:256
	s_waitcnt vmcnt(0)
	v_xor_b32_e32 v5, 0x80000000, v5
	ds_write_b128 v58, v[2:5] offset:8448
.LBB117_33:                             ;   in Loop: Header=BB117_7 Depth=2
	s_andn2_saveexec_b64 s[10:11], s[12:13]
	s_cbranch_execz .LBB117_39
; %bb.34:                               ;   in Loop: Header=BB117_7 Depth=2
	s_and_saveexec_b64 s[12:13], s[42:43]
	s_xor_b64 s[12:13], exec, s[12:13]
	s_cbranch_execz .LBB117_36
; %bb.35:                               ;   in Loop: Header=BB117_7 Depth=2
	v_mov_b32_e32 v2, v0
	v_mov_b32_e32 v3, v0
	;; [unrolled: 1-line block ×4, first 2 shown]
	ds_write_b128 v58, v[2:5] offset:8448
.LBB117_36:                             ;   in Loop: Header=BB117_7 Depth=2
	s_andn2_saveexec_b64 s[12:13], s[12:13]
	s_cbranch_execz .LBB117_38
; %bb.37:                               ;   in Loop: Header=BB117_7 Depth=2
	v_mov_b32_e32 v2, v0
	v_mov_b32_e32 v3, v0
	ds_write_b128 v58, v[0:3] offset:8448
.LBB117_38:                             ;   in Loop: Header=BB117_7 Depth=2
	s_or_b64 exec, exec, s[12:13]
.LBB117_39:                             ;   in Loop: Header=BB117_7 Depth=2
	s_or_b64 exec, exec, s[10:11]
	v_mov_b32_e32 v3, s27
	v_add_co_u32_e64 v2, s[10:11], s26, v16
	v_addc_co_u32_e64 v3, s[10:11], v17, v3, s[10:11]
	v_cmp_gt_i64_e64 s[10:11], s[36:37], v[2:3]
	s_and_b64 s[12:13], vcc, s[10:11]
	s_xor_b64 s[12:13], s[12:13], -1
	s_and_saveexec_b64 s[16:17], s[12:13]
	s_xor_b64 s[12:13], exec, s[16:17]
	s_cbranch_execz .LBB117_41
; %bb.40:                               ;   in Loop: Header=BB117_7 Depth=2
	v_mov_b32_e32 v4, v0
	v_mov_b32_e32 v5, v0
	v_mov_b32_e32 v6, v0
	v_mov_b32_e32 v7, v0
	ds_write_b128 v60, v[4:7]
.LBB117_41:                             ;   in Loop: Header=BB117_7 Depth=2
	s_or_saveexec_b64 s[16:17], s[12:13]
	v_mov_b32_e32 v5, s23
	v_add_co_u32_e64 v4, s[12:13], s22, v34
	v_addc_co_u32_e64 v5, s[12:13], v35, v5, s[12:13]
	s_xor_b64 exec, exec, s[16:17]
	s_cbranch_execz .LBB117_43
; %bb.42:                               ;   in Loop: Header=BB117_7 Depth=2
	global_load_dwordx4 v[6:9], v[4:5], off offset:-256
	s_waitcnt vmcnt(0)
	ds_write2_b64 v60, v[6:7], v[8:9] offset1:1
.LBB117_43:                             ;   in Loop: Header=BB117_7 Depth=2
	s_or_b64 exec, exec, s[16:17]
	v_cmp_gt_i64_e64 s[12:13], s[38:39], v[2:3]
	s_and_b64 s[16:17], vcc, s[12:13]
	s_xor_b64 s[16:17], s[16:17], -1
	s_and_saveexec_b64 s[42:43], s[16:17]
	s_xor_b64 s[16:17], exec, s[42:43]
	s_cbranch_execz .LBB117_45
; %bb.44:                               ;   in Loop: Header=BB117_7 Depth=2
	v_mov_b32_e32 v2, v0
	v_mov_b32_e32 v3, v0
	v_mov_b32_e32 v4, v0
	v_mov_b32_e32 v5, v0
	ds_write_b128 v61, v[2:5]
                                        ; implicit-def: $vgpr4_vgpr5
.LBB117_45:                             ;   in Loop: Header=BB117_7 Depth=2
	s_andn2_saveexec_b64 s[16:17], s[16:17]
	s_cbranch_execz .LBB117_47
; %bb.46:                               ;   in Loop: Header=BB117_7 Depth=2
	global_load_dwordx4 v[2:5], v[4:5], off
	s_waitcnt vmcnt(0)
	ds_write2_b64 v61, v[2:3], v[4:5] offset1:1
.LBB117_47:                             ;   in Loop: Header=BB117_7 Depth=2
	s_or_b64 exec, exec, s[16:17]
	s_and_b64 s[10:11], s[8:9], s[10:11]
	s_xor_b64 s[10:11], s[10:11], -1
	s_and_saveexec_b64 s[16:17], s[10:11]
	s_xor_b64 s[10:11], exec, s[16:17]
	s_cbranch_execz .LBB117_49
; %bb.48:                               ;   in Loop: Header=BB117_7 Depth=2
	v_mov_b32_e32 v2, v0
	v_mov_b32_e32 v3, v0
	;; [unrolled: 1-line block ×4, first 2 shown]
	ds_write_b128 v62, v[2:5]
.LBB117_49:                             ;   in Loop: Header=BB117_7 Depth=2
	s_andn2_saveexec_b64 s[16:17], s[10:11]
	s_cbranch_execz .LBB117_51
; %bb.50:                               ;   in Loop: Header=BB117_7 Depth=2
	v_mov_b32_e32 v3, s23
	v_add_co_u32_e64 v2, s[10:11], s22, v36
	v_addc_co_u32_e64 v3, s[10:11], v37, v3, s[10:11]
	global_load_dwordx4 v[2:5], v[2:3], off offset:-256
	s_waitcnt vmcnt(0)
	ds_write2_b64 v62, v[2:3], v[4:5] offset1:1
.LBB117_51:                             ;   in Loop: Header=BB117_7 Depth=2
	s_or_b64 exec, exec, s[16:17]
	s_and_b64 s[10:11], s[8:9], s[12:13]
	s_xor_b64 s[10:11], s[10:11], -1
	s_and_saveexec_b64 s[12:13], s[10:11]
	s_xor_b64 s[10:11], exec, s[12:13]
	s_cbranch_execz .LBB117_53
; %bb.52:                               ;   in Loop: Header=BB117_7 Depth=2
	v_mov_b32_e32 v2, v0
	v_mov_b32_e32 v3, v0
	;; [unrolled: 1-line block ×4, first 2 shown]
	ds_write_b128 v63, v[2:5]
.LBB117_53:                             ;   in Loop: Header=BB117_7 Depth=2
	s_andn2_saveexec_b64 s[12:13], s[10:11]
	s_cbranch_execz .LBB117_6
; %bb.54:                               ;   in Loop: Header=BB117_7 Depth=2
	v_mov_b32_e32 v3, s23
	v_add_co_u32_e64 v2, s[10:11], s22, v36
	v_addc_co_u32_e64 v3, s[10:11], v37, v3, s[10:11]
	global_load_dwordx4 v[2:5], v[2:3], off
	s_waitcnt vmcnt(0)
	ds_write2_b64 v63, v[2:3], v[4:5] offset1:1
	s_branch .LBB117_6
.LBB117_55:                             ;   in Loop: Header=BB117_4 Depth=1
	v_mul_lo_u32 v4, v67, s40
	v_mul_lo_u32 v5, v66, s41
	v_mad_u64_u32 v[2:3], s[8:9], v66, s40, 0
	v_add3_u32 v3, v3, v5, v4
	v_lshlrev_b64 v[2:3], 4, v[2:3]
	v_mov_b32_e32 v4, s50
	v_add_co_u32_e64 v2, s[8:9], s47, v2
	v_cmp_gt_i32_e32 vcc, s46, v66
	v_addc_co_u32_e64 v3, s[8:9], v4, v3, s[8:9]
	s_and_b64 s[8:9], s[4:5], vcc
	s_and_saveexec_b64 s[10:11], s[8:9]
	s_cbranch_execz .LBB117_57
; %bb.56:                               ;   in Loop: Header=BB117_4 Depth=1
	v_add_co_u32_e64 v8, s[8:9], v2, v28
	v_addc_co_u32_e64 v9, s[8:9], v3, v29, s[8:9]
	global_load_dwordx4 v[4:7], v[8:9], off
	v_mul_f64 v[10:11], s[30:31], v[52:53]
	v_mul_f64 v[12:13], s[28:29], v[52:53]
	v_fma_f64 v[10:11], s[28:29], v[50:51], -v[10:11]
	v_fmac_f64_e32 v[12:13], s[30:31], v[50:51]
	s_waitcnt vmcnt(0)
	v_add_f64 v[4:5], v[4:5], v[10:11]
	v_add_f64 v[6:7], v[6:7], v[12:13]
	global_store_dwordx4 v[8:9], v[4:7], off
.LBB117_57:                             ;   in Loop: Header=BB117_4 Depth=1
	s_or_b64 exec, exec, s[10:11]
	s_and_b64 s[10:11], s[14:15], vcc
	s_and_saveexec_b64 s[8:9], s[10:11]
	s_cbranch_execz .LBB117_59
; %bb.58:                               ;   in Loop: Header=BB117_4 Depth=1
	v_lshlrev_b64 v[4:5], 4, v[20:21]
	v_add_co_u32_e32 v6, vcc, v2, v4
	v_addc_co_u32_e32 v7, vcc, v3, v5, vcc
	global_load_dwordx4 v[2:5], v[6:7], off
	v_mul_f64 v[8:9], s[30:31], v[48:49]
	v_mul_f64 v[10:11], s[28:29], v[48:49]
	v_fma_f64 v[8:9], s[28:29], v[46:47], -v[8:9]
	v_fmac_f64_e32 v[10:11], s[30:31], v[46:47]
	s_waitcnt vmcnt(0)
	v_add_f64 v[2:3], v[2:3], v[8:9]
	v_add_f64 v[4:5], v[4:5], v[10:11]
	global_store_dwordx4 v[6:7], v[2:5], off
.LBB117_59:                             ;   in Loop: Header=BB117_4 Depth=1
	s_or_b64 exec, exec, s[8:9]
	v_add_u32_e32 v2, 16, v66
	v_ashrrev_i32_e32 v3, 31, v2
	v_cmp_gt_i32_e32 vcc, s46, v2
	v_mul_lo_u32 v4, v3, s40
	v_mul_lo_u32 v5, v2, s41
	v_mad_u64_u32 v[2:3], s[8:9], v2, s40, 0
	v_add3_u32 v3, v3, v5, v4
	v_lshlrev_b64 v[2:3], 4, v[2:3]
	v_mov_b32_e32 v4, s50
	v_add_co_u32_e64 v2, s[8:9], s47, v2
	v_addc_co_u32_e64 v3, s[8:9], v4, v3, s[8:9]
	s_and_b64 s[8:9], s[4:5], vcc
	s_and_saveexec_b64 s[10:11], s[8:9]
	s_cbranch_execz .LBB117_61
; %bb.60:                               ;   in Loop: Header=BB117_4 Depth=1
	v_add_co_u32_e64 v8, s[8:9], v2, v28
	v_addc_co_u32_e64 v9, s[8:9], v3, v29, s[8:9]
	global_load_dwordx4 v[4:7], v[8:9], off
	v_mul_f64 v[10:11], s[30:31], v[44:45]
	v_mul_f64 v[12:13], s[28:29], v[44:45]
	v_fma_f64 v[10:11], s[28:29], v[42:43], -v[10:11]
	v_fmac_f64_e32 v[12:13], s[30:31], v[42:43]
	s_waitcnt vmcnt(0)
	v_add_f64 v[4:5], v[4:5], v[10:11]
	v_add_f64 v[6:7], v[6:7], v[12:13]
	global_store_dwordx4 v[8:9], v[4:7], off
.LBB117_61:                             ;   in Loop: Header=BB117_4 Depth=1
	s_or_b64 exec, exec, s[10:11]
	s_and_b64 s[10:11], s[14:15], vcc
	s_and_saveexec_b64 s[8:9], s[10:11]
	s_cbranch_execz .LBB117_3
; %bb.62:                               ;   in Loop: Header=BB117_4 Depth=1
	v_lshlrev_b64 v[4:5], 4, v[20:21]
	v_add_co_u32_e32 v6, vcc, v2, v4
	v_addc_co_u32_e32 v7, vcc, v3, v5, vcc
	global_load_dwordx4 v[2:5], v[6:7], off
	v_mul_f64 v[8:9], s[30:31], v[38:39]
	v_mul_f64 v[10:11], s[28:29], v[38:39]
	v_fma_f64 v[8:9], s[28:29], v[40:41], -v[8:9]
	v_fmac_f64_e32 v[10:11], s[30:31], v[40:41]
	s_waitcnt vmcnt(0)
	v_add_f64 v[2:3], v[2:3], v[8:9]
	v_add_f64 v[4:5], v[4:5], v[10:11]
	global_store_dwordx4 v[6:7], v[2:5], off
	s_branch .LBB117_3
.LBB117_63:
	s_endpgm
	.section	.rodata,"a",@progbits
	.p2align	6, 0x0
	.amdhsa_kernel _ZL30rocblas_trmm_outofplace_kernelI19rocblas_complex_numIdELi32ELi2ELb1ELb0ELb1ELb1ES1_KS1_S1_Ev17rocblas_diagonal_iiT6_lPT7_lllS6_lllPT8_llli
		.amdhsa_group_segment_fixed_size 32768
		.amdhsa_private_segment_fixed_size 0
		.amdhsa_kernarg_size 400
		.amdhsa_user_sgpr_count 6
		.amdhsa_user_sgpr_private_segment_buffer 1
		.amdhsa_user_sgpr_dispatch_ptr 0
		.amdhsa_user_sgpr_queue_ptr 0
		.amdhsa_user_sgpr_kernarg_segment_ptr 1
		.amdhsa_user_sgpr_dispatch_id 0
		.amdhsa_user_sgpr_flat_scratch_init 0
		.amdhsa_user_sgpr_kernarg_preload_length 0
		.amdhsa_user_sgpr_kernarg_preload_offset 0
		.amdhsa_user_sgpr_private_segment_size 0
		.amdhsa_uses_dynamic_stack 0
		.amdhsa_system_sgpr_private_segment_wavefront_offset 0
		.amdhsa_system_sgpr_workgroup_id_x 1
		.amdhsa_system_sgpr_workgroup_id_y 1
		.amdhsa_system_sgpr_workgroup_id_z 1
		.amdhsa_system_sgpr_workgroup_info 0
		.amdhsa_system_vgpr_workitem_id 1
		.amdhsa_next_free_vgpr 86
		.amdhsa_next_free_sgpr 56
		.amdhsa_accum_offset 88
		.amdhsa_reserve_vcc 1
		.amdhsa_reserve_flat_scratch 0
		.amdhsa_float_round_mode_32 0
		.amdhsa_float_round_mode_16_64 0
		.amdhsa_float_denorm_mode_32 3
		.amdhsa_float_denorm_mode_16_64 3
		.amdhsa_dx10_clamp 1
		.amdhsa_ieee_mode 1
		.amdhsa_fp16_overflow 0
		.amdhsa_tg_split 0
		.amdhsa_exception_fp_ieee_invalid_op 0
		.amdhsa_exception_fp_denorm_src 0
		.amdhsa_exception_fp_ieee_div_zero 0
		.amdhsa_exception_fp_ieee_overflow 0
		.amdhsa_exception_fp_ieee_underflow 0
		.amdhsa_exception_fp_ieee_inexact 0
		.amdhsa_exception_int_div_zero 0
	.end_amdhsa_kernel
	.section	.text._ZL30rocblas_trmm_outofplace_kernelI19rocblas_complex_numIdELi32ELi2ELb1ELb0ELb1ELb1ES1_KS1_S1_Ev17rocblas_diagonal_iiT6_lPT7_lllS6_lllPT8_llli,"axG",@progbits,_ZL30rocblas_trmm_outofplace_kernelI19rocblas_complex_numIdELi32ELi2ELb1ELb0ELb1ELb1ES1_KS1_S1_Ev17rocblas_diagonal_iiT6_lPT7_lllS6_lllPT8_llli,comdat
.Lfunc_end117:
	.size	_ZL30rocblas_trmm_outofplace_kernelI19rocblas_complex_numIdELi32ELi2ELb1ELb0ELb1ELb1ES1_KS1_S1_Ev17rocblas_diagonal_iiT6_lPT7_lllS6_lllPT8_llli, .Lfunc_end117-_ZL30rocblas_trmm_outofplace_kernelI19rocblas_complex_numIdELi32ELi2ELb1ELb0ELb1ELb1ES1_KS1_S1_Ev17rocblas_diagonal_iiT6_lPT7_lllS6_lllPT8_llli
                                        ; -- End function
	.section	.AMDGPU.csdata,"",@progbits
; Kernel info:
; codeLenInByte = 9580
; NumSgprs: 60
; NumVgprs: 86
; NumAgprs: 0
; TotalNumVgprs: 86
; ScratchSize: 0
; MemoryBound: 0
; FloatMode: 240
; IeeeMode: 1
; LDSByteSize: 32768 bytes/workgroup (compile time only)
; SGPRBlocks: 7
; VGPRBlocks: 10
; NumSGPRsForWavesPerEU: 60
; NumVGPRsForWavesPerEU: 86
; AccumOffset: 88
; Occupancy: 5
; WaveLimiterHint : 0
; COMPUTE_PGM_RSRC2:SCRATCH_EN: 0
; COMPUTE_PGM_RSRC2:USER_SGPR: 6
; COMPUTE_PGM_RSRC2:TRAP_HANDLER: 0
; COMPUTE_PGM_RSRC2:TGID_X_EN: 1
; COMPUTE_PGM_RSRC2:TGID_Y_EN: 1
; COMPUTE_PGM_RSRC2:TGID_Z_EN: 1
; COMPUTE_PGM_RSRC2:TIDIG_COMP_CNT: 1
; COMPUTE_PGM_RSRC3_GFX90A:ACCUM_OFFSET: 21
; COMPUTE_PGM_RSRC3_GFX90A:TG_SPLIT: 0
	.section	.text._ZL30rocblas_trmm_outofplace_kernelI19rocblas_complex_numIdELi32ELi2ELb1ELb1ELb1ELb1EPKS1_S2_S1_Ev17rocblas_diagonal_iiT6_lPT7_lllS7_lllPT8_llli,"axG",@progbits,_ZL30rocblas_trmm_outofplace_kernelI19rocblas_complex_numIdELi32ELi2ELb1ELb1ELb1ELb1EPKS1_S2_S1_Ev17rocblas_diagonal_iiT6_lPT7_lllS7_lllPT8_llli,comdat
	.globl	_ZL30rocblas_trmm_outofplace_kernelI19rocblas_complex_numIdELi32ELi2ELb1ELb1ELb1ELb1EPKS1_S2_S1_Ev17rocblas_diagonal_iiT6_lPT7_lllS7_lllPT8_llli ; -- Begin function _ZL30rocblas_trmm_outofplace_kernelI19rocblas_complex_numIdELi32ELi2ELb1ELb1ELb1ELb1EPKS1_S2_S1_Ev17rocblas_diagonal_iiT6_lPT7_lllS7_lllPT8_llli
	.p2align	8
	.type	_ZL30rocblas_trmm_outofplace_kernelI19rocblas_complex_numIdELi32ELi2ELb1ELb1ELb1ELb1EPKS1_S2_S1_Ev17rocblas_diagonal_iiT6_lPT7_lllS7_lllPT8_llli,@function
_ZL30rocblas_trmm_outofplace_kernelI19rocblas_complex_numIdELi32ELi2ELb1ELb1ELb1ELb1EPKS1_S2_S1_Ev17rocblas_diagonal_iiT6_lPT7_lllS7_lllPT8_llli: ; @_ZL30rocblas_trmm_outofplace_kernelI19rocblas_complex_numIdELi32ELi2ELb1ELb1ELb1ELb1EPKS1_S2_S1_Ev17rocblas_diagonal_iiT6_lPT7_lllS7_lllPT8_llli
; %bb.0:
	s_load_dwordx16 s[12:27], s[4:5], 0x10
	s_waitcnt lgkmcnt(0)
	s_mul_i32 s0, s8, s15
	s_mul_hi_u32 s1, s8, s14
	s_add_i32 s1, s1, s0
	s_mul_i32 s0, s8, s14
	s_lshl_b64 s[0:1], s[0:1], 4
	s_add_u32 s0, s12, s0
	s_addc_u32 s1, s13, s1
	s_load_dwordx4 s[28:31], s[0:1], 0x0
	s_waitcnt lgkmcnt(0)
	v_cmp_eq_f64_e64 s[0:1], s[28:29], 0
	v_cmp_eq_f64_e64 s[2:3], s[30:31], 0
	s_and_b64 s[0:1], s[0:1], s[2:3]
	s_and_b64 vcc, exec, s[0:1]
	s_cbranch_vccnz .LBB118_63
; %bb.1:
	s_load_dwordx4 s[44:47], s[4:5], 0x0
	s_waitcnt lgkmcnt(0)
	s_add_i32 s0, s46, -1
	s_ashr_i32 s1, s0, 31
	s_lshr_b32 s1, s1, 27
	s_add_i32 s0, s0, s1
	s_ashr_i32 s33, s0, 5
	s_cmp_gt_i32 s7, s33
	s_cbranch_scc1 .LBB118_63
; %bb.2:
	s_mul_i32 s0, s8, s23
	s_mul_hi_u32 s1, s8, s22
	s_add_i32 s1, s1, s0
	s_mul_i32 s0, s8, s22
	s_load_dwordx4 s[48:51], s[4:5], 0x70
	s_load_dword s47, s[4:5], 0x8c
	s_lshl_b64 s[10:11], s[0:1], 4
	s_add_u32 s0, s16, s10
	s_load_dwordx8 s[36:43], s[4:5], 0x50
	s_addc_u32 s1, s17, s11
	s_lshl_b64 s[12:13], s[18:19], 4
	s_add_u32 s2, s0, s12
	s_addc_u32 s3, s1, s13
	s_waitcnt lgkmcnt(0)
	s_mul_i32 s0, s8, s51
	s_mul_hi_u32 s1, s8, s50
	s_add_i32 s1, s1, s0
	s_mul_i32 s0, s8, s50
	s_lshl_b64 s[0:1], s[0:1], 4
	s_add_u32 s4, s40, s0
	s_addc_u32 s5, s41, s1
	s_lshl_b64 s[0:1], s[42:43], 4
	s_add_u32 s50, s4, s0
	v_bfe_u32 v16, v0, 10, 10
	s_addc_u32 s51, s5, s1
	s_lshl_b32 s52, s6, 5
	v_and_b32_e32 v0, 0x3ff, v0
	v_add_u32_e32 v18, s52, v0
	v_ashrrev_i32_e32 v19, 31, v18
	v_mul_lo_u32 v1, v19, s20
	v_mul_lo_u32 v3, v18, s21
	v_mad_u64_u32 v[4:5], s[0:1], v18, s20, 0
	v_add3_u32 v5, v5, v3, v1
	v_lshlrev_b64 v[4:5], 4, v[4:5]
	v_mov_b32_e32 v1, s3
	v_add_co_u32_e32 v3, vcc, s2, v4
	v_addc_co_u32_e32 v4, vcc, v1, v5, vcc
	v_lshlrev_b32_e32 v6, 4, v16
	v_add_co_u32_e32 v1, vcc, v3, v6
	s_cmp_gt_i32 s6, -1
	v_addc_co_u32_e32 v17, vcc, 0, v4, vcc
	s_cselect_b64 s[18:19], -1, 0
	s_cmpk_eq_i32 s44, 0x84
	s_cselect_b64 s[22:23], -1, 0
	s_ashr_i32 s35, s45, 31
	s_ashr_i32 s6, s46, 31
	v_add_co_u32_e32 v20, vcc, 16, v18
	v_addc_co_u32_e32 v21, vcc, 0, v19, vcc
	s_add_u32 s40, s45, -16
	s_mul_i32 s9, s39, s8
	s_mul_hi_u32 s39, s38, s8
	s_addc_u32 s41, s35, -1
	v_sub_co_u32_e32 v24, vcc, v18, v16
	s_add_i32 s9, s39, s9
	s_mul_i32 s8, s38, s8
	v_subbrev_co_u32_e32 v25, vcc, 0, v19, vcc
	s_lshl_b64 s[8:9], s[8:9], 4
	s_lshl_b64 s[26:27], s[26:27], 4
	v_add_co_u32_e32 v26, vcc, 16, v24
	s_add_u32 s8, s8, s26
	v_addc_co_u32_e32 v27, vcc, 0, v25, vcc
	s_addc_u32 s9, s9, s27
	v_add_co_u32_e32 v28, vcc, -16, v24
	s_add_u32 s8, s24, s8
	v_lshlrev_b32_e32 v3, 9, v16
	v_lshlrev_b32_e32 v56, 4, v0
	v_addc_co_u32_e32 v29, vcc, -1, v25, vcc
	s_addc_u32 s9, s25, s9
	v_add_u32_e32 v57, v56, v3
	v_add_u32_e32 v58, 0x4000, v3
	v_mov_b32_e32 v3, s9
	v_add_co_u32_e32 v4, vcc, s8, v56
	s_movk_i32 s42, 0x100
	v_addc_co_u32_e32 v3, vcc, 0, v3, vcc
	v_add_co_u32_e32 v30, vcc, s42, v4
	v_addc_co_u32_e32 v31, vcc, 0, v3, vcc
	s_lshl_b64 s[24:25], s[36:37], 4
	s_lshl_b32 s53, s47, 5
	v_lshlrev_b64 v[34:35], 4, v[18:19]
	v_add_co_u32_e32 v3, vcc, s42, v34
	s_add_u32 s8, s12, s10
	v_addc_co_u32_e32 v4, vcc, 0, v35, vcc
	s_addc_u32 s9, s13, s11
	v_mul_lo_u32 v7, s20, v4
	v_pk_mov_b32 v[4:5], s[8:9], s[8:9] op_sel:[0,1]
	v_mul_lo_u32 v8, s21, v3
	v_mad_u64_u32 v[4:5], s[8:9], s20, v3, v[4:5]
	v_add3_u32 v3, v8, v5, v7
	v_add_co_u32_e32 v4, vcc, v4, v6
	v_addc_co_u32_e32 v3, vcc, 0, v3, vcc
	s_mov_b32 s34, s45
	v_add_u32_e32 v59, v58, v56
	v_add_u32_e32 v22, 16, v18
	v_mov_b32_e32 v5, s17
	v_add_co_u32_e32 v63, vcc, s16, v4
	v_mov_b32_e32 v2, 0
	v_cmp_le_i32_e64 s[0:1], s45, v18
	v_cmp_le_i64_e64 s[2:3], s[34:35], v[20:21]
	v_add_u32_e32 v60, 0x100, v59
	v_add_u32_e32 v61, 0x2000, v59
	;; [unrolled: 1-line block ×3, first 2 shown]
	v_cmp_gt_i32_e64 s[4:5], s45, v18
	v_cmp_gt_i32_e64 s[14:15], s45, v22
	v_ashrrev_i32_e32 v23, 31, v22
	v_lshl_add_u32 v32, s7, 5, v16
	v_addc_co_u32_e32 v64, vcc, v5, v3, vcc
	v_mov_b32_e32 v3, 0x3ff00000
	s_branch .LBB118_4
.LBB118_3:                              ;   in Loop: Header=BB118_4 Depth=1
	s_or_b64 exec, exec, s[8:9]
	s_add_i32 s7, s47, s7
	s_cmp_le_i32 s7, s33
	v_add_u32_e32 v32, s53, v32
	s_cbranch_scc0 .LBB118_63
.LBB118_4:                              ; =>This Loop Header: Depth=1
                                        ;     Child Loop BB118_7 Depth 2
	v_lshl_add_u32 v65, s7, 5, v16
	v_pk_mov_b32 v[52:53], 0, 0
	v_ashrrev_i32_e32 v66, 31, v65
	s_mov_b64 s[20:21], 0
	s_andn2_b64 vcc, exec, s[18:19]
	v_pk_mov_b32 v[54:55], v[52:53], v[52:53] op_sel:[0,1]
	v_pk_mov_b32 v[48:49], v[52:53], v[52:53] op_sel:[0,1]
	;; [unrolled: 1-line block ×7, first 2 shown]
	s_cbranch_vccnz .LBB118_55
; %bb.5:                                ;   in Loop: Header=BB118_4 Depth=1
	v_ashrrev_i32_e32 v33, 31, v32
	v_mad_u64_u32 v[36:37], s[8:9], s24, v32, v[30:31]
	v_mul_lo_u32 v4, s25, v32
	v_mul_lo_u32 v5, s24, v33
	v_add3_u32 v37, v4, v37, v5
	v_lshlrev_b64 v[4:5], 4, v[32:33]
	v_add_co_u32_e32 v4, vcc, 0x100, v4
	v_addc_co_u32_e32 v5, vcc, 0, v5, vcc
	v_mul_lo_u32 v5, s36, v5
	v_mul_lo_u32 v6, s37, v4
	v_mad_u64_u32 v[38:39], s[8:9], s36, v4, v[30:31]
	v_add3_u32 v39, v6, v39, v5
	v_mov_b32_e32 v5, s6
	v_sub_co_u32_e32 v4, vcc, s46, v65
	v_subb_co_u32_e32 v5, vcc, v5, v66, vcc
	v_pk_mov_b32 v[40:41], 0, 0
	v_cmp_lt_i64_e32 vcc, 0, v[4:5]
	v_cmp_lt_i64_e64 s[8:9], 16, v[4:5]
	s_mov_b64 s[26:27], 0
	v_pk_mov_b32 v[42:43], v[40:41], v[40:41] op_sel:[0,1]
	v_pk_mov_b32 v[46:47], v[40:41], v[40:41] op_sel:[0,1]
	;; [unrolled: 1-line block ×7, first 2 shown]
	s_branch .LBB118_7
.LBB118_6:                              ;   in Loop: Header=BB118_7 Depth=2
	s_or_b64 exec, exec, s[12:13]
	s_waitcnt lgkmcnt(0)
	s_barrier
	ds_read_b128 v[68:71], v56
	ds_read_b128 v[72:75], v58
	ds_read_b128 v[12:15], v58 offset:16
	ds_read_b128 v[8:11], v58 offset:32
	;; [unrolled: 1-line block ×4, first 2 shown]
	s_waitcnt lgkmcnt(4)
	v_mul_f64 v[80:81], v[74:75], v[70:71]
	v_fma_f64 v[80:81], v[72:73], v[68:69], -v[80:81]
	v_mul_f64 v[82:83], v[72:73], v[70:71]
	v_fmac_f64_e32 v[82:83], v[74:75], v[68:69]
	v_add_f64 v[80:81], v[52:53], v[80:81]
	s_waitcnt lgkmcnt(0)
	v_mul_f64 v[52:53], v[74:75], v[78:79]
	v_add_f64 v[82:83], v[54:55], v[82:83]
	v_fma_f64 v[84:85], v[72:73], v[76:77], -v[52:53]
	ds_read_b128 v[52:55], v58 offset:8192
	v_mul_f64 v[72:73], v[72:73], v[78:79]
	v_fmac_f64_e32 v[72:73], v[74:75], v[76:77]
	v_add_f64 v[74:75], v[48:49], v[84:85]
	v_add_f64 v[72:73], v[50:51], v[72:73]
	ds_read_b128 v[48:51], v58 offset:8208
	s_waitcnt lgkmcnt(1)
	v_mul_f64 v[84:85], v[54:55], v[70:71]
	v_fma_f64 v[84:85], v[52:53], v[68:69], -v[84:85]
	v_mul_f64 v[70:71], v[52:53], v[70:71]
	v_fmac_f64_e32 v[70:71], v[54:55], v[68:69]
	v_add_f64 v[68:69], v[44:45], v[84:85]
	v_mul_f64 v[44:45], v[54:55], v[78:79]
	v_add_f64 v[70:71], v[46:47], v[70:71]
	v_fma_f64 v[84:85], v[52:53], v[76:77], -v[44:45]
	v_mul_f64 v[52:53], v[52:53], v[78:79]
	ds_read_b128 v[44:47], v56 offset:512
	v_fmac_f64_e32 v[52:53], v[54:55], v[76:77]
	v_add_f64 v[54:55], v[42:43], v[84:85]
	v_add_f64 v[52:53], v[40:41], v[52:53]
	ds_read_b128 v[40:43], v56 offset:768
	s_waitcnt lgkmcnt(1)
	v_mul_f64 v[76:77], v[14:15], v[46:47]
	v_fma_f64 v[76:77], v[12:13], v[44:45], -v[76:77]
	v_add_f64 v[76:77], v[80:81], v[76:77]
	v_mul_f64 v[78:79], v[12:13], v[46:47]
	s_waitcnt lgkmcnt(0)
	v_mul_f64 v[80:81], v[14:15], v[42:43]
	v_fma_f64 v[80:81], v[12:13], v[40:41], -v[80:81]
	v_mul_f64 v[12:13], v[12:13], v[42:43]
	v_fmac_f64_e32 v[12:13], v[14:15], v[40:41]
	v_fmac_f64_e32 v[78:79], v[14:15], v[44:45]
	v_add_f64 v[72:73], v[72:73], v[12:13]
	v_mul_f64 v[12:13], v[50:51], v[46:47]
	v_mul_f64 v[14:15], v[48:49], v[46:47]
	v_fma_f64 v[12:13], v[48:49], v[44:45], -v[12:13]
	v_fmac_f64_e32 v[14:15], v[50:51], v[44:45]
	v_mul_f64 v[44:45], v[50:51], v[42:43]
	v_fma_f64 v[46:47], v[48:49], v[40:41], -v[44:45]
	v_mul_f64 v[48:49], v[48:49], v[42:43]
	ds_read_b128 v[42:45], v56 offset:1024
	v_fmac_f64_e32 v[48:49], v[50:51], v[40:41]
	v_add_f64 v[40:41], v[54:55], v[46:47]
	v_add_f64 v[54:55], v[52:53], v[48:49]
	ds_read_b128 v[46:49], v56 offset:1280
	s_waitcnt lgkmcnt(1)
	v_mul_f64 v[50:51], v[10:11], v[44:45]
	v_fma_f64 v[50:51], v[8:9], v[42:43], -v[50:51]
	v_mul_f64 v[52:53], v[8:9], v[44:45]
	v_add_f64 v[78:79], v[82:83], v[78:79]
	v_add_f64 v[12:13], v[68:69], v[12:13]
	v_fmac_f64_e32 v[52:53], v[10:11], v[42:43]
	v_add_f64 v[68:69], v[76:77], v[50:51]
	s_waitcnt lgkmcnt(0)
	v_mul_f64 v[50:51], v[10:11], v[48:49]
	v_add_f64 v[14:15], v[70:71], v[14:15]
	v_add_f64 v[70:71], v[78:79], v[52:53]
	v_fma_f64 v[76:77], v[8:9], v[46:47], -v[50:51]
	ds_read_b128 v[50:53], v58 offset:8224
	v_mul_f64 v[8:9], v[8:9], v[48:49]
	v_add_f64 v[74:75], v[74:75], v[80:81]
	v_fmac_f64_e32 v[8:9], v[10:11], v[46:47]
	v_add_f64 v[74:75], v[74:75], v[76:77]
	v_add_f64 v[72:73], v[72:73], v[8:9]
	ds_read_b128 v[8:11], v58 offset:8240
	s_waitcnt lgkmcnt(1)
	v_mul_f64 v[76:77], v[52:53], v[44:45]
	v_fma_f64 v[76:77], v[50:51], v[42:43], -v[76:77]
	v_mul_f64 v[44:45], v[50:51], v[44:45]
	v_add_f64 v[76:77], v[12:13], v[76:77]
	v_mul_f64 v[12:13], v[52:53], v[48:49]
	v_fmac_f64_e32 v[44:45], v[52:53], v[42:43]
	v_fma_f64 v[42:43], v[50:51], v[46:47], -v[12:13]
	v_mul_f64 v[48:49], v[50:51], v[48:49]
	v_add_f64 v[44:45], v[14:15], v[44:45]
	ds_read_b128 v[12:15], v56 offset:1536
	v_fmac_f64_e32 v[48:49], v[52:53], v[46:47]
	v_add_f64 v[46:47], v[40:41], v[42:43]
	ds_read_b128 v[40:43], v56 offset:1792
	v_add_f64 v[48:49], v[54:55], v[48:49]
	s_waitcnt lgkmcnt(1)
	v_mul_f64 v[50:51], v[6:7], v[14:15]
	v_fma_f64 v[50:51], v[4:5], v[12:13], -v[50:51]
	v_mul_f64 v[52:53], v[4:5], v[14:15]
	s_waitcnt lgkmcnt(0)
	v_mul_f64 v[54:55], v[6:7], v[42:43]
	v_fma_f64 v[54:55], v[4:5], v[40:41], -v[54:55]
	v_mul_f64 v[4:5], v[4:5], v[42:43]
	v_fmac_f64_e32 v[4:5], v[6:7], v[40:41]
	v_fmac_f64_e32 v[52:53], v[6:7], v[12:13]
	v_add_f64 v[50:51], v[68:69], v[50:51]
	v_add_f64 v[68:69], v[72:73], v[4:5]
	v_mul_f64 v[4:5], v[10:11], v[14:15]
	v_mul_f64 v[6:7], v[8:9], v[14:15]
	v_fma_f64 v[4:5], v[8:9], v[12:13], -v[4:5]
	v_fmac_f64_e32 v[6:7], v[10:11], v[12:13]
	v_mul_f64 v[12:13], v[10:11], v[42:43]
	v_mul_f64 v[42:43], v[8:9], v[42:43]
	v_add_f64 v[6:7], v[44:45], v[6:7]
	v_fma_f64 v[44:45], v[8:9], v[40:41], -v[12:13]
	v_fmac_f64_e32 v[42:43], v[10:11], v[40:41]
	ds_read_b128 v[8:11], v58 offset:64
	ds_read_b128 v[12:15], v56 offset:2048
	v_add_f64 v[52:53], v[70:71], v[52:53]
	v_add_f64 v[70:71], v[46:47], v[44:45]
	;; [unrolled: 1-line block ×3, first 2 shown]
	ds_read_b128 v[40:43], v56 offset:2304
	ds_read_b128 v[44:47], v58 offset:80
	s_waitcnt lgkmcnt(2)
	v_mul_f64 v[48:49], v[10:11], v[14:15]
	v_add_f64 v[54:55], v[74:75], v[54:55]
	v_fma_f64 v[48:49], v[8:9], v[12:13], -v[48:49]
	v_mul_f64 v[74:75], v[8:9], v[14:15]
	v_add_f64 v[4:5], v[76:77], v[4:5]
	v_fmac_f64_e32 v[74:75], v[10:11], v[12:13]
	v_add_f64 v[76:77], v[50:51], v[48:49]
	s_waitcnt lgkmcnt(1)
	v_mul_f64 v[48:49], v[10:11], v[42:43]
	v_add_f64 v[52:53], v[52:53], v[74:75]
	v_fma_f64 v[74:75], v[8:9], v[40:41], -v[48:49]
	ds_read_b128 v[48:51], v58 offset:8256
	v_mul_f64 v[8:9], v[8:9], v[42:43]
	v_fmac_f64_e32 v[8:9], v[10:11], v[40:41]
	v_add_f64 v[54:55], v[54:55], v[74:75]
	v_add_f64 v[68:69], v[68:69], v[8:9]
	ds_read_b128 v[8:11], v58 offset:8272
	s_waitcnt lgkmcnt(1)
	v_mul_f64 v[74:75], v[50:51], v[14:15]
	v_fma_f64 v[74:75], v[48:49], v[12:13], -v[74:75]
	v_mul_f64 v[14:15], v[48:49], v[14:15]
	v_fmac_f64_e32 v[14:15], v[50:51], v[12:13]
	v_add_f64 v[74:75], v[4:5], v[74:75]
	v_mul_f64 v[4:5], v[50:51], v[42:43]
	v_add_f64 v[78:79], v[6:7], v[14:15]
	v_fma_f64 v[12:13], v[48:49], v[40:41], -v[4:5]
	v_mul_f64 v[14:15], v[48:49], v[42:43]
	ds_read_b128 v[4:7], v56 offset:2560
	v_fmac_f64_e32 v[14:15], v[50:51], v[40:41]
	v_add_f64 v[40:41], v[70:71], v[12:13]
	v_add_f64 v[42:43], v[72:73], v[14:15]
	ds_read_b128 v[12:15], v56 offset:2816
	s_waitcnt lgkmcnt(1)
	v_mul_f64 v[50:51], v[44:45], v[6:7]
	v_fmac_f64_e32 v[50:51], v[46:47], v[4:5]
	v_mul_f64 v[48:49], v[46:47], v[6:7]
	v_add_f64 v[50:51], v[52:53], v[50:51]
	s_waitcnt lgkmcnt(0)
	v_mul_f64 v[52:53], v[46:47], v[14:15]
	v_fma_f64 v[48:49], v[44:45], v[4:5], -v[48:49]
	v_fma_f64 v[52:53], v[44:45], v[12:13], -v[52:53]
	v_mul_f64 v[44:45], v[44:45], v[14:15]
	v_fmac_f64_e32 v[44:45], v[46:47], v[12:13]
	v_add_f64 v[52:53], v[54:55], v[52:53]
	v_add_f64 v[54:55], v[68:69], v[44:45]
	v_mul_f64 v[44:45], v[10:11], v[6:7]
	v_fma_f64 v[44:45], v[8:9], v[4:5], -v[44:45]
	v_mul_f64 v[6:7], v[8:9], v[6:7]
	v_fmac_f64_e32 v[6:7], v[10:11], v[4:5]
	v_add_f64 v[4:5], v[74:75], v[44:45]
	v_mul_f64 v[44:45], v[10:11], v[14:15]
	v_mul_f64 v[46:47], v[8:9], v[14:15]
	v_fma_f64 v[44:45], v[8:9], v[12:13], -v[44:45]
	v_fmac_f64_e32 v[46:47], v[10:11], v[12:13]
	ds_read_b128 v[8:11], v58 offset:96
	ds_read_b128 v[12:15], v56 offset:3072
	v_add_f64 v[68:69], v[40:41], v[44:45]
	v_add_f64 v[70:71], v[42:43], v[46:47]
	ds_read_b128 v[40:43], v56 offset:3328
	ds_read_b128 v[44:47], v58 offset:112
	v_add_f64 v[48:49], v[76:77], v[48:49]
	s_waitcnt lgkmcnt(2)
	v_mul_f64 v[72:73], v[10:11], v[14:15]
	v_fma_f64 v[72:73], v[8:9], v[12:13], -v[72:73]
	v_mul_f64 v[74:75], v[8:9], v[14:15]
	v_fmac_f64_e32 v[74:75], v[10:11], v[12:13]
	v_add_f64 v[72:73], v[48:49], v[72:73]
	s_waitcnt lgkmcnt(1)
	v_mul_f64 v[48:49], v[10:11], v[42:43]
	v_add_f64 v[74:75], v[50:51], v[74:75]
	v_fma_f64 v[76:77], v[8:9], v[40:41], -v[48:49]
	ds_read_b128 v[48:51], v58 offset:8288
	v_mul_f64 v[8:9], v[8:9], v[42:43]
	v_fmac_f64_e32 v[8:9], v[10:11], v[40:41]
	v_add_f64 v[52:53], v[52:53], v[76:77]
	v_add_f64 v[54:55], v[54:55], v[8:9]
	ds_read_b128 v[8:11], v58 offset:8304
	s_waitcnt lgkmcnt(1)
	v_mul_f64 v[76:77], v[50:51], v[14:15]
	v_mul_f64 v[14:15], v[48:49], v[14:15]
	v_add_f64 v[6:7], v[78:79], v[6:7]
	v_fma_f64 v[76:77], v[48:49], v[12:13], -v[76:77]
	v_fmac_f64_e32 v[14:15], v[50:51], v[12:13]
	v_add_f64 v[76:77], v[4:5], v[76:77]
	v_add_f64 v[78:79], v[6:7], v[14:15]
	v_mul_f64 v[4:5], v[50:51], v[42:43]
	v_mul_f64 v[14:15], v[48:49], v[42:43]
	v_fma_f64 v[12:13], v[48:49], v[40:41], -v[4:5]
	v_fmac_f64_e32 v[14:15], v[50:51], v[40:41]
	ds_read_b128 v[4:7], v56 offset:3584
	v_add_f64 v[40:41], v[68:69], v[12:13]
	v_add_f64 v[42:43], v[70:71], v[14:15]
	ds_read_b128 v[12:15], v56 offset:3840
	s_add_u32 s26, s26, 32
	s_waitcnt lgkmcnt(1)
	v_mul_f64 v[48:49], v[46:47], v[6:7]
	v_fma_f64 v[48:49], v[44:45], v[4:5], -v[48:49]
	v_mul_f64 v[50:51], v[44:45], v[6:7]
	s_waitcnt lgkmcnt(0)
	v_mul_f64 v[68:69], v[46:47], v[14:15]
	v_fma_f64 v[68:69], v[44:45], v[12:13], -v[68:69]
	v_mul_f64 v[44:45], v[44:45], v[14:15]
	v_fmac_f64_e32 v[44:45], v[46:47], v[12:13]
	v_add_f64 v[54:55], v[54:55], v[44:45]
	v_mul_f64 v[44:45], v[10:11], v[6:7]
	v_fma_f64 v[44:45], v[8:9], v[4:5], -v[44:45]
	v_mul_f64 v[6:7], v[8:9], v[6:7]
	v_fmac_f64_e32 v[50:51], v[46:47], v[4:5]
	v_fmac_f64_e32 v[6:7], v[10:11], v[4:5]
	v_add_f64 v[4:5], v[76:77], v[44:45]
	v_mul_f64 v[44:45], v[10:11], v[14:15]
	v_mul_f64 v[46:47], v[8:9], v[14:15]
	v_fma_f64 v[44:45], v[8:9], v[12:13], -v[44:45]
	v_fmac_f64_e32 v[46:47], v[10:11], v[12:13]
	ds_read_b128 v[8:11], v58 offset:128
	ds_read_b128 v[12:15], v56 offset:4096
	v_add_f64 v[52:53], v[52:53], v[68:69]
	v_add_f64 v[68:69], v[40:41], v[44:45]
	v_add_f64 v[70:71], v[42:43], v[46:47]
	ds_read_b128 v[40:43], v56 offset:4352
	ds_read_b128 v[44:47], v58 offset:144
	v_add_f64 v[48:49], v[72:73], v[48:49]
	s_waitcnt lgkmcnt(2)
	v_mul_f64 v[72:73], v[10:11], v[14:15]
	v_add_f64 v[50:51], v[74:75], v[50:51]
	v_fma_f64 v[72:73], v[8:9], v[12:13], -v[72:73]
	v_mul_f64 v[74:75], v[8:9], v[14:15]
	v_fmac_f64_e32 v[74:75], v[10:11], v[12:13]
	v_add_f64 v[72:73], v[48:49], v[72:73]
	s_waitcnt lgkmcnt(1)
	v_mul_f64 v[48:49], v[10:11], v[42:43]
	v_add_f64 v[74:75], v[50:51], v[74:75]
	v_fma_f64 v[76:77], v[8:9], v[40:41], -v[48:49]
	ds_read_b128 v[48:51], v58 offset:8320
	v_mul_f64 v[8:9], v[8:9], v[42:43]
	v_fmac_f64_e32 v[8:9], v[10:11], v[40:41]
	v_add_f64 v[52:53], v[52:53], v[76:77]
	v_add_f64 v[54:55], v[54:55], v[8:9]
	ds_read_b128 v[8:11], v58 offset:8336
	s_waitcnt lgkmcnt(1)
	v_mul_f64 v[76:77], v[50:51], v[14:15]
	v_mul_f64 v[14:15], v[48:49], v[14:15]
	v_add_f64 v[6:7], v[78:79], v[6:7]
	v_fma_f64 v[76:77], v[48:49], v[12:13], -v[76:77]
	v_fmac_f64_e32 v[14:15], v[50:51], v[12:13]
	v_add_f64 v[76:77], v[4:5], v[76:77]
	v_add_f64 v[78:79], v[6:7], v[14:15]
	v_mul_f64 v[4:5], v[50:51], v[42:43]
	v_mul_f64 v[14:15], v[48:49], v[42:43]
	v_fma_f64 v[12:13], v[48:49], v[40:41], -v[4:5]
	v_fmac_f64_e32 v[14:15], v[50:51], v[40:41]
	ds_read_b128 v[4:7], v56 offset:4608
	v_add_f64 v[40:41], v[68:69], v[12:13]
	v_add_f64 v[42:43], v[70:71], v[14:15]
	ds_read_b128 v[12:15], v56 offset:4864
	s_addc_u32 s27, s27, 0
	s_waitcnt lgkmcnt(1)
	v_mul_f64 v[48:49], v[46:47], v[6:7]
	v_fma_f64 v[48:49], v[44:45], v[4:5], -v[48:49]
	v_mul_f64 v[50:51], v[44:45], v[6:7]
	s_waitcnt lgkmcnt(0)
	v_mul_f64 v[68:69], v[46:47], v[14:15]
	v_fma_f64 v[68:69], v[44:45], v[12:13], -v[68:69]
	v_mul_f64 v[44:45], v[44:45], v[14:15]
	v_fmac_f64_e32 v[44:45], v[46:47], v[12:13]
	v_add_f64 v[54:55], v[54:55], v[44:45]
	v_mul_f64 v[44:45], v[10:11], v[6:7]
	v_fma_f64 v[44:45], v[8:9], v[4:5], -v[44:45]
	v_mul_f64 v[6:7], v[8:9], v[6:7]
	v_fmac_f64_e32 v[50:51], v[46:47], v[4:5]
	v_fmac_f64_e32 v[6:7], v[10:11], v[4:5]
	v_add_f64 v[4:5], v[76:77], v[44:45]
	v_mul_f64 v[44:45], v[10:11], v[14:15]
	v_mul_f64 v[46:47], v[8:9], v[14:15]
	v_fma_f64 v[44:45], v[8:9], v[12:13], -v[44:45]
	v_fmac_f64_e32 v[46:47], v[10:11], v[12:13]
	ds_read_b128 v[8:11], v58 offset:160
	ds_read_b128 v[12:15], v56 offset:5120
	v_add_f64 v[52:53], v[52:53], v[68:69]
	v_add_f64 v[68:69], v[40:41], v[44:45]
	;; [unrolled: 1-line block ×3, first 2 shown]
	ds_read_b128 v[40:43], v56 offset:5376
	ds_read_b128 v[44:47], v58 offset:176
	v_add_f64 v[48:49], v[72:73], v[48:49]
	s_waitcnt lgkmcnt(2)
	v_mul_f64 v[72:73], v[10:11], v[14:15]
	v_add_f64 v[50:51], v[74:75], v[50:51]
	v_fma_f64 v[72:73], v[8:9], v[12:13], -v[72:73]
	v_mul_f64 v[74:75], v[8:9], v[14:15]
	v_fmac_f64_e32 v[74:75], v[10:11], v[12:13]
	v_add_f64 v[72:73], v[48:49], v[72:73]
	s_waitcnt lgkmcnt(1)
	v_mul_f64 v[48:49], v[10:11], v[42:43]
	v_add_f64 v[74:75], v[50:51], v[74:75]
	v_fma_f64 v[76:77], v[8:9], v[40:41], -v[48:49]
	ds_read_b128 v[48:51], v58 offset:8352
	v_mul_f64 v[8:9], v[8:9], v[42:43]
	v_fmac_f64_e32 v[8:9], v[10:11], v[40:41]
	v_add_f64 v[52:53], v[52:53], v[76:77]
	v_add_f64 v[54:55], v[54:55], v[8:9]
	ds_read_b128 v[8:11], v58 offset:8368
	s_waitcnt lgkmcnt(1)
	v_mul_f64 v[76:77], v[50:51], v[14:15]
	v_mul_f64 v[14:15], v[48:49], v[14:15]
	v_add_f64 v[6:7], v[78:79], v[6:7]
	v_fma_f64 v[76:77], v[48:49], v[12:13], -v[76:77]
	v_fmac_f64_e32 v[14:15], v[50:51], v[12:13]
	v_add_f64 v[76:77], v[4:5], v[76:77]
	v_add_f64 v[78:79], v[6:7], v[14:15]
	v_mul_f64 v[4:5], v[50:51], v[42:43]
	v_mul_f64 v[14:15], v[48:49], v[42:43]
	v_fma_f64 v[12:13], v[48:49], v[40:41], -v[4:5]
	v_fmac_f64_e32 v[14:15], v[50:51], v[40:41]
	ds_read_b128 v[4:7], v56 offset:5632
	v_add_f64 v[40:41], v[68:69], v[12:13]
	v_add_f64 v[42:43], v[70:71], v[14:15]
	ds_read_b128 v[12:15], v56 offset:5888
	s_sub_i32 s10, s26, 32
	s_waitcnt lgkmcnt(1)
	v_mul_f64 v[48:49], v[46:47], v[6:7]
	v_fma_f64 v[48:49], v[44:45], v[4:5], -v[48:49]
	v_mul_f64 v[50:51], v[44:45], v[6:7]
	s_waitcnt lgkmcnt(0)
	v_mul_f64 v[68:69], v[46:47], v[14:15]
	v_fma_f64 v[68:69], v[44:45], v[12:13], -v[68:69]
	v_mul_f64 v[44:45], v[44:45], v[14:15]
	v_fmac_f64_e32 v[44:45], v[46:47], v[12:13]
	v_add_f64 v[54:55], v[54:55], v[44:45]
	v_mul_f64 v[44:45], v[10:11], v[6:7]
	v_fma_f64 v[44:45], v[8:9], v[4:5], -v[44:45]
	v_mul_f64 v[6:7], v[8:9], v[6:7]
	v_fmac_f64_e32 v[50:51], v[46:47], v[4:5]
	v_fmac_f64_e32 v[6:7], v[10:11], v[4:5]
	v_add_f64 v[4:5], v[76:77], v[44:45]
	v_mul_f64 v[44:45], v[10:11], v[14:15]
	v_mul_f64 v[46:47], v[8:9], v[14:15]
	v_fma_f64 v[44:45], v[8:9], v[12:13], -v[44:45]
	v_fmac_f64_e32 v[46:47], v[10:11], v[12:13]
	ds_read_b128 v[8:11], v58 offset:192
	ds_read_b128 v[12:15], v56 offset:6144
	v_add_f64 v[52:53], v[52:53], v[68:69]
	v_add_f64 v[68:69], v[40:41], v[44:45]
	;; [unrolled: 1-line block ×3, first 2 shown]
	ds_read_b128 v[40:43], v56 offset:6400
	ds_read_b128 v[44:47], v58 offset:208
	v_add_f64 v[48:49], v[72:73], v[48:49]
	s_waitcnt lgkmcnt(2)
	v_mul_f64 v[72:73], v[10:11], v[14:15]
	v_add_f64 v[50:51], v[74:75], v[50:51]
	v_fma_f64 v[72:73], v[8:9], v[12:13], -v[72:73]
	v_mul_f64 v[74:75], v[8:9], v[14:15]
	v_fmac_f64_e32 v[74:75], v[10:11], v[12:13]
	v_add_f64 v[72:73], v[48:49], v[72:73]
	s_waitcnt lgkmcnt(1)
	v_mul_f64 v[48:49], v[10:11], v[42:43]
	v_add_f64 v[74:75], v[50:51], v[74:75]
	v_fma_f64 v[76:77], v[8:9], v[40:41], -v[48:49]
	ds_read_b128 v[48:51], v58 offset:8384
	v_mul_f64 v[8:9], v[8:9], v[42:43]
	v_fmac_f64_e32 v[8:9], v[10:11], v[40:41]
	v_add_f64 v[52:53], v[52:53], v[76:77]
	v_add_f64 v[54:55], v[54:55], v[8:9]
	ds_read_b128 v[8:11], v58 offset:8400
	s_waitcnt lgkmcnt(1)
	v_mul_f64 v[76:77], v[50:51], v[14:15]
	v_mul_f64 v[14:15], v[48:49], v[14:15]
	v_add_f64 v[6:7], v[78:79], v[6:7]
	v_fma_f64 v[76:77], v[48:49], v[12:13], -v[76:77]
	v_fmac_f64_e32 v[14:15], v[50:51], v[12:13]
	v_add_f64 v[76:77], v[4:5], v[76:77]
	v_add_f64 v[78:79], v[6:7], v[14:15]
	v_mul_f64 v[4:5], v[50:51], v[42:43]
	v_mul_f64 v[14:15], v[48:49], v[42:43]
	v_fma_f64 v[12:13], v[48:49], v[40:41], -v[4:5]
	v_fmac_f64_e32 v[14:15], v[50:51], v[40:41]
	ds_read_b128 v[4:7], v56 offset:6656
	v_add_f64 v[40:41], v[68:69], v[12:13]
	v_add_f64 v[42:43], v[70:71], v[14:15]
	ds_read_b128 v[12:15], v56 offset:6912
	s_add_u32 s20, s20, 0x200
	s_waitcnt lgkmcnt(1)
	v_mul_f64 v[48:49], v[46:47], v[6:7]
	v_fma_f64 v[48:49], v[44:45], v[4:5], -v[48:49]
	v_mul_f64 v[50:51], v[44:45], v[6:7]
	s_waitcnt lgkmcnt(0)
	v_mul_f64 v[68:69], v[46:47], v[14:15]
	v_fma_f64 v[68:69], v[44:45], v[12:13], -v[68:69]
	v_mul_f64 v[44:45], v[44:45], v[14:15]
	v_fmac_f64_e32 v[44:45], v[46:47], v[12:13]
	v_add_f64 v[54:55], v[54:55], v[44:45]
	v_mul_f64 v[44:45], v[10:11], v[6:7]
	v_fma_f64 v[44:45], v[8:9], v[4:5], -v[44:45]
	v_mul_f64 v[6:7], v[8:9], v[6:7]
	v_fmac_f64_e32 v[50:51], v[46:47], v[4:5]
	v_fmac_f64_e32 v[6:7], v[10:11], v[4:5]
	v_add_f64 v[4:5], v[76:77], v[44:45]
	v_mul_f64 v[44:45], v[10:11], v[14:15]
	v_mul_f64 v[46:47], v[8:9], v[14:15]
	v_fma_f64 v[44:45], v[8:9], v[12:13], -v[44:45]
	v_fmac_f64_e32 v[46:47], v[10:11], v[12:13]
	ds_read_b128 v[8:11], v58 offset:224
	ds_read_b128 v[12:15], v56 offset:7168
	v_add_f64 v[52:53], v[52:53], v[68:69]
	v_add_f64 v[68:69], v[40:41], v[44:45]
	;; [unrolled: 1-line block ×3, first 2 shown]
	ds_read_b128 v[40:43], v56 offset:7424
	ds_read_b128 v[44:47], v58 offset:240
	v_add_f64 v[48:49], v[72:73], v[48:49]
	s_waitcnt lgkmcnt(2)
	v_mul_f64 v[72:73], v[10:11], v[14:15]
	v_add_f64 v[50:51], v[74:75], v[50:51]
	v_fma_f64 v[72:73], v[8:9], v[12:13], -v[72:73]
	v_mul_f64 v[74:75], v[8:9], v[14:15]
	v_fmac_f64_e32 v[74:75], v[10:11], v[12:13]
	v_add_f64 v[72:73], v[48:49], v[72:73]
	s_waitcnt lgkmcnt(1)
	v_mul_f64 v[48:49], v[10:11], v[42:43]
	v_add_f64 v[74:75], v[50:51], v[74:75]
	v_fma_f64 v[76:77], v[8:9], v[40:41], -v[48:49]
	ds_read_b128 v[48:51], v58 offset:8416
	v_mul_f64 v[8:9], v[8:9], v[42:43]
	v_fmac_f64_e32 v[8:9], v[10:11], v[40:41]
	v_add_f64 v[52:53], v[52:53], v[76:77]
	v_add_f64 v[54:55], v[54:55], v[8:9]
	ds_read_b128 v[8:11], v58 offset:8432
	s_waitcnt lgkmcnt(1)
	v_mul_f64 v[76:77], v[50:51], v[14:15]
	v_mul_f64 v[14:15], v[48:49], v[14:15]
	v_add_f64 v[6:7], v[78:79], v[6:7]
	v_fma_f64 v[76:77], v[48:49], v[12:13], -v[76:77]
	v_fmac_f64_e32 v[14:15], v[50:51], v[12:13]
	v_add_f64 v[76:77], v[4:5], v[76:77]
	v_add_f64 v[78:79], v[6:7], v[14:15]
	v_mul_f64 v[4:5], v[50:51], v[42:43]
	v_mul_f64 v[14:15], v[48:49], v[42:43]
	v_fma_f64 v[12:13], v[48:49], v[40:41], -v[4:5]
	v_fmac_f64_e32 v[14:15], v[50:51], v[40:41]
	ds_read_b128 v[4:7], v56 offset:7680
	v_add_f64 v[40:41], v[68:69], v[12:13]
	v_add_f64 v[42:43], v[70:71], v[14:15]
	ds_read_b128 v[12:15], v56 offset:7936
	s_addc_u32 s21, s21, 0
	s_waitcnt lgkmcnt(1)
	v_mul_f64 v[48:49], v[46:47], v[6:7]
	v_fma_f64 v[48:49], v[44:45], v[4:5], -v[48:49]
	v_mul_f64 v[50:51], v[44:45], v[6:7]
	s_waitcnt lgkmcnt(0)
	v_mul_f64 v[68:69], v[46:47], v[14:15]
	v_fma_f64 v[68:69], v[44:45], v[12:13], -v[68:69]
	v_mul_f64 v[44:45], v[44:45], v[14:15]
	v_fmac_f64_e32 v[44:45], v[46:47], v[12:13]
	v_add_f64 v[54:55], v[54:55], v[44:45]
	v_mul_f64 v[44:45], v[10:11], v[6:7]
	v_fma_f64 v[44:45], v[8:9], v[4:5], -v[44:45]
	v_mul_f64 v[6:7], v[8:9], v[6:7]
	v_fmac_f64_e32 v[50:51], v[46:47], v[4:5]
	v_fmac_f64_e32 v[6:7], v[10:11], v[4:5]
	v_add_f64 v[4:5], v[76:77], v[44:45]
	v_mul_f64 v[44:45], v[10:11], v[14:15]
	v_mul_f64 v[46:47], v[8:9], v[14:15]
	v_fma_f64 v[44:45], v[8:9], v[12:13], -v[44:45]
	v_fmac_f64_e32 v[46:47], v[10:11], v[12:13]
	ds_read_b128 v[8:11], v58 offset:256
	ds_read_b128 v[12:15], v56 offset:8192
	v_add_f64 v[52:53], v[52:53], v[68:69]
	v_add_f64 v[68:69], v[40:41], v[44:45]
	;; [unrolled: 1-line block ×3, first 2 shown]
	ds_read_b128 v[40:43], v56 offset:8448
	ds_read_b128 v[44:47], v58 offset:272
	v_add_f64 v[48:49], v[72:73], v[48:49]
	s_waitcnt lgkmcnt(2)
	v_mul_f64 v[72:73], v[10:11], v[14:15]
	v_add_f64 v[50:51], v[74:75], v[50:51]
	v_fma_f64 v[72:73], v[8:9], v[12:13], -v[72:73]
	v_mul_f64 v[74:75], v[8:9], v[14:15]
	v_fmac_f64_e32 v[74:75], v[10:11], v[12:13]
	v_add_f64 v[72:73], v[48:49], v[72:73]
	s_waitcnt lgkmcnt(1)
	v_mul_f64 v[48:49], v[10:11], v[42:43]
	v_add_f64 v[74:75], v[50:51], v[74:75]
	v_fma_f64 v[76:77], v[8:9], v[40:41], -v[48:49]
	ds_read_b128 v[48:51], v58 offset:8448
	v_mul_f64 v[8:9], v[8:9], v[42:43]
	v_fmac_f64_e32 v[8:9], v[10:11], v[40:41]
	v_add_f64 v[52:53], v[52:53], v[76:77]
	v_add_f64 v[54:55], v[54:55], v[8:9]
	ds_read_b128 v[8:11], v58 offset:8464
	s_waitcnt lgkmcnt(1)
	v_mul_f64 v[76:77], v[50:51], v[14:15]
	v_mul_f64 v[14:15], v[48:49], v[14:15]
	v_add_f64 v[6:7], v[78:79], v[6:7]
	v_fma_f64 v[76:77], v[48:49], v[12:13], -v[76:77]
	v_fmac_f64_e32 v[14:15], v[50:51], v[12:13]
	v_add_f64 v[76:77], v[4:5], v[76:77]
	v_add_f64 v[78:79], v[6:7], v[14:15]
	v_mul_f64 v[4:5], v[50:51], v[42:43]
	v_mul_f64 v[14:15], v[48:49], v[42:43]
	v_fma_f64 v[12:13], v[48:49], v[40:41], -v[4:5]
	v_fmac_f64_e32 v[14:15], v[50:51], v[40:41]
	ds_read_b128 v[4:7], v56 offset:8704
	v_add_f64 v[40:41], v[68:69], v[12:13]
	v_add_f64 v[42:43], v[70:71], v[14:15]
	ds_read_b128 v[12:15], v56 offset:8960
	s_cmp_ge_i32 s10, s52
	s_waitcnt lgkmcnt(1)
	v_mul_f64 v[48:49], v[46:47], v[6:7]
	v_fma_f64 v[48:49], v[44:45], v[4:5], -v[48:49]
	v_mul_f64 v[50:51], v[44:45], v[6:7]
	s_waitcnt lgkmcnt(0)
	v_mul_f64 v[68:69], v[46:47], v[14:15]
	v_fma_f64 v[68:69], v[44:45], v[12:13], -v[68:69]
	v_mul_f64 v[44:45], v[44:45], v[14:15]
	v_fmac_f64_e32 v[44:45], v[46:47], v[12:13]
	v_add_f64 v[54:55], v[54:55], v[44:45]
	v_mul_f64 v[44:45], v[10:11], v[6:7]
	v_fma_f64 v[44:45], v[8:9], v[4:5], -v[44:45]
	v_mul_f64 v[6:7], v[8:9], v[6:7]
	v_fmac_f64_e32 v[50:51], v[46:47], v[4:5]
	v_fmac_f64_e32 v[6:7], v[10:11], v[4:5]
	v_add_f64 v[4:5], v[76:77], v[44:45]
	v_mul_f64 v[44:45], v[10:11], v[14:15]
	v_mul_f64 v[46:47], v[8:9], v[14:15]
	v_fma_f64 v[44:45], v[8:9], v[12:13], -v[44:45]
	v_fmac_f64_e32 v[46:47], v[10:11], v[12:13]
	ds_read_b128 v[8:11], v58 offset:288
	ds_read_b128 v[12:15], v56 offset:9216
	v_add_f64 v[52:53], v[52:53], v[68:69]
	v_add_f64 v[68:69], v[40:41], v[44:45]
	v_add_f64 v[70:71], v[42:43], v[46:47]
	ds_read_b128 v[40:43], v56 offset:9472
	ds_read_b128 v[44:47], v58 offset:304
	v_add_f64 v[48:49], v[72:73], v[48:49]
	s_waitcnt lgkmcnt(2)
	v_mul_f64 v[72:73], v[10:11], v[14:15]
	v_add_f64 v[50:51], v[74:75], v[50:51]
	v_fma_f64 v[72:73], v[8:9], v[12:13], -v[72:73]
	v_mul_f64 v[74:75], v[8:9], v[14:15]
	v_fmac_f64_e32 v[74:75], v[10:11], v[12:13]
	v_add_f64 v[72:73], v[48:49], v[72:73]
	s_waitcnt lgkmcnt(1)
	v_mul_f64 v[48:49], v[10:11], v[42:43]
	v_add_f64 v[74:75], v[50:51], v[74:75]
	v_fma_f64 v[76:77], v[8:9], v[40:41], -v[48:49]
	ds_read_b128 v[48:51], v58 offset:8480
	v_mul_f64 v[8:9], v[8:9], v[42:43]
	v_fmac_f64_e32 v[8:9], v[10:11], v[40:41]
	v_add_f64 v[52:53], v[52:53], v[76:77]
	v_add_f64 v[54:55], v[54:55], v[8:9]
	ds_read_b128 v[8:11], v58 offset:8496
	s_waitcnt lgkmcnt(1)
	v_mul_f64 v[76:77], v[50:51], v[14:15]
	v_mul_f64 v[14:15], v[48:49], v[14:15]
	v_add_f64 v[6:7], v[78:79], v[6:7]
	v_fma_f64 v[76:77], v[48:49], v[12:13], -v[76:77]
	v_fmac_f64_e32 v[14:15], v[50:51], v[12:13]
	v_add_f64 v[76:77], v[4:5], v[76:77]
	v_add_f64 v[78:79], v[6:7], v[14:15]
	v_mul_f64 v[4:5], v[50:51], v[42:43]
	v_mul_f64 v[14:15], v[48:49], v[42:43]
	v_fma_f64 v[12:13], v[48:49], v[40:41], -v[4:5]
	v_fmac_f64_e32 v[14:15], v[50:51], v[40:41]
	ds_read_b128 v[4:7], v56 offset:9728
	v_add_f64 v[40:41], v[68:69], v[12:13]
	v_add_f64 v[42:43], v[70:71], v[14:15]
	ds_read_b128 v[12:15], v56 offset:9984
	s_waitcnt lgkmcnt(1)
	v_mul_f64 v[48:49], v[46:47], v[6:7]
	v_fma_f64 v[48:49], v[44:45], v[4:5], -v[48:49]
	v_mul_f64 v[50:51], v[44:45], v[6:7]
	s_waitcnt lgkmcnt(0)
	v_mul_f64 v[68:69], v[46:47], v[14:15]
	v_fma_f64 v[68:69], v[44:45], v[12:13], -v[68:69]
	v_mul_f64 v[44:45], v[44:45], v[14:15]
	v_fmac_f64_e32 v[44:45], v[46:47], v[12:13]
	v_add_f64 v[54:55], v[54:55], v[44:45]
	v_mul_f64 v[44:45], v[10:11], v[6:7]
	v_fma_f64 v[44:45], v[8:9], v[4:5], -v[44:45]
	v_mul_f64 v[6:7], v[8:9], v[6:7]
	v_fmac_f64_e32 v[50:51], v[46:47], v[4:5]
	v_fmac_f64_e32 v[6:7], v[10:11], v[4:5]
	v_add_f64 v[4:5], v[76:77], v[44:45]
	v_mul_f64 v[44:45], v[10:11], v[14:15]
	v_mul_f64 v[46:47], v[8:9], v[14:15]
	v_fma_f64 v[44:45], v[8:9], v[12:13], -v[44:45]
	v_fmac_f64_e32 v[46:47], v[10:11], v[12:13]
	ds_read_b128 v[8:11], v58 offset:320
	ds_read_b128 v[12:15], v56 offset:10240
	v_add_f64 v[52:53], v[52:53], v[68:69]
	v_add_f64 v[68:69], v[40:41], v[44:45]
	v_add_f64 v[70:71], v[42:43], v[46:47]
	ds_read_b128 v[40:43], v56 offset:10496
	ds_read_b128 v[44:47], v58 offset:336
	v_add_f64 v[48:49], v[72:73], v[48:49]
	s_waitcnt lgkmcnt(2)
	v_mul_f64 v[72:73], v[10:11], v[14:15]
	v_add_f64 v[50:51], v[74:75], v[50:51]
	v_fma_f64 v[72:73], v[8:9], v[12:13], -v[72:73]
	v_mul_f64 v[74:75], v[8:9], v[14:15]
	v_fmac_f64_e32 v[74:75], v[10:11], v[12:13]
	v_add_f64 v[72:73], v[48:49], v[72:73]
	s_waitcnt lgkmcnt(1)
	v_mul_f64 v[48:49], v[10:11], v[42:43]
	v_add_f64 v[74:75], v[50:51], v[74:75]
	v_fma_f64 v[76:77], v[8:9], v[40:41], -v[48:49]
	ds_read_b128 v[48:51], v58 offset:8512
	v_mul_f64 v[8:9], v[8:9], v[42:43]
	v_fmac_f64_e32 v[8:9], v[10:11], v[40:41]
	v_add_f64 v[52:53], v[52:53], v[76:77]
	v_add_f64 v[54:55], v[54:55], v[8:9]
	ds_read_b128 v[8:11], v58 offset:8528
	s_waitcnt lgkmcnt(1)
	v_mul_f64 v[76:77], v[50:51], v[14:15]
	v_mul_f64 v[14:15], v[48:49], v[14:15]
	v_add_f64 v[6:7], v[78:79], v[6:7]
	v_fma_f64 v[76:77], v[48:49], v[12:13], -v[76:77]
	v_fmac_f64_e32 v[14:15], v[50:51], v[12:13]
	v_add_f64 v[76:77], v[4:5], v[76:77]
	v_add_f64 v[78:79], v[6:7], v[14:15]
	v_mul_f64 v[4:5], v[50:51], v[42:43]
	v_mul_f64 v[14:15], v[48:49], v[42:43]
	v_fma_f64 v[12:13], v[48:49], v[40:41], -v[4:5]
	v_fmac_f64_e32 v[14:15], v[50:51], v[40:41]
	ds_read_b128 v[4:7], v56 offset:10752
	v_add_f64 v[40:41], v[68:69], v[12:13]
	v_add_f64 v[42:43], v[70:71], v[14:15]
	ds_read_b128 v[12:15], v56 offset:11008
	;; [unrolled: 61-line block ×6, first 2 shown]
	s_waitcnt lgkmcnt(1)
	v_mul_f64 v[48:49], v[46:47], v[6:7]
	v_fma_f64 v[48:49], v[44:45], v[4:5], -v[48:49]
	v_mul_f64 v[50:51], v[44:45], v[6:7]
	s_waitcnt lgkmcnt(0)
	v_mul_f64 v[68:69], v[46:47], v[14:15]
	v_fma_f64 v[68:69], v[44:45], v[12:13], -v[68:69]
	v_mul_f64 v[44:45], v[44:45], v[14:15]
	v_fmac_f64_e32 v[44:45], v[46:47], v[12:13]
	v_add_f64 v[54:55], v[54:55], v[44:45]
	v_mul_f64 v[44:45], v[10:11], v[6:7]
	v_fma_f64 v[44:45], v[8:9], v[4:5], -v[44:45]
	v_mul_f64 v[6:7], v[8:9], v[6:7]
	v_fmac_f64_e32 v[50:51], v[46:47], v[4:5]
	v_fmac_f64_e32 v[6:7], v[10:11], v[4:5]
	v_add_f64 v[4:5], v[76:77], v[44:45]
	v_mul_f64 v[44:45], v[10:11], v[14:15]
	v_mul_f64 v[46:47], v[8:9], v[14:15]
	v_fma_f64 v[44:45], v[8:9], v[12:13], -v[44:45]
	v_fmac_f64_e32 v[46:47], v[10:11], v[12:13]
	ds_read_b128 v[8:11], v58 offset:480
	ds_read_b128 v[12:15], v56 offset:15360
	v_add_f64 v[52:53], v[52:53], v[68:69]
	v_add_f64 v[68:69], v[40:41], v[44:45]
	;; [unrolled: 1-line block ×3, first 2 shown]
	ds_read_b128 v[40:43], v56 offset:15616
	ds_read_b128 v[44:47], v58 offset:496
	v_add_f64 v[48:49], v[72:73], v[48:49]
	s_waitcnt lgkmcnt(2)
	v_mul_f64 v[72:73], v[10:11], v[14:15]
	v_add_f64 v[50:51], v[74:75], v[50:51]
	v_fma_f64 v[72:73], v[8:9], v[12:13], -v[72:73]
	v_mul_f64 v[74:75], v[8:9], v[14:15]
	v_fmac_f64_e32 v[74:75], v[10:11], v[12:13]
	v_add_f64 v[72:73], v[48:49], v[72:73]
	s_waitcnt lgkmcnt(1)
	v_mul_f64 v[48:49], v[10:11], v[42:43]
	v_add_f64 v[74:75], v[50:51], v[74:75]
	v_fma_f64 v[76:77], v[8:9], v[40:41], -v[48:49]
	ds_read_b128 v[48:51], v58 offset:8672
	v_mul_f64 v[8:9], v[8:9], v[42:43]
	v_fmac_f64_e32 v[8:9], v[10:11], v[40:41]
	v_add_f64 v[6:7], v[78:79], v[6:7]
	v_add_f64 v[76:77], v[52:53], v[76:77]
	;; [unrolled: 1-line block ×3, first 2 shown]
	ds_read_b128 v[8:11], v58 offset:8688
	s_waitcnt lgkmcnt(1)
	v_mul_f64 v[52:53], v[50:51], v[14:15]
	v_fma_f64 v[52:53], v[48:49], v[12:13], -v[52:53]
	v_mul_f64 v[14:15], v[48:49], v[14:15]
	v_fmac_f64_e32 v[14:15], v[50:51], v[12:13]
	v_add_f64 v[80:81], v[4:5], v[52:53]
	v_mul_f64 v[4:5], v[50:51], v[42:43]
	v_add_f64 v[82:83], v[6:7], v[14:15]
	v_fma_f64 v[12:13], v[48:49], v[40:41], -v[4:5]
	v_mul_f64 v[14:15], v[48:49], v[42:43]
	ds_read_b128 v[4:7], v56 offset:15872
	v_fmac_f64_e32 v[14:15], v[50:51], v[40:41]
	v_add_f64 v[40:41], v[68:69], v[12:13]
	v_add_f64 v[68:69], v[70:71], v[14:15]
	ds_read_b128 v[12:15], v56 offset:16128
	s_waitcnt lgkmcnt(1)
	v_mul_f64 v[42:43], v[46:47], v[6:7]
	v_fma_f64 v[42:43], v[44:45], v[4:5], -v[42:43]
	v_mul_f64 v[48:49], v[44:45], v[6:7]
	v_add_f64 v[52:53], v[72:73], v[42:43]
	s_waitcnt lgkmcnt(0)
	v_mul_f64 v[42:43], v[46:47], v[14:15]
	v_fmac_f64_e32 v[48:49], v[46:47], v[4:5]
	v_fma_f64 v[42:43], v[44:45], v[12:13], -v[42:43]
	v_add_f64 v[54:55], v[74:75], v[48:49]
	v_add_f64 v[48:49], v[76:77], v[42:43]
	v_mul_f64 v[42:43], v[10:11], v[6:7]
	v_mul_f64 v[6:7], v[8:9], v[6:7]
	;; [unrolled: 1-line block ×3, first 2 shown]
	v_fmac_f64_e32 v[6:7], v[10:11], v[4:5]
	v_fmac_f64_e32 v[44:45], v[46:47], v[12:13]
	v_fma_f64 v[42:43], v[8:9], v[4:5], -v[42:43]
	v_add_f64 v[46:47], v[82:83], v[6:7]
	v_mul_f64 v[4:5], v[10:11], v[14:15]
	v_mul_f64 v[6:7], v[8:9], v[14:15]
	v_fma_f64 v[4:5], v[8:9], v[12:13], -v[4:5]
	v_fmac_f64_e32 v[6:7], v[10:11], v[12:13]
	v_add_f64 v[50:51], v[78:79], v[44:45]
	v_add_f64 v[44:45], v[80:81], v[42:43]
	;; [unrolled: 1-line block ×4, first 2 shown]
	s_barrier
	s_cbranch_scc1 .LBB118_55
.LBB118_7:                              ;   Parent Loop BB118_4 Depth=1
                                        ; =>  This Inner Loop Header: Depth=2
	v_mov_b32_e32 v4, s27
	v_add_co_u32_e64 v8, s[10:11], s26, v16
	v_addc_co_u32_e64 v9, s[10:11], 0, v4, s[10:11]
	v_mov_b32_e32 v4, s21
	v_add_co_u32_e64 v6, s[10:11], s20, v1
	v_addc_co_u32_e64 v7, s[10:11], v17, v4, s[10:11]
	v_cmp_eq_u64_e64 s[10:11], s[26:27], v[24:25]
	v_cmp_le_i64_e64 s[12:13], s[34:35], v[8:9]
	s_and_b64 s[42:43], s[22:23], s[10:11]
	v_cmp_gt_i64_e64 s[10:11], v[8:9], v[18:19]
	s_or_b64 s[16:17], s[12:13], s[10:11]
	s_or_b64 s[16:17], s[16:17], s[42:43]
	;; [unrolled: 1-line block ×3, first 2 shown]
	s_xor_b64 s[16:17], s[16:17], -1
	s_and_saveexec_b64 s[38:39], s[16:17]
	s_xor_b64 s[16:17], exec, s[38:39]
	s_cbranch_execz .LBB118_9
; %bb.8:                                ;   in Loop: Header=BB118_7 Depth=2
	global_load_dwordx4 v[10:13], v[6:7], off
	s_waitcnt vmcnt(0)
	v_xor_b32_e32 v13, 0x80000000, v13
	ds_write_b128 v57, v[10:13]
.LBB118_9:                              ;   in Loop: Header=BB118_7 Depth=2
	s_or_saveexec_b64 s[16:17], s[16:17]
	s_xor_b64 s[38:39], s[42:43], -1
	s_xor_b64 exec, exec, s[16:17]
	s_cbranch_execz .LBB118_15
; %bb.10:                               ;   in Loop: Header=BB118_7 Depth=2
	s_and_saveexec_b64 s[44:45], s[38:39]
	s_xor_b64 s[44:45], exec, s[44:45]
	s_cbranch_execz .LBB118_12
; %bb.11:                               ;   in Loop: Header=BB118_7 Depth=2
	v_mov_b32_e32 v10, v2
	v_mov_b32_e32 v11, v2
	;; [unrolled: 1-line block ×4, first 2 shown]
	ds_write_b128 v57, v[10:13]
.LBB118_12:                             ;   in Loop: Header=BB118_7 Depth=2
	s_andn2_saveexec_b64 s[44:45], s[44:45]
	s_cbranch_execz .LBB118_14
; %bb.13:                               ;   in Loop: Header=BB118_7 Depth=2
	v_mov_b32_e32 v4, v2
	v_mov_b32_e32 v5, v2
	ds_write_b128 v57, v[2:5]
.LBB118_14:                             ;   in Loop: Header=BB118_7 Depth=2
	s_or_b64 exec, exec, s[44:45]
.LBB118_15:                             ;   in Loop: Header=BB118_7 Depth=2
	s_or_b64 exec, exec, s[16:17]
	v_cmp_eq_u64_e64 s[16:17], s[26:27], v[26:27]
	s_and_b64 s[44:45], s[22:23], s[16:17]
	v_cmp_lt_i64_e64 s[16:17], v[20:21], v[8:9]
	s_or_b64 s[12:13], s[12:13], s[16:17]
	s_or_b64 s[12:13], s[12:13], s[44:45]
	;; [unrolled: 1-line block ×3, first 2 shown]
	s_xor_b64 s[12:13], s[12:13], -1
	s_and_saveexec_b64 s[16:17], s[12:13]
	s_xor_b64 s[16:17], exec, s[16:17]
	s_cbranch_execz .LBB118_17
; %bb.16:                               ;   in Loop: Header=BB118_7 Depth=2
	v_mov_b32_e32 v5, s21
	v_add_co_u32_e64 v4, s[12:13], s20, v63
	v_addc_co_u32_e64 v5, s[12:13], v64, v5, s[12:13]
	global_load_dwordx4 v[10:13], v[4:5], off
	s_waitcnt vmcnt(0)
	v_xor_b32_e32 v13, 0x80000000, v13
	ds_write_b128 v57, v[10:13] offset:256
.LBB118_17:                             ;   in Loop: Header=BB118_7 Depth=2
	s_andn2_saveexec_b64 s[12:13], s[16:17]
	s_cbranch_execz .LBB118_23
; %bb.18:                               ;   in Loop: Header=BB118_7 Depth=2
	s_xor_b64 s[16:17], s[44:45], -1
	s_and_saveexec_b64 s[44:45], s[16:17]
	s_xor_b64 s[16:17], exec, s[44:45]
	s_cbranch_execz .LBB118_20
; %bb.19:                               ;   in Loop: Header=BB118_7 Depth=2
	v_mov_b32_e32 v10, v2
	v_mov_b32_e32 v11, v2
	v_mov_b32_e32 v12, v2
	v_mov_b32_e32 v13, v2
	ds_write_b128 v57, v[10:13] offset:256
.LBB118_20:                             ;   in Loop: Header=BB118_7 Depth=2
	s_andn2_saveexec_b64 s[16:17], s[16:17]
	s_cbranch_execz .LBB118_22
; %bb.21:                               ;   in Loop: Header=BB118_7 Depth=2
	v_mov_b32_e32 v4, v2
	v_mov_b32_e32 v5, v2
	ds_write_b128 v57, v[2:5] offset:256
.LBB118_22:                             ;   in Loop: Header=BB118_7 Depth=2
	s_or_b64 exec, exec, s[16:17]
.LBB118_23:                             ;   in Loop: Header=BB118_7 Depth=2
	s_or_b64 exec, exec, s[12:13]
	v_add_co_u32_e64 v4, s[12:13], 16, v8
	v_addc_co_u32_e64 v5, s[12:13], 0, v9, s[12:13]
	v_cmp_eq_u64_e64 s[16:17], s[26:27], v[28:29]
	v_cmp_le_i64_e64 s[12:13], s[34:35], v[4:5]
	s_and_b64 s[44:45], s[22:23], s[16:17]
	v_cmp_gt_i64_e64 s[16:17], v[4:5], v[18:19]
	s_or_b64 s[16:17], s[12:13], s[16:17]
	s_or_b64 s[16:17], s[16:17], s[44:45]
	;; [unrolled: 1-line block ×3, first 2 shown]
	s_xor_b64 s[16:17], s[16:17], -1
	s_and_saveexec_b64 s[54:55], s[16:17]
	s_xor_b64 s[16:17], exec, s[54:55]
	s_cbranch_execz .LBB118_25
; %bb.24:                               ;   in Loop: Header=BB118_7 Depth=2
	global_load_dwordx4 v[4:7], v[6:7], off offset:256
	s_waitcnt vmcnt(0)
	v_xor_b32_e32 v7, 0x80000000, v7
	ds_write_b128 v57, v[4:7] offset:8192
.LBB118_25:                             ;   in Loop: Header=BB118_7 Depth=2
	s_andn2_saveexec_b64 s[16:17], s[16:17]
	s_cbranch_execz .LBB118_31
; %bb.26:                               ;   in Loop: Header=BB118_7 Depth=2
	s_xor_b64 s[44:45], s[44:45], -1
	s_and_saveexec_b64 s[54:55], s[44:45]
	s_xor_b64 s[44:45], exec, s[54:55]
	s_cbranch_execz .LBB118_28
; %bb.27:                               ;   in Loop: Header=BB118_7 Depth=2
	v_mov_b32_e32 v4, v2
	v_mov_b32_e32 v5, v2
	v_mov_b32_e32 v6, v2
	v_mov_b32_e32 v7, v2
	ds_write_b128 v57, v[4:7] offset:8192
.LBB118_28:                             ;   in Loop: Header=BB118_7 Depth=2
	s_andn2_saveexec_b64 s[44:45], s[44:45]
	s_cbranch_execz .LBB118_30
; %bb.29:                               ;   in Loop: Header=BB118_7 Depth=2
	v_mov_b32_e32 v4, v2
	v_mov_b32_e32 v5, v2
	ds_write_b128 v57, v[2:5] offset:8192
.LBB118_30:                             ;   in Loop: Header=BB118_7 Depth=2
	s_or_b64 exec, exec, s[44:45]
.LBB118_31:                             ;   in Loop: Header=BB118_7 Depth=2
	s_or_b64 exec, exec, s[16:17]
	s_or_b64 s[10:11], s[12:13], s[10:11]
	s_or_b64 s[10:11], s[10:11], s[42:43]
	;; [unrolled: 1-line block ×3, first 2 shown]
	s_xor_b64 s[10:11], s[10:11], -1
	s_and_saveexec_b64 s[12:13], s[10:11]
	s_xor_b64 s[12:13], exec, s[12:13]
	s_cbranch_execz .LBB118_33
; %bb.32:                               ;   in Loop: Header=BB118_7 Depth=2
	v_mov_b32_e32 v5, s21
	v_add_co_u32_e64 v4, s[10:11], s20, v63
	v_addc_co_u32_e64 v5, s[10:11], v64, v5, s[10:11]
	global_load_dwordx4 v[4:7], v[4:5], off offset:256
	s_waitcnt vmcnt(0)
	v_xor_b32_e32 v7, 0x80000000, v7
	ds_write_b128 v57, v[4:7] offset:8448
.LBB118_33:                             ;   in Loop: Header=BB118_7 Depth=2
	s_andn2_saveexec_b64 s[10:11], s[12:13]
	s_cbranch_execz .LBB118_39
; %bb.34:                               ;   in Loop: Header=BB118_7 Depth=2
	s_and_saveexec_b64 s[12:13], s[38:39]
	s_xor_b64 s[12:13], exec, s[12:13]
	s_cbranch_execz .LBB118_36
; %bb.35:                               ;   in Loop: Header=BB118_7 Depth=2
	v_mov_b32_e32 v4, v2
	v_mov_b32_e32 v5, v2
	;; [unrolled: 1-line block ×4, first 2 shown]
	ds_write_b128 v57, v[4:7] offset:8448
.LBB118_36:                             ;   in Loop: Header=BB118_7 Depth=2
	s_andn2_saveexec_b64 s[12:13], s[12:13]
	s_cbranch_execz .LBB118_38
; %bb.37:                               ;   in Loop: Header=BB118_7 Depth=2
	v_mov_b32_e32 v4, v2
	v_mov_b32_e32 v5, v2
	ds_write_b128 v57, v[2:5] offset:8448
.LBB118_38:                             ;   in Loop: Header=BB118_7 Depth=2
	s_or_b64 exec, exec, s[12:13]
.LBB118_39:                             ;   in Loop: Header=BB118_7 Depth=2
	s_or_b64 exec, exec, s[10:11]
	v_mov_b32_e32 v5, s27
	v_add_co_u32_e64 v4, s[10:11], s26, v0
	v_addc_co_u32_e64 v5, s[10:11], 0, v5, s[10:11]
	v_cmp_gt_i64_e64 s[10:11], s[34:35], v[4:5]
	s_and_b64 s[12:13], vcc, s[10:11]
	s_xor_b64 s[12:13], s[12:13], -1
	s_and_saveexec_b64 s[16:17], s[12:13]
	s_xor_b64 s[12:13], exec, s[16:17]
	s_cbranch_execz .LBB118_41
; %bb.40:                               ;   in Loop: Header=BB118_7 Depth=2
	v_mov_b32_e32 v6, v2
	v_mov_b32_e32 v7, v2
	;; [unrolled: 1-line block ×4, first 2 shown]
	ds_write_b128 v59, v[6:9]
.LBB118_41:                             ;   in Loop: Header=BB118_7 Depth=2
	s_or_saveexec_b64 s[16:17], s[12:13]
	v_mov_b32_e32 v7, s21
	v_add_co_u32_e64 v6, s[12:13], s20, v36
	v_addc_co_u32_e64 v7, s[12:13], v37, v7, s[12:13]
	s_xor_b64 exec, exec, s[16:17]
	s_cbranch_execz .LBB118_43
; %bb.42:                               ;   in Loop: Header=BB118_7 Depth=2
	global_load_dwordx4 v[8:11], v[6:7], off offset:-256
	s_waitcnt vmcnt(0)
	ds_write2_b64 v59, v[8:9], v[10:11] offset1:1
.LBB118_43:                             ;   in Loop: Header=BB118_7 Depth=2
	s_or_b64 exec, exec, s[16:17]
	v_cmp_gt_i64_e64 s[12:13], s[40:41], v[4:5]
	s_and_b64 s[16:17], vcc, s[12:13]
	s_xor_b64 s[16:17], s[16:17], -1
	s_and_saveexec_b64 s[38:39], s[16:17]
	s_xor_b64 s[16:17], exec, s[38:39]
	s_cbranch_execz .LBB118_45
; %bb.44:                               ;   in Loop: Header=BB118_7 Depth=2
	v_mov_b32_e32 v4, v2
	v_mov_b32_e32 v5, v2
	;; [unrolled: 1-line block ×4, first 2 shown]
	ds_write_b128 v60, v[4:7]
                                        ; implicit-def: $vgpr6_vgpr7
.LBB118_45:                             ;   in Loop: Header=BB118_7 Depth=2
	s_andn2_saveexec_b64 s[16:17], s[16:17]
	s_cbranch_execz .LBB118_47
; %bb.46:                               ;   in Loop: Header=BB118_7 Depth=2
	global_load_dwordx4 v[4:7], v[6:7], off
	s_waitcnt vmcnt(0)
	ds_write2_b64 v60, v[4:5], v[6:7] offset1:1
.LBB118_47:                             ;   in Loop: Header=BB118_7 Depth=2
	s_or_b64 exec, exec, s[16:17]
	s_and_b64 s[10:11], s[8:9], s[10:11]
	s_xor_b64 s[10:11], s[10:11], -1
	s_and_saveexec_b64 s[16:17], s[10:11]
	s_xor_b64 s[10:11], exec, s[16:17]
	s_cbranch_execz .LBB118_49
; %bb.48:                               ;   in Loop: Header=BB118_7 Depth=2
	v_mov_b32_e32 v4, v2
	v_mov_b32_e32 v5, v2
	;; [unrolled: 1-line block ×4, first 2 shown]
	ds_write_b128 v61, v[4:7]
.LBB118_49:                             ;   in Loop: Header=BB118_7 Depth=2
	s_andn2_saveexec_b64 s[16:17], s[10:11]
	s_cbranch_execz .LBB118_51
; %bb.50:                               ;   in Loop: Header=BB118_7 Depth=2
	v_mov_b32_e32 v5, s21
	v_add_co_u32_e64 v4, s[10:11], s20, v38
	v_addc_co_u32_e64 v5, s[10:11], v39, v5, s[10:11]
	global_load_dwordx4 v[4:7], v[4:5], off offset:-256
	s_waitcnt vmcnt(0)
	ds_write2_b64 v61, v[4:5], v[6:7] offset1:1
.LBB118_51:                             ;   in Loop: Header=BB118_7 Depth=2
	s_or_b64 exec, exec, s[16:17]
	s_and_b64 s[10:11], s[8:9], s[12:13]
	s_xor_b64 s[10:11], s[10:11], -1
	s_and_saveexec_b64 s[12:13], s[10:11]
	s_xor_b64 s[10:11], exec, s[12:13]
	s_cbranch_execz .LBB118_53
; %bb.52:                               ;   in Loop: Header=BB118_7 Depth=2
	v_mov_b32_e32 v4, v2
	v_mov_b32_e32 v5, v2
	v_mov_b32_e32 v6, v2
	v_mov_b32_e32 v7, v2
	ds_write_b128 v62, v[4:7]
.LBB118_53:                             ;   in Loop: Header=BB118_7 Depth=2
	s_andn2_saveexec_b64 s[12:13], s[10:11]
	s_cbranch_execz .LBB118_6
; %bb.54:                               ;   in Loop: Header=BB118_7 Depth=2
	v_mov_b32_e32 v5, s21
	v_add_co_u32_e64 v4, s[10:11], s20, v38
	v_addc_co_u32_e64 v5, s[10:11], v39, v5, s[10:11]
	global_load_dwordx4 v[4:7], v[4:5], off
	s_waitcnt vmcnt(0)
	ds_write2_b64 v62, v[4:5], v[6:7] offset1:1
	s_branch .LBB118_6
.LBB118_55:                             ;   in Loop: Header=BB118_4 Depth=1
	v_mul_lo_u32 v6, v66, s48
	v_mul_lo_u32 v7, v65, s49
	v_mad_u64_u32 v[4:5], s[8:9], v65, s48, 0
	v_add3_u32 v5, v5, v7, v6
	v_lshlrev_b64 v[4:5], 4, v[4:5]
	v_mov_b32_e32 v6, s51
	v_add_co_u32_e64 v4, s[8:9], s50, v4
	v_cmp_gt_i32_e32 vcc, s46, v65
	v_addc_co_u32_e64 v5, s[8:9], v6, v5, s[8:9]
	s_and_b64 s[8:9], s[4:5], vcc
	s_and_saveexec_b64 s[10:11], s[8:9]
	s_cbranch_execz .LBB118_57
; %bb.56:                               ;   in Loop: Header=BB118_4 Depth=1
	v_add_co_u32_e64 v10, s[8:9], v4, v34
	v_addc_co_u32_e64 v11, s[8:9], v5, v35, s[8:9]
	global_load_dwordx4 v[6:9], v[10:11], off
	v_mul_f64 v[12:13], s[30:31], v[54:55]
	v_mul_f64 v[14:15], s[28:29], v[54:55]
	v_fma_f64 v[12:13], s[28:29], v[52:53], -v[12:13]
	v_fmac_f64_e32 v[14:15], s[30:31], v[52:53]
	s_waitcnt vmcnt(0)
	v_add_f64 v[6:7], v[6:7], v[12:13]
	v_add_f64 v[8:9], v[8:9], v[14:15]
	global_store_dwordx4 v[10:11], v[6:9], off
.LBB118_57:                             ;   in Loop: Header=BB118_4 Depth=1
	s_or_b64 exec, exec, s[10:11]
	s_and_b64 s[10:11], s[14:15], vcc
	s_and_saveexec_b64 s[8:9], s[10:11]
	s_cbranch_execz .LBB118_59
; %bb.58:                               ;   in Loop: Header=BB118_4 Depth=1
	v_lshlrev_b64 v[6:7], 4, v[22:23]
	v_add_co_u32_e32 v8, vcc, v4, v6
	v_addc_co_u32_e32 v9, vcc, v5, v7, vcc
	global_load_dwordx4 v[4:7], v[8:9], off
	v_mul_f64 v[10:11], s[30:31], v[50:51]
	v_mul_f64 v[12:13], s[28:29], v[50:51]
	v_fma_f64 v[10:11], s[28:29], v[48:49], -v[10:11]
	v_fmac_f64_e32 v[12:13], s[30:31], v[48:49]
	s_waitcnt vmcnt(0)
	v_add_f64 v[4:5], v[4:5], v[10:11]
	v_add_f64 v[6:7], v[6:7], v[12:13]
	global_store_dwordx4 v[8:9], v[4:7], off
.LBB118_59:                             ;   in Loop: Header=BB118_4 Depth=1
	s_or_b64 exec, exec, s[8:9]
	v_add_u32_e32 v4, 16, v65
	v_ashrrev_i32_e32 v5, 31, v4
	v_cmp_gt_i32_e32 vcc, s46, v4
	v_mul_lo_u32 v6, v5, s48
	v_mul_lo_u32 v7, v4, s49
	v_mad_u64_u32 v[4:5], s[8:9], v4, s48, 0
	v_add3_u32 v5, v5, v7, v6
	v_lshlrev_b64 v[4:5], 4, v[4:5]
	v_mov_b32_e32 v6, s51
	v_add_co_u32_e64 v4, s[8:9], s50, v4
	v_addc_co_u32_e64 v5, s[8:9], v6, v5, s[8:9]
	s_and_b64 s[8:9], s[4:5], vcc
	s_and_saveexec_b64 s[10:11], s[8:9]
	s_cbranch_execz .LBB118_61
; %bb.60:                               ;   in Loop: Header=BB118_4 Depth=1
	v_add_co_u32_e64 v10, s[8:9], v4, v34
	v_addc_co_u32_e64 v11, s[8:9], v5, v35, s[8:9]
	global_load_dwordx4 v[6:9], v[10:11], off
	v_mul_f64 v[12:13], s[30:31], v[46:47]
	v_mul_f64 v[14:15], s[28:29], v[46:47]
	v_fma_f64 v[12:13], s[28:29], v[44:45], -v[12:13]
	v_fmac_f64_e32 v[14:15], s[30:31], v[44:45]
	s_waitcnt vmcnt(0)
	v_add_f64 v[6:7], v[6:7], v[12:13]
	v_add_f64 v[8:9], v[8:9], v[14:15]
	global_store_dwordx4 v[10:11], v[6:9], off
.LBB118_61:                             ;   in Loop: Header=BB118_4 Depth=1
	s_or_b64 exec, exec, s[10:11]
	s_and_b64 s[10:11], s[14:15], vcc
	s_and_saveexec_b64 s[8:9], s[10:11]
	s_cbranch_execz .LBB118_3
; %bb.62:                               ;   in Loop: Header=BB118_4 Depth=1
	v_lshlrev_b64 v[6:7], 4, v[22:23]
	v_add_co_u32_e32 v8, vcc, v4, v6
	v_addc_co_u32_e32 v9, vcc, v5, v7, vcc
	global_load_dwordx4 v[4:7], v[8:9], off
	v_mul_f64 v[10:11], s[30:31], v[40:41]
	v_mul_f64 v[12:13], s[28:29], v[40:41]
	v_fma_f64 v[10:11], s[28:29], v[42:43], -v[10:11]
	v_fmac_f64_e32 v[12:13], s[30:31], v[42:43]
	s_waitcnt vmcnt(0)
	v_add_f64 v[4:5], v[4:5], v[10:11]
	v_add_f64 v[6:7], v[6:7], v[12:13]
	global_store_dwordx4 v[8:9], v[4:7], off
	s_branch .LBB118_3
.LBB118_63:
	s_endpgm
	.section	.rodata,"a",@progbits
	.p2align	6, 0x0
	.amdhsa_kernel _ZL30rocblas_trmm_outofplace_kernelI19rocblas_complex_numIdELi32ELi2ELb1ELb1ELb1ELb1EPKS1_S2_S1_Ev17rocblas_diagonal_iiT6_lPT7_lllS7_lllPT8_llli
		.amdhsa_group_segment_fixed_size 32768
		.amdhsa_private_segment_fixed_size 0
		.amdhsa_kernarg_size 392
		.amdhsa_user_sgpr_count 6
		.amdhsa_user_sgpr_private_segment_buffer 1
		.amdhsa_user_sgpr_dispatch_ptr 0
		.amdhsa_user_sgpr_queue_ptr 0
		.amdhsa_user_sgpr_kernarg_segment_ptr 1
		.amdhsa_user_sgpr_dispatch_id 0
		.amdhsa_user_sgpr_flat_scratch_init 0
		.amdhsa_user_sgpr_kernarg_preload_length 0
		.amdhsa_user_sgpr_kernarg_preload_offset 0
		.amdhsa_user_sgpr_private_segment_size 0
		.amdhsa_uses_dynamic_stack 0
		.amdhsa_system_sgpr_private_segment_wavefront_offset 0
		.amdhsa_system_sgpr_workgroup_id_x 1
		.amdhsa_system_sgpr_workgroup_id_y 1
		.amdhsa_system_sgpr_workgroup_id_z 1
		.amdhsa_system_sgpr_workgroup_info 0
		.amdhsa_system_vgpr_workitem_id 1
		.amdhsa_next_free_vgpr 86
		.amdhsa_next_free_sgpr 56
		.amdhsa_accum_offset 88
		.amdhsa_reserve_vcc 1
		.amdhsa_reserve_flat_scratch 0
		.amdhsa_float_round_mode_32 0
		.amdhsa_float_round_mode_16_64 0
		.amdhsa_float_denorm_mode_32 3
		.amdhsa_float_denorm_mode_16_64 3
		.amdhsa_dx10_clamp 1
		.amdhsa_ieee_mode 1
		.amdhsa_fp16_overflow 0
		.amdhsa_tg_split 0
		.amdhsa_exception_fp_ieee_invalid_op 0
		.amdhsa_exception_fp_denorm_src 0
		.amdhsa_exception_fp_ieee_div_zero 0
		.amdhsa_exception_fp_ieee_overflow 0
		.amdhsa_exception_fp_ieee_underflow 0
		.amdhsa_exception_fp_ieee_inexact 0
		.amdhsa_exception_int_div_zero 0
	.end_amdhsa_kernel
	.section	.text._ZL30rocblas_trmm_outofplace_kernelI19rocblas_complex_numIdELi32ELi2ELb1ELb1ELb1ELb1EPKS1_S2_S1_Ev17rocblas_diagonal_iiT6_lPT7_lllS7_lllPT8_llli,"axG",@progbits,_ZL30rocblas_trmm_outofplace_kernelI19rocblas_complex_numIdELi32ELi2ELb1ELb1ELb1ELb1EPKS1_S2_S1_Ev17rocblas_diagonal_iiT6_lPT7_lllS7_lllPT8_llli,comdat
.Lfunc_end118:
	.size	_ZL30rocblas_trmm_outofplace_kernelI19rocblas_complex_numIdELi32ELi2ELb1ELb1ELb1ELb1EPKS1_S2_S1_Ev17rocblas_diagonal_iiT6_lPT7_lllS7_lllPT8_llli, .Lfunc_end118-_ZL30rocblas_trmm_outofplace_kernelI19rocblas_complex_numIdELi32ELi2ELb1ELb1ELb1ELb1EPKS1_S2_S1_Ev17rocblas_diagonal_iiT6_lPT7_lllS7_lllPT8_llli
                                        ; -- End function
	.section	.AMDGPU.csdata,"",@progbits
; Kernel info:
; codeLenInByte = 9616
; NumSgprs: 60
; NumVgprs: 86
; NumAgprs: 0
; TotalNumVgprs: 86
; ScratchSize: 0
; MemoryBound: 0
; FloatMode: 240
; IeeeMode: 1
; LDSByteSize: 32768 bytes/workgroup (compile time only)
; SGPRBlocks: 7
; VGPRBlocks: 10
; NumSGPRsForWavesPerEU: 60
; NumVGPRsForWavesPerEU: 86
; AccumOffset: 88
; Occupancy: 5
; WaveLimiterHint : 0
; COMPUTE_PGM_RSRC2:SCRATCH_EN: 0
; COMPUTE_PGM_RSRC2:USER_SGPR: 6
; COMPUTE_PGM_RSRC2:TRAP_HANDLER: 0
; COMPUTE_PGM_RSRC2:TGID_X_EN: 1
; COMPUTE_PGM_RSRC2:TGID_Y_EN: 1
; COMPUTE_PGM_RSRC2:TGID_Z_EN: 1
; COMPUTE_PGM_RSRC2:TIDIG_COMP_CNT: 1
; COMPUTE_PGM_RSRC3_GFX90A:ACCUM_OFFSET: 21
; COMPUTE_PGM_RSRC3_GFX90A:TG_SPLIT: 0
	.section	.text._ZL30rocblas_trmm_outofplace_kernelI19rocblas_complex_numIdELi32ELi2ELb1ELb1ELb1ELb1ES1_KS1_S1_Ev17rocblas_diagonal_iiT6_lPT7_lllS6_lllPT8_llli,"axG",@progbits,_ZL30rocblas_trmm_outofplace_kernelI19rocblas_complex_numIdELi32ELi2ELb1ELb1ELb1ELb1ES1_KS1_S1_Ev17rocblas_diagonal_iiT6_lPT7_lllS6_lllPT8_llli,comdat
	.globl	_ZL30rocblas_trmm_outofplace_kernelI19rocblas_complex_numIdELi32ELi2ELb1ELb1ELb1ELb1ES1_KS1_S1_Ev17rocblas_diagonal_iiT6_lPT7_lllS6_lllPT8_llli ; -- Begin function _ZL30rocblas_trmm_outofplace_kernelI19rocblas_complex_numIdELi32ELi2ELb1ELb1ELb1ELb1ES1_KS1_S1_Ev17rocblas_diagonal_iiT6_lPT7_lllS6_lllPT8_llli
	.p2align	8
	.type	_ZL30rocblas_trmm_outofplace_kernelI19rocblas_complex_numIdELi32ELi2ELb1ELb1ELb1ELb1ES1_KS1_S1_Ev17rocblas_diagonal_iiT6_lPT7_lllS6_lllPT8_llli,@function
_ZL30rocblas_trmm_outofplace_kernelI19rocblas_complex_numIdELi32ELi2ELb1ELb1ELb1ELb1ES1_KS1_S1_Ev17rocblas_diagonal_iiT6_lPT7_lllS6_lllPT8_llli: ; @_ZL30rocblas_trmm_outofplace_kernelI19rocblas_complex_numIdELi32ELi2ELb1ELb1ELb1ELb1ES1_KS1_S1_Ev17rocblas_diagonal_iiT6_lPT7_lllS6_lllPT8_llli
; %bb.0:
	s_load_dwordx4 s[28:31], s[4:5], 0x10
	s_waitcnt lgkmcnt(0)
	v_cmp_eq_f64_e64 s[0:1], s[28:29], 0
	v_cmp_eq_f64_e64 s[2:3], s[30:31], 0
	s_and_b64 s[0:1], s[0:1], s[2:3]
	s_and_b64 vcc, exec, s[0:1]
	s_cbranch_vccnz .LBB119_63
; %bb.1:
	s_load_dwordx4 s[44:47], s[4:5], 0x0
	s_waitcnt lgkmcnt(0)
	s_add_i32 s0, s46, -1
	s_ashr_i32 s1, s0, 31
	s_lshr_b32 s1, s1, 27
	s_add_i32 s0, s0, s1
	s_ashr_i32 s33, s0, 5
	s_cmp_gt_i32 s7, s33
	s_cbranch_scc1 .LBB119_63
; %bb.2:
	s_load_dwordx16 s[12:27], s[4:5], 0x28
	s_load_dwordx8 s[36:43], s[4:5], 0x68
	v_bfe_u32 v16, v0, 10, 10
	v_and_b32_e32 v0, 0x3ff, v0
	v_lshlrev_b32_e32 v6, 4, v16
	s_waitcnt lgkmcnt(0)
	s_mul_i32 s1, s8, s19
	s_mul_hi_u32 s2, s8, s18
	s_mul_i32 s0, s8, s18
	s_add_i32 s1, s2, s1
	s_lshl_b64 s[10:11], s[0:1], 4
	s_add_u32 s0, s12, s10
	s_addc_u32 s1, s13, s11
	s_lshl_b64 s[48:49], s[14:15], 4
	s_add_u32 s2, s0, s48
	s_addc_u32 s3, s1, s49
	s_mul_i32 s0, s8, s43
	s_mul_hi_u32 s1, s8, s42
	s_add_i32 s1, s1, s0
	s_mul_i32 s0, s8, s42
	s_lshl_b64 s[0:1], s[0:1], 4
	s_add_u32 s9, s36, s0
	s_addc_u32 s14, s37, s1
	s_lshl_b64 s[0:1], s[38:39], 4
	s_add_u32 s47, s9, s0
	s_addc_u32 s50, s14, s1
	s_lshl_b32 s51, s6, 5
	v_add_u32_e32 v18, s51, v0
	v_ashrrev_i32_e32 v19, 31, v18
	v_mul_lo_u32 v1, v19, s16
	v_mul_lo_u32 v3, v18, s17
	v_mad_u64_u32 v[4:5], s[0:1], v18, s16, 0
	v_add3_u32 v5, v5, v3, v1
	v_lshlrev_b64 v[4:5], 4, v[4:5]
	v_mov_b32_e32 v1, s3
	v_add_co_u32_e32 v3, vcc, s2, v4
	v_addc_co_u32_e32 v4, vcc, v1, v5, vcc
	v_add_co_u32_e32 v1, vcc, v3, v6
	s_cmp_gt_i32 s6, -1
	v_addc_co_u32_e32 v17, vcc, 0, v4, vcc
	s_cselect_b64 s[18:19], -1, 0
	s_cmpk_eq_i32 s44, 0x84
	s_cselect_b64 s[34:35], -1, 0
	s_ashr_i32 s37, s45, 31
	s_ashr_i32 s6, s46, 31
	v_add_co_u32_e32 v20, vcc, 16, v18
	v_addc_co_u32_e32 v21, vcc, 0, v19, vcc
	s_add_u32 s38, s45, -16
	s_mul_i32 s9, s27, s8
	s_mul_hi_u32 s27, s26, s8
	s_addc_u32 s39, s37, -1
	v_sub_co_u32_e32 v24, vcc, v18, v16
	s_add_i32 s9, s27, s9
	s_mul_i32 s8, s26, s8
	v_subbrev_co_u32_e32 v25, vcc, 0, v19, vcc
	s_lshl_b64 s[8:9], s[8:9], 4
	s_lshl_b64 s[22:23], s[22:23], 4
	v_add_co_u32_e32 v26, vcc, 16, v24
	s_add_u32 s8, s8, s22
	v_addc_co_u32_e32 v27, vcc, 0, v25, vcc
	s_addc_u32 s9, s9, s23
	s_load_dword s52, s[4:5], 0x94
	v_add_co_u32_e32 v28, vcc, -16, v24
	s_add_u32 s8, s20, s8
	v_lshlrev_b32_e32 v3, 9, v16
	v_lshlrev_b32_e32 v56, 4, v0
	v_addc_co_u32_e32 v29, vcc, -1, v25, vcc
	s_addc_u32 s9, s21, s9
	v_add_u32_e32 v57, v56, v3
	v_add_u32_e32 v58, 0x4000, v3
	v_mov_b32_e32 v3, s9
	v_add_co_u32_e32 v4, vcc, s8, v56
	s_movk_i32 s42, 0x100
	v_addc_co_u32_e32 v3, vcc, 0, v3, vcc
	v_add_co_u32_e32 v30, vcc, s42, v4
	v_addc_co_u32_e32 v31, vcc, 0, v3, vcc
	s_lshl_b64 s[20:21], s[24:25], 4
	s_waitcnt lgkmcnt(0)
	s_lshl_b32 s53, s52, 5
	v_lshlrev_b64 v[34:35], 4, v[18:19]
	v_add_co_u32_e32 v3, vcc, s42, v34
	s_add_u32 s8, s48, s10
	v_addc_co_u32_e32 v4, vcc, 0, v35, vcc
	s_addc_u32 s9, s49, s11
	v_mul_lo_u32 v7, s16, v4
	v_pk_mov_b32 v[4:5], s[8:9], s[8:9] op_sel:[0,1]
	v_mul_lo_u32 v8, s17, v3
	v_mad_u64_u32 v[4:5], s[8:9], s16, v3, v[4:5]
	v_add3_u32 v3, v8, v5, v7
	v_add_co_u32_e32 v4, vcc, v4, v6
	v_addc_co_u32_e32 v3, vcc, 0, v3, vcc
	s_mov_b32 s36, s45
	v_add_u32_e32 v59, v58, v56
	v_add_u32_e32 v22, 16, v18
	v_mov_b32_e32 v5, s13
	v_add_co_u32_e32 v63, vcc, s12, v4
	v_mov_b32_e32 v2, 0
	v_cmp_le_i32_e64 s[0:1], s45, v18
	v_cmp_le_i64_e64 s[2:3], s[36:37], v[20:21]
	v_add_u32_e32 v60, 0x100, v59
	v_add_u32_e32 v61, 0x2000, v59
	;; [unrolled: 1-line block ×3, first 2 shown]
	v_cmp_gt_i32_e64 s[4:5], s45, v18
	v_cmp_gt_i32_e64 s[14:15], s45, v22
	v_ashrrev_i32_e32 v23, 31, v22
	v_lshl_add_u32 v32, s7, 5, v16
	v_addc_co_u32_e32 v64, vcc, v5, v3, vcc
	v_mov_b32_e32 v3, 0x3ff00000
	s_branch .LBB119_4
.LBB119_3:                              ;   in Loop: Header=BB119_4 Depth=1
	s_or_b64 exec, exec, s[8:9]
	s_add_i32 s7, s52, s7
	s_cmp_le_i32 s7, s33
	v_add_u32_e32 v32, s53, v32
	s_cbranch_scc0 .LBB119_63
.LBB119_4:                              ; =>This Loop Header: Depth=1
                                        ;     Child Loop BB119_7 Depth 2
	v_lshl_add_u32 v65, s7, 5, v16
	v_pk_mov_b32 v[52:53], 0, 0
	v_ashrrev_i32_e32 v66, 31, v65
	s_mov_b64 s[22:23], 0
	s_andn2_b64 vcc, exec, s[18:19]
	v_pk_mov_b32 v[54:55], v[52:53], v[52:53] op_sel:[0,1]
	v_pk_mov_b32 v[48:49], v[52:53], v[52:53] op_sel:[0,1]
	;; [unrolled: 1-line block ×7, first 2 shown]
	s_cbranch_vccnz .LBB119_55
; %bb.5:                                ;   in Loop: Header=BB119_4 Depth=1
	v_ashrrev_i32_e32 v33, 31, v32
	v_mad_u64_u32 v[36:37], s[8:9], s20, v32, v[30:31]
	v_mul_lo_u32 v4, s21, v32
	v_mul_lo_u32 v5, s20, v33
	v_add3_u32 v37, v4, v37, v5
	v_lshlrev_b64 v[4:5], 4, v[32:33]
	v_add_co_u32_e32 v4, vcc, 0x100, v4
	v_addc_co_u32_e32 v5, vcc, 0, v5, vcc
	v_mul_lo_u32 v5, s24, v5
	v_mul_lo_u32 v6, s25, v4
	v_mad_u64_u32 v[38:39], s[8:9], s24, v4, v[30:31]
	v_add3_u32 v39, v6, v39, v5
	v_mov_b32_e32 v5, s6
	v_sub_co_u32_e32 v4, vcc, s46, v65
	v_subb_co_u32_e32 v5, vcc, v5, v66, vcc
	v_pk_mov_b32 v[40:41], 0, 0
	v_cmp_lt_i64_e32 vcc, 0, v[4:5]
	v_cmp_lt_i64_e64 s[8:9], 16, v[4:5]
	s_mov_b64 s[26:27], 0
	v_pk_mov_b32 v[42:43], v[40:41], v[40:41] op_sel:[0,1]
	v_pk_mov_b32 v[46:47], v[40:41], v[40:41] op_sel:[0,1]
	;; [unrolled: 1-line block ×7, first 2 shown]
	s_branch .LBB119_7
.LBB119_6:                              ;   in Loop: Header=BB119_7 Depth=2
	s_or_b64 exec, exec, s[12:13]
	s_waitcnt lgkmcnt(0)
	s_barrier
	ds_read_b128 v[68:71], v56
	ds_read_b128 v[72:75], v58
	ds_read_b128 v[12:15], v58 offset:16
	ds_read_b128 v[8:11], v58 offset:32
	;; [unrolled: 1-line block ×4, first 2 shown]
	s_waitcnt lgkmcnt(4)
	v_mul_f64 v[80:81], v[74:75], v[70:71]
	v_fma_f64 v[80:81], v[72:73], v[68:69], -v[80:81]
	v_mul_f64 v[82:83], v[72:73], v[70:71]
	v_fmac_f64_e32 v[82:83], v[74:75], v[68:69]
	v_add_f64 v[80:81], v[52:53], v[80:81]
	s_waitcnt lgkmcnt(0)
	v_mul_f64 v[52:53], v[74:75], v[78:79]
	v_add_f64 v[82:83], v[54:55], v[82:83]
	v_fma_f64 v[84:85], v[72:73], v[76:77], -v[52:53]
	ds_read_b128 v[52:55], v58 offset:8192
	v_mul_f64 v[72:73], v[72:73], v[78:79]
	v_fmac_f64_e32 v[72:73], v[74:75], v[76:77]
	v_add_f64 v[74:75], v[48:49], v[84:85]
	v_add_f64 v[72:73], v[50:51], v[72:73]
	ds_read_b128 v[48:51], v58 offset:8208
	s_waitcnt lgkmcnt(1)
	v_mul_f64 v[84:85], v[54:55], v[70:71]
	v_fma_f64 v[84:85], v[52:53], v[68:69], -v[84:85]
	v_mul_f64 v[70:71], v[52:53], v[70:71]
	v_fmac_f64_e32 v[70:71], v[54:55], v[68:69]
	v_add_f64 v[68:69], v[44:45], v[84:85]
	v_mul_f64 v[44:45], v[54:55], v[78:79]
	v_add_f64 v[70:71], v[46:47], v[70:71]
	v_fma_f64 v[84:85], v[52:53], v[76:77], -v[44:45]
	v_mul_f64 v[52:53], v[52:53], v[78:79]
	ds_read_b128 v[44:47], v56 offset:512
	v_fmac_f64_e32 v[52:53], v[54:55], v[76:77]
	v_add_f64 v[54:55], v[42:43], v[84:85]
	v_add_f64 v[52:53], v[40:41], v[52:53]
	ds_read_b128 v[40:43], v56 offset:768
	s_waitcnt lgkmcnt(1)
	v_mul_f64 v[76:77], v[14:15], v[46:47]
	v_fma_f64 v[76:77], v[12:13], v[44:45], -v[76:77]
	v_add_f64 v[76:77], v[80:81], v[76:77]
	v_mul_f64 v[78:79], v[12:13], v[46:47]
	s_waitcnt lgkmcnt(0)
	v_mul_f64 v[80:81], v[14:15], v[42:43]
	v_fma_f64 v[80:81], v[12:13], v[40:41], -v[80:81]
	v_mul_f64 v[12:13], v[12:13], v[42:43]
	v_fmac_f64_e32 v[12:13], v[14:15], v[40:41]
	v_fmac_f64_e32 v[78:79], v[14:15], v[44:45]
	v_add_f64 v[72:73], v[72:73], v[12:13]
	v_mul_f64 v[12:13], v[50:51], v[46:47]
	v_mul_f64 v[14:15], v[48:49], v[46:47]
	v_fma_f64 v[12:13], v[48:49], v[44:45], -v[12:13]
	v_fmac_f64_e32 v[14:15], v[50:51], v[44:45]
	v_mul_f64 v[44:45], v[50:51], v[42:43]
	v_fma_f64 v[46:47], v[48:49], v[40:41], -v[44:45]
	v_mul_f64 v[48:49], v[48:49], v[42:43]
	ds_read_b128 v[42:45], v56 offset:1024
	v_fmac_f64_e32 v[48:49], v[50:51], v[40:41]
	v_add_f64 v[40:41], v[54:55], v[46:47]
	v_add_f64 v[54:55], v[52:53], v[48:49]
	ds_read_b128 v[46:49], v56 offset:1280
	s_waitcnt lgkmcnt(1)
	v_mul_f64 v[50:51], v[10:11], v[44:45]
	v_fma_f64 v[50:51], v[8:9], v[42:43], -v[50:51]
	v_mul_f64 v[52:53], v[8:9], v[44:45]
	v_add_f64 v[78:79], v[82:83], v[78:79]
	v_add_f64 v[12:13], v[68:69], v[12:13]
	v_fmac_f64_e32 v[52:53], v[10:11], v[42:43]
	v_add_f64 v[68:69], v[76:77], v[50:51]
	s_waitcnt lgkmcnt(0)
	v_mul_f64 v[50:51], v[10:11], v[48:49]
	v_add_f64 v[14:15], v[70:71], v[14:15]
	v_add_f64 v[70:71], v[78:79], v[52:53]
	v_fma_f64 v[76:77], v[8:9], v[46:47], -v[50:51]
	ds_read_b128 v[50:53], v58 offset:8224
	v_mul_f64 v[8:9], v[8:9], v[48:49]
	v_add_f64 v[74:75], v[74:75], v[80:81]
	v_fmac_f64_e32 v[8:9], v[10:11], v[46:47]
	v_add_f64 v[74:75], v[74:75], v[76:77]
	v_add_f64 v[72:73], v[72:73], v[8:9]
	ds_read_b128 v[8:11], v58 offset:8240
	s_waitcnt lgkmcnt(1)
	v_mul_f64 v[76:77], v[52:53], v[44:45]
	v_fma_f64 v[76:77], v[50:51], v[42:43], -v[76:77]
	v_mul_f64 v[44:45], v[50:51], v[44:45]
	v_add_f64 v[76:77], v[12:13], v[76:77]
	v_mul_f64 v[12:13], v[52:53], v[48:49]
	v_fmac_f64_e32 v[44:45], v[52:53], v[42:43]
	v_fma_f64 v[42:43], v[50:51], v[46:47], -v[12:13]
	v_mul_f64 v[48:49], v[50:51], v[48:49]
	v_add_f64 v[44:45], v[14:15], v[44:45]
	ds_read_b128 v[12:15], v56 offset:1536
	v_fmac_f64_e32 v[48:49], v[52:53], v[46:47]
	v_add_f64 v[46:47], v[40:41], v[42:43]
	ds_read_b128 v[40:43], v56 offset:1792
	v_add_f64 v[48:49], v[54:55], v[48:49]
	s_waitcnt lgkmcnt(1)
	v_mul_f64 v[50:51], v[6:7], v[14:15]
	v_fma_f64 v[50:51], v[4:5], v[12:13], -v[50:51]
	v_mul_f64 v[52:53], v[4:5], v[14:15]
	s_waitcnt lgkmcnt(0)
	v_mul_f64 v[54:55], v[6:7], v[42:43]
	v_fma_f64 v[54:55], v[4:5], v[40:41], -v[54:55]
	v_mul_f64 v[4:5], v[4:5], v[42:43]
	v_fmac_f64_e32 v[4:5], v[6:7], v[40:41]
	v_fmac_f64_e32 v[52:53], v[6:7], v[12:13]
	v_add_f64 v[50:51], v[68:69], v[50:51]
	v_add_f64 v[68:69], v[72:73], v[4:5]
	v_mul_f64 v[4:5], v[10:11], v[14:15]
	v_mul_f64 v[6:7], v[8:9], v[14:15]
	v_fma_f64 v[4:5], v[8:9], v[12:13], -v[4:5]
	v_fmac_f64_e32 v[6:7], v[10:11], v[12:13]
	v_mul_f64 v[12:13], v[10:11], v[42:43]
	v_mul_f64 v[42:43], v[8:9], v[42:43]
	v_add_f64 v[6:7], v[44:45], v[6:7]
	v_fma_f64 v[44:45], v[8:9], v[40:41], -v[12:13]
	v_fmac_f64_e32 v[42:43], v[10:11], v[40:41]
	ds_read_b128 v[8:11], v58 offset:64
	ds_read_b128 v[12:15], v56 offset:2048
	v_add_f64 v[52:53], v[70:71], v[52:53]
	v_add_f64 v[70:71], v[46:47], v[44:45]
	;; [unrolled: 1-line block ×3, first 2 shown]
	ds_read_b128 v[40:43], v56 offset:2304
	ds_read_b128 v[44:47], v58 offset:80
	s_waitcnt lgkmcnt(2)
	v_mul_f64 v[48:49], v[10:11], v[14:15]
	v_add_f64 v[54:55], v[74:75], v[54:55]
	v_fma_f64 v[48:49], v[8:9], v[12:13], -v[48:49]
	v_mul_f64 v[74:75], v[8:9], v[14:15]
	v_add_f64 v[4:5], v[76:77], v[4:5]
	v_fmac_f64_e32 v[74:75], v[10:11], v[12:13]
	v_add_f64 v[76:77], v[50:51], v[48:49]
	s_waitcnt lgkmcnt(1)
	v_mul_f64 v[48:49], v[10:11], v[42:43]
	v_add_f64 v[52:53], v[52:53], v[74:75]
	v_fma_f64 v[74:75], v[8:9], v[40:41], -v[48:49]
	ds_read_b128 v[48:51], v58 offset:8256
	v_mul_f64 v[8:9], v[8:9], v[42:43]
	v_fmac_f64_e32 v[8:9], v[10:11], v[40:41]
	v_add_f64 v[54:55], v[54:55], v[74:75]
	v_add_f64 v[68:69], v[68:69], v[8:9]
	ds_read_b128 v[8:11], v58 offset:8272
	s_waitcnt lgkmcnt(1)
	v_mul_f64 v[74:75], v[50:51], v[14:15]
	v_fma_f64 v[74:75], v[48:49], v[12:13], -v[74:75]
	v_mul_f64 v[14:15], v[48:49], v[14:15]
	v_fmac_f64_e32 v[14:15], v[50:51], v[12:13]
	v_add_f64 v[74:75], v[4:5], v[74:75]
	v_mul_f64 v[4:5], v[50:51], v[42:43]
	v_add_f64 v[78:79], v[6:7], v[14:15]
	v_fma_f64 v[12:13], v[48:49], v[40:41], -v[4:5]
	v_mul_f64 v[14:15], v[48:49], v[42:43]
	ds_read_b128 v[4:7], v56 offset:2560
	v_fmac_f64_e32 v[14:15], v[50:51], v[40:41]
	v_add_f64 v[40:41], v[70:71], v[12:13]
	v_add_f64 v[42:43], v[72:73], v[14:15]
	ds_read_b128 v[12:15], v56 offset:2816
	s_waitcnt lgkmcnt(1)
	v_mul_f64 v[50:51], v[44:45], v[6:7]
	v_fmac_f64_e32 v[50:51], v[46:47], v[4:5]
	v_mul_f64 v[48:49], v[46:47], v[6:7]
	v_add_f64 v[50:51], v[52:53], v[50:51]
	s_waitcnt lgkmcnt(0)
	v_mul_f64 v[52:53], v[46:47], v[14:15]
	v_fma_f64 v[48:49], v[44:45], v[4:5], -v[48:49]
	v_fma_f64 v[52:53], v[44:45], v[12:13], -v[52:53]
	v_mul_f64 v[44:45], v[44:45], v[14:15]
	v_fmac_f64_e32 v[44:45], v[46:47], v[12:13]
	v_add_f64 v[52:53], v[54:55], v[52:53]
	v_add_f64 v[54:55], v[68:69], v[44:45]
	v_mul_f64 v[44:45], v[10:11], v[6:7]
	v_fma_f64 v[44:45], v[8:9], v[4:5], -v[44:45]
	v_mul_f64 v[6:7], v[8:9], v[6:7]
	v_fmac_f64_e32 v[6:7], v[10:11], v[4:5]
	v_add_f64 v[4:5], v[74:75], v[44:45]
	v_mul_f64 v[44:45], v[10:11], v[14:15]
	v_mul_f64 v[46:47], v[8:9], v[14:15]
	v_fma_f64 v[44:45], v[8:9], v[12:13], -v[44:45]
	v_fmac_f64_e32 v[46:47], v[10:11], v[12:13]
	ds_read_b128 v[8:11], v58 offset:96
	ds_read_b128 v[12:15], v56 offset:3072
	v_add_f64 v[68:69], v[40:41], v[44:45]
	v_add_f64 v[70:71], v[42:43], v[46:47]
	ds_read_b128 v[40:43], v56 offset:3328
	ds_read_b128 v[44:47], v58 offset:112
	v_add_f64 v[48:49], v[76:77], v[48:49]
	s_waitcnt lgkmcnt(2)
	v_mul_f64 v[72:73], v[10:11], v[14:15]
	v_fma_f64 v[72:73], v[8:9], v[12:13], -v[72:73]
	v_mul_f64 v[74:75], v[8:9], v[14:15]
	v_fmac_f64_e32 v[74:75], v[10:11], v[12:13]
	v_add_f64 v[72:73], v[48:49], v[72:73]
	s_waitcnt lgkmcnt(1)
	v_mul_f64 v[48:49], v[10:11], v[42:43]
	v_add_f64 v[74:75], v[50:51], v[74:75]
	v_fma_f64 v[76:77], v[8:9], v[40:41], -v[48:49]
	ds_read_b128 v[48:51], v58 offset:8288
	v_mul_f64 v[8:9], v[8:9], v[42:43]
	v_fmac_f64_e32 v[8:9], v[10:11], v[40:41]
	v_add_f64 v[52:53], v[52:53], v[76:77]
	v_add_f64 v[54:55], v[54:55], v[8:9]
	ds_read_b128 v[8:11], v58 offset:8304
	s_waitcnt lgkmcnt(1)
	v_mul_f64 v[76:77], v[50:51], v[14:15]
	v_mul_f64 v[14:15], v[48:49], v[14:15]
	v_add_f64 v[6:7], v[78:79], v[6:7]
	v_fma_f64 v[76:77], v[48:49], v[12:13], -v[76:77]
	v_fmac_f64_e32 v[14:15], v[50:51], v[12:13]
	v_add_f64 v[76:77], v[4:5], v[76:77]
	v_add_f64 v[78:79], v[6:7], v[14:15]
	v_mul_f64 v[4:5], v[50:51], v[42:43]
	v_mul_f64 v[14:15], v[48:49], v[42:43]
	v_fma_f64 v[12:13], v[48:49], v[40:41], -v[4:5]
	v_fmac_f64_e32 v[14:15], v[50:51], v[40:41]
	ds_read_b128 v[4:7], v56 offset:3584
	v_add_f64 v[40:41], v[68:69], v[12:13]
	v_add_f64 v[42:43], v[70:71], v[14:15]
	ds_read_b128 v[12:15], v56 offset:3840
	s_add_u32 s26, s26, 32
	s_waitcnt lgkmcnt(1)
	v_mul_f64 v[48:49], v[46:47], v[6:7]
	v_fma_f64 v[48:49], v[44:45], v[4:5], -v[48:49]
	v_mul_f64 v[50:51], v[44:45], v[6:7]
	s_waitcnt lgkmcnt(0)
	v_mul_f64 v[68:69], v[46:47], v[14:15]
	v_fma_f64 v[68:69], v[44:45], v[12:13], -v[68:69]
	v_mul_f64 v[44:45], v[44:45], v[14:15]
	v_fmac_f64_e32 v[44:45], v[46:47], v[12:13]
	v_add_f64 v[54:55], v[54:55], v[44:45]
	v_mul_f64 v[44:45], v[10:11], v[6:7]
	v_fma_f64 v[44:45], v[8:9], v[4:5], -v[44:45]
	v_mul_f64 v[6:7], v[8:9], v[6:7]
	v_fmac_f64_e32 v[50:51], v[46:47], v[4:5]
	v_fmac_f64_e32 v[6:7], v[10:11], v[4:5]
	v_add_f64 v[4:5], v[76:77], v[44:45]
	v_mul_f64 v[44:45], v[10:11], v[14:15]
	v_mul_f64 v[46:47], v[8:9], v[14:15]
	v_fma_f64 v[44:45], v[8:9], v[12:13], -v[44:45]
	v_fmac_f64_e32 v[46:47], v[10:11], v[12:13]
	ds_read_b128 v[8:11], v58 offset:128
	ds_read_b128 v[12:15], v56 offset:4096
	v_add_f64 v[52:53], v[52:53], v[68:69]
	v_add_f64 v[68:69], v[40:41], v[44:45]
	v_add_f64 v[70:71], v[42:43], v[46:47]
	ds_read_b128 v[40:43], v56 offset:4352
	ds_read_b128 v[44:47], v58 offset:144
	v_add_f64 v[48:49], v[72:73], v[48:49]
	s_waitcnt lgkmcnt(2)
	v_mul_f64 v[72:73], v[10:11], v[14:15]
	v_add_f64 v[50:51], v[74:75], v[50:51]
	v_fma_f64 v[72:73], v[8:9], v[12:13], -v[72:73]
	v_mul_f64 v[74:75], v[8:9], v[14:15]
	v_fmac_f64_e32 v[74:75], v[10:11], v[12:13]
	v_add_f64 v[72:73], v[48:49], v[72:73]
	s_waitcnt lgkmcnt(1)
	v_mul_f64 v[48:49], v[10:11], v[42:43]
	v_add_f64 v[74:75], v[50:51], v[74:75]
	v_fma_f64 v[76:77], v[8:9], v[40:41], -v[48:49]
	ds_read_b128 v[48:51], v58 offset:8320
	v_mul_f64 v[8:9], v[8:9], v[42:43]
	v_fmac_f64_e32 v[8:9], v[10:11], v[40:41]
	v_add_f64 v[52:53], v[52:53], v[76:77]
	v_add_f64 v[54:55], v[54:55], v[8:9]
	ds_read_b128 v[8:11], v58 offset:8336
	s_waitcnt lgkmcnt(1)
	v_mul_f64 v[76:77], v[50:51], v[14:15]
	v_mul_f64 v[14:15], v[48:49], v[14:15]
	v_add_f64 v[6:7], v[78:79], v[6:7]
	v_fma_f64 v[76:77], v[48:49], v[12:13], -v[76:77]
	v_fmac_f64_e32 v[14:15], v[50:51], v[12:13]
	v_add_f64 v[76:77], v[4:5], v[76:77]
	v_add_f64 v[78:79], v[6:7], v[14:15]
	v_mul_f64 v[4:5], v[50:51], v[42:43]
	v_mul_f64 v[14:15], v[48:49], v[42:43]
	v_fma_f64 v[12:13], v[48:49], v[40:41], -v[4:5]
	v_fmac_f64_e32 v[14:15], v[50:51], v[40:41]
	ds_read_b128 v[4:7], v56 offset:4608
	v_add_f64 v[40:41], v[68:69], v[12:13]
	v_add_f64 v[42:43], v[70:71], v[14:15]
	ds_read_b128 v[12:15], v56 offset:4864
	s_addc_u32 s27, s27, 0
	s_waitcnt lgkmcnt(1)
	v_mul_f64 v[48:49], v[46:47], v[6:7]
	v_fma_f64 v[48:49], v[44:45], v[4:5], -v[48:49]
	v_mul_f64 v[50:51], v[44:45], v[6:7]
	s_waitcnt lgkmcnt(0)
	v_mul_f64 v[68:69], v[46:47], v[14:15]
	v_fma_f64 v[68:69], v[44:45], v[12:13], -v[68:69]
	v_mul_f64 v[44:45], v[44:45], v[14:15]
	v_fmac_f64_e32 v[44:45], v[46:47], v[12:13]
	v_add_f64 v[54:55], v[54:55], v[44:45]
	v_mul_f64 v[44:45], v[10:11], v[6:7]
	v_fma_f64 v[44:45], v[8:9], v[4:5], -v[44:45]
	v_mul_f64 v[6:7], v[8:9], v[6:7]
	v_fmac_f64_e32 v[50:51], v[46:47], v[4:5]
	v_fmac_f64_e32 v[6:7], v[10:11], v[4:5]
	v_add_f64 v[4:5], v[76:77], v[44:45]
	v_mul_f64 v[44:45], v[10:11], v[14:15]
	v_mul_f64 v[46:47], v[8:9], v[14:15]
	v_fma_f64 v[44:45], v[8:9], v[12:13], -v[44:45]
	v_fmac_f64_e32 v[46:47], v[10:11], v[12:13]
	ds_read_b128 v[8:11], v58 offset:160
	ds_read_b128 v[12:15], v56 offset:5120
	v_add_f64 v[52:53], v[52:53], v[68:69]
	v_add_f64 v[68:69], v[40:41], v[44:45]
	;; [unrolled: 1-line block ×3, first 2 shown]
	ds_read_b128 v[40:43], v56 offset:5376
	ds_read_b128 v[44:47], v58 offset:176
	v_add_f64 v[48:49], v[72:73], v[48:49]
	s_waitcnt lgkmcnt(2)
	v_mul_f64 v[72:73], v[10:11], v[14:15]
	v_add_f64 v[50:51], v[74:75], v[50:51]
	v_fma_f64 v[72:73], v[8:9], v[12:13], -v[72:73]
	v_mul_f64 v[74:75], v[8:9], v[14:15]
	v_fmac_f64_e32 v[74:75], v[10:11], v[12:13]
	v_add_f64 v[72:73], v[48:49], v[72:73]
	s_waitcnt lgkmcnt(1)
	v_mul_f64 v[48:49], v[10:11], v[42:43]
	v_add_f64 v[74:75], v[50:51], v[74:75]
	v_fma_f64 v[76:77], v[8:9], v[40:41], -v[48:49]
	ds_read_b128 v[48:51], v58 offset:8352
	v_mul_f64 v[8:9], v[8:9], v[42:43]
	v_fmac_f64_e32 v[8:9], v[10:11], v[40:41]
	v_add_f64 v[52:53], v[52:53], v[76:77]
	v_add_f64 v[54:55], v[54:55], v[8:9]
	ds_read_b128 v[8:11], v58 offset:8368
	s_waitcnt lgkmcnt(1)
	v_mul_f64 v[76:77], v[50:51], v[14:15]
	v_mul_f64 v[14:15], v[48:49], v[14:15]
	v_add_f64 v[6:7], v[78:79], v[6:7]
	v_fma_f64 v[76:77], v[48:49], v[12:13], -v[76:77]
	v_fmac_f64_e32 v[14:15], v[50:51], v[12:13]
	v_add_f64 v[76:77], v[4:5], v[76:77]
	v_add_f64 v[78:79], v[6:7], v[14:15]
	v_mul_f64 v[4:5], v[50:51], v[42:43]
	v_mul_f64 v[14:15], v[48:49], v[42:43]
	v_fma_f64 v[12:13], v[48:49], v[40:41], -v[4:5]
	v_fmac_f64_e32 v[14:15], v[50:51], v[40:41]
	ds_read_b128 v[4:7], v56 offset:5632
	v_add_f64 v[40:41], v[68:69], v[12:13]
	v_add_f64 v[42:43], v[70:71], v[14:15]
	ds_read_b128 v[12:15], v56 offset:5888
	s_sub_i32 s10, s26, 32
	s_waitcnt lgkmcnt(1)
	v_mul_f64 v[48:49], v[46:47], v[6:7]
	v_fma_f64 v[48:49], v[44:45], v[4:5], -v[48:49]
	v_mul_f64 v[50:51], v[44:45], v[6:7]
	s_waitcnt lgkmcnt(0)
	v_mul_f64 v[68:69], v[46:47], v[14:15]
	v_fma_f64 v[68:69], v[44:45], v[12:13], -v[68:69]
	v_mul_f64 v[44:45], v[44:45], v[14:15]
	v_fmac_f64_e32 v[44:45], v[46:47], v[12:13]
	v_add_f64 v[54:55], v[54:55], v[44:45]
	v_mul_f64 v[44:45], v[10:11], v[6:7]
	v_fma_f64 v[44:45], v[8:9], v[4:5], -v[44:45]
	v_mul_f64 v[6:7], v[8:9], v[6:7]
	v_fmac_f64_e32 v[50:51], v[46:47], v[4:5]
	v_fmac_f64_e32 v[6:7], v[10:11], v[4:5]
	v_add_f64 v[4:5], v[76:77], v[44:45]
	v_mul_f64 v[44:45], v[10:11], v[14:15]
	v_mul_f64 v[46:47], v[8:9], v[14:15]
	v_fma_f64 v[44:45], v[8:9], v[12:13], -v[44:45]
	v_fmac_f64_e32 v[46:47], v[10:11], v[12:13]
	ds_read_b128 v[8:11], v58 offset:192
	ds_read_b128 v[12:15], v56 offset:6144
	v_add_f64 v[52:53], v[52:53], v[68:69]
	v_add_f64 v[68:69], v[40:41], v[44:45]
	;; [unrolled: 1-line block ×3, first 2 shown]
	ds_read_b128 v[40:43], v56 offset:6400
	ds_read_b128 v[44:47], v58 offset:208
	v_add_f64 v[48:49], v[72:73], v[48:49]
	s_waitcnt lgkmcnt(2)
	v_mul_f64 v[72:73], v[10:11], v[14:15]
	v_add_f64 v[50:51], v[74:75], v[50:51]
	v_fma_f64 v[72:73], v[8:9], v[12:13], -v[72:73]
	v_mul_f64 v[74:75], v[8:9], v[14:15]
	v_fmac_f64_e32 v[74:75], v[10:11], v[12:13]
	v_add_f64 v[72:73], v[48:49], v[72:73]
	s_waitcnt lgkmcnt(1)
	v_mul_f64 v[48:49], v[10:11], v[42:43]
	v_add_f64 v[74:75], v[50:51], v[74:75]
	v_fma_f64 v[76:77], v[8:9], v[40:41], -v[48:49]
	ds_read_b128 v[48:51], v58 offset:8384
	v_mul_f64 v[8:9], v[8:9], v[42:43]
	v_fmac_f64_e32 v[8:9], v[10:11], v[40:41]
	v_add_f64 v[52:53], v[52:53], v[76:77]
	v_add_f64 v[54:55], v[54:55], v[8:9]
	ds_read_b128 v[8:11], v58 offset:8400
	s_waitcnt lgkmcnt(1)
	v_mul_f64 v[76:77], v[50:51], v[14:15]
	v_mul_f64 v[14:15], v[48:49], v[14:15]
	v_add_f64 v[6:7], v[78:79], v[6:7]
	v_fma_f64 v[76:77], v[48:49], v[12:13], -v[76:77]
	v_fmac_f64_e32 v[14:15], v[50:51], v[12:13]
	v_add_f64 v[76:77], v[4:5], v[76:77]
	v_add_f64 v[78:79], v[6:7], v[14:15]
	v_mul_f64 v[4:5], v[50:51], v[42:43]
	v_mul_f64 v[14:15], v[48:49], v[42:43]
	v_fma_f64 v[12:13], v[48:49], v[40:41], -v[4:5]
	v_fmac_f64_e32 v[14:15], v[50:51], v[40:41]
	ds_read_b128 v[4:7], v56 offset:6656
	v_add_f64 v[40:41], v[68:69], v[12:13]
	v_add_f64 v[42:43], v[70:71], v[14:15]
	ds_read_b128 v[12:15], v56 offset:6912
	s_add_u32 s22, s22, 0x200
	s_waitcnt lgkmcnt(1)
	v_mul_f64 v[48:49], v[46:47], v[6:7]
	v_fma_f64 v[48:49], v[44:45], v[4:5], -v[48:49]
	v_mul_f64 v[50:51], v[44:45], v[6:7]
	s_waitcnt lgkmcnt(0)
	v_mul_f64 v[68:69], v[46:47], v[14:15]
	v_fma_f64 v[68:69], v[44:45], v[12:13], -v[68:69]
	v_mul_f64 v[44:45], v[44:45], v[14:15]
	v_fmac_f64_e32 v[44:45], v[46:47], v[12:13]
	v_add_f64 v[54:55], v[54:55], v[44:45]
	v_mul_f64 v[44:45], v[10:11], v[6:7]
	v_fma_f64 v[44:45], v[8:9], v[4:5], -v[44:45]
	v_mul_f64 v[6:7], v[8:9], v[6:7]
	v_fmac_f64_e32 v[50:51], v[46:47], v[4:5]
	v_fmac_f64_e32 v[6:7], v[10:11], v[4:5]
	v_add_f64 v[4:5], v[76:77], v[44:45]
	v_mul_f64 v[44:45], v[10:11], v[14:15]
	v_mul_f64 v[46:47], v[8:9], v[14:15]
	v_fma_f64 v[44:45], v[8:9], v[12:13], -v[44:45]
	v_fmac_f64_e32 v[46:47], v[10:11], v[12:13]
	ds_read_b128 v[8:11], v58 offset:224
	ds_read_b128 v[12:15], v56 offset:7168
	v_add_f64 v[52:53], v[52:53], v[68:69]
	v_add_f64 v[68:69], v[40:41], v[44:45]
	;; [unrolled: 1-line block ×3, first 2 shown]
	ds_read_b128 v[40:43], v56 offset:7424
	ds_read_b128 v[44:47], v58 offset:240
	v_add_f64 v[48:49], v[72:73], v[48:49]
	s_waitcnt lgkmcnt(2)
	v_mul_f64 v[72:73], v[10:11], v[14:15]
	v_add_f64 v[50:51], v[74:75], v[50:51]
	v_fma_f64 v[72:73], v[8:9], v[12:13], -v[72:73]
	v_mul_f64 v[74:75], v[8:9], v[14:15]
	v_fmac_f64_e32 v[74:75], v[10:11], v[12:13]
	v_add_f64 v[72:73], v[48:49], v[72:73]
	s_waitcnt lgkmcnt(1)
	v_mul_f64 v[48:49], v[10:11], v[42:43]
	v_add_f64 v[74:75], v[50:51], v[74:75]
	v_fma_f64 v[76:77], v[8:9], v[40:41], -v[48:49]
	ds_read_b128 v[48:51], v58 offset:8416
	v_mul_f64 v[8:9], v[8:9], v[42:43]
	v_fmac_f64_e32 v[8:9], v[10:11], v[40:41]
	v_add_f64 v[52:53], v[52:53], v[76:77]
	v_add_f64 v[54:55], v[54:55], v[8:9]
	ds_read_b128 v[8:11], v58 offset:8432
	s_waitcnt lgkmcnt(1)
	v_mul_f64 v[76:77], v[50:51], v[14:15]
	v_mul_f64 v[14:15], v[48:49], v[14:15]
	v_add_f64 v[6:7], v[78:79], v[6:7]
	v_fma_f64 v[76:77], v[48:49], v[12:13], -v[76:77]
	v_fmac_f64_e32 v[14:15], v[50:51], v[12:13]
	v_add_f64 v[76:77], v[4:5], v[76:77]
	v_add_f64 v[78:79], v[6:7], v[14:15]
	v_mul_f64 v[4:5], v[50:51], v[42:43]
	v_mul_f64 v[14:15], v[48:49], v[42:43]
	v_fma_f64 v[12:13], v[48:49], v[40:41], -v[4:5]
	v_fmac_f64_e32 v[14:15], v[50:51], v[40:41]
	ds_read_b128 v[4:7], v56 offset:7680
	v_add_f64 v[40:41], v[68:69], v[12:13]
	v_add_f64 v[42:43], v[70:71], v[14:15]
	ds_read_b128 v[12:15], v56 offset:7936
	s_addc_u32 s23, s23, 0
	s_waitcnt lgkmcnt(1)
	v_mul_f64 v[48:49], v[46:47], v[6:7]
	v_fma_f64 v[48:49], v[44:45], v[4:5], -v[48:49]
	v_mul_f64 v[50:51], v[44:45], v[6:7]
	s_waitcnt lgkmcnt(0)
	v_mul_f64 v[68:69], v[46:47], v[14:15]
	v_fma_f64 v[68:69], v[44:45], v[12:13], -v[68:69]
	v_mul_f64 v[44:45], v[44:45], v[14:15]
	v_fmac_f64_e32 v[44:45], v[46:47], v[12:13]
	v_add_f64 v[54:55], v[54:55], v[44:45]
	v_mul_f64 v[44:45], v[10:11], v[6:7]
	v_fma_f64 v[44:45], v[8:9], v[4:5], -v[44:45]
	v_mul_f64 v[6:7], v[8:9], v[6:7]
	v_fmac_f64_e32 v[50:51], v[46:47], v[4:5]
	v_fmac_f64_e32 v[6:7], v[10:11], v[4:5]
	v_add_f64 v[4:5], v[76:77], v[44:45]
	v_mul_f64 v[44:45], v[10:11], v[14:15]
	v_mul_f64 v[46:47], v[8:9], v[14:15]
	v_fma_f64 v[44:45], v[8:9], v[12:13], -v[44:45]
	v_fmac_f64_e32 v[46:47], v[10:11], v[12:13]
	ds_read_b128 v[8:11], v58 offset:256
	ds_read_b128 v[12:15], v56 offset:8192
	v_add_f64 v[52:53], v[52:53], v[68:69]
	v_add_f64 v[68:69], v[40:41], v[44:45]
	v_add_f64 v[70:71], v[42:43], v[46:47]
	ds_read_b128 v[40:43], v56 offset:8448
	ds_read_b128 v[44:47], v58 offset:272
	v_add_f64 v[48:49], v[72:73], v[48:49]
	s_waitcnt lgkmcnt(2)
	v_mul_f64 v[72:73], v[10:11], v[14:15]
	v_add_f64 v[50:51], v[74:75], v[50:51]
	v_fma_f64 v[72:73], v[8:9], v[12:13], -v[72:73]
	v_mul_f64 v[74:75], v[8:9], v[14:15]
	v_fmac_f64_e32 v[74:75], v[10:11], v[12:13]
	v_add_f64 v[72:73], v[48:49], v[72:73]
	s_waitcnt lgkmcnt(1)
	v_mul_f64 v[48:49], v[10:11], v[42:43]
	v_add_f64 v[74:75], v[50:51], v[74:75]
	v_fma_f64 v[76:77], v[8:9], v[40:41], -v[48:49]
	ds_read_b128 v[48:51], v58 offset:8448
	v_mul_f64 v[8:9], v[8:9], v[42:43]
	v_fmac_f64_e32 v[8:9], v[10:11], v[40:41]
	v_add_f64 v[52:53], v[52:53], v[76:77]
	v_add_f64 v[54:55], v[54:55], v[8:9]
	ds_read_b128 v[8:11], v58 offset:8464
	s_waitcnt lgkmcnt(1)
	v_mul_f64 v[76:77], v[50:51], v[14:15]
	v_mul_f64 v[14:15], v[48:49], v[14:15]
	v_add_f64 v[6:7], v[78:79], v[6:7]
	v_fma_f64 v[76:77], v[48:49], v[12:13], -v[76:77]
	v_fmac_f64_e32 v[14:15], v[50:51], v[12:13]
	v_add_f64 v[76:77], v[4:5], v[76:77]
	v_add_f64 v[78:79], v[6:7], v[14:15]
	v_mul_f64 v[4:5], v[50:51], v[42:43]
	v_mul_f64 v[14:15], v[48:49], v[42:43]
	v_fma_f64 v[12:13], v[48:49], v[40:41], -v[4:5]
	v_fmac_f64_e32 v[14:15], v[50:51], v[40:41]
	ds_read_b128 v[4:7], v56 offset:8704
	v_add_f64 v[40:41], v[68:69], v[12:13]
	v_add_f64 v[42:43], v[70:71], v[14:15]
	ds_read_b128 v[12:15], v56 offset:8960
	s_cmp_ge_i32 s10, s51
	s_waitcnt lgkmcnt(1)
	v_mul_f64 v[48:49], v[46:47], v[6:7]
	v_fma_f64 v[48:49], v[44:45], v[4:5], -v[48:49]
	v_mul_f64 v[50:51], v[44:45], v[6:7]
	s_waitcnt lgkmcnt(0)
	v_mul_f64 v[68:69], v[46:47], v[14:15]
	v_fma_f64 v[68:69], v[44:45], v[12:13], -v[68:69]
	v_mul_f64 v[44:45], v[44:45], v[14:15]
	v_fmac_f64_e32 v[44:45], v[46:47], v[12:13]
	v_add_f64 v[54:55], v[54:55], v[44:45]
	v_mul_f64 v[44:45], v[10:11], v[6:7]
	v_fma_f64 v[44:45], v[8:9], v[4:5], -v[44:45]
	v_mul_f64 v[6:7], v[8:9], v[6:7]
	v_fmac_f64_e32 v[50:51], v[46:47], v[4:5]
	v_fmac_f64_e32 v[6:7], v[10:11], v[4:5]
	v_add_f64 v[4:5], v[76:77], v[44:45]
	v_mul_f64 v[44:45], v[10:11], v[14:15]
	v_mul_f64 v[46:47], v[8:9], v[14:15]
	v_fma_f64 v[44:45], v[8:9], v[12:13], -v[44:45]
	v_fmac_f64_e32 v[46:47], v[10:11], v[12:13]
	ds_read_b128 v[8:11], v58 offset:288
	ds_read_b128 v[12:15], v56 offset:9216
	v_add_f64 v[52:53], v[52:53], v[68:69]
	v_add_f64 v[68:69], v[40:41], v[44:45]
	v_add_f64 v[70:71], v[42:43], v[46:47]
	ds_read_b128 v[40:43], v56 offset:9472
	ds_read_b128 v[44:47], v58 offset:304
	v_add_f64 v[48:49], v[72:73], v[48:49]
	s_waitcnt lgkmcnt(2)
	v_mul_f64 v[72:73], v[10:11], v[14:15]
	v_add_f64 v[50:51], v[74:75], v[50:51]
	v_fma_f64 v[72:73], v[8:9], v[12:13], -v[72:73]
	v_mul_f64 v[74:75], v[8:9], v[14:15]
	v_fmac_f64_e32 v[74:75], v[10:11], v[12:13]
	v_add_f64 v[72:73], v[48:49], v[72:73]
	s_waitcnt lgkmcnt(1)
	v_mul_f64 v[48:49], v[10:11], v[42:43]
	v_add_f64 v[74:75], v[50:51], v[74:75]
	v_fma_f64 v[76:77], v[8:9], v[40:41], -v[48:49]
	ds_read_b128 v[48:51], v58 offset:8480
	v_mul_f64 v[8:9], v[8:9], v[42:43]
	v_fmac_f64_e32 v[8:9], v[10:11], v[40:41]
	v_add_f64 v[52:53], v[52:53], v[76:77]
	v_add_f64 v[54:55], v[54:55], v[8:9]
	ds_read_b128 v[8:11], v58 offset:8496
	s_waitcnt lgkmcnt(1)
	v_mul_f64 v[76:77], v[50:51], v[14:15]
	v_mul_f64 v[14:15], v[48:49], v[14:15]
	v_add_f64 v[6:7], v[78:79], v[6:7]
	v_fma_f64 v[76:77], v[48:49], v[12:13], -v[76:77]
	v_fmac_f64_e32 v[14:15], v[50:51], v[12:13]
	v_add_f64 v[76:77], v[4:5], v[76:77]
	v_add_f64 v[78:79], v[6:7], v[14:15]
	v_mul_f64 v[4:5], v[50:51], v[42:43]
	v_mul_f64 v[14:15], v[48:49], v[42:43]
	v_fma_f64 v[12:13], v[48:49], v[40:41], -v[4:5]
	v_fmac_f64_e32 v[14:15], v[50:51], v[40:41]
	ds_read_b128 v[4:7], v56 offset:9728
	v_add_f64 v[40:41], v[68:69], v[12:13]
	v_add_f64 v[42:43], v[70:71], v[14:15]
	ds_read_b128 v[12:15], v56 offset:9984
	s_waitcnt lgkmcnt(1)
	v_mul_f64 v[48:49], v[46:47], v[6:7]
	v_fma_f64 v[48:49], v[44:45], v[4:5], -v[48:49]
	v_mul_f64 v[50:51], v[44:45], v[6:7]
	s_waitcnt lgkmcnt(0)
	v_mul_f64 v[68:69], v[46:47], v[14:15]
	v_fma_f64 v[68:69], v[44:45], v[12:13], -v[68:69]
	v_mul_f64 v[44:45], v[44:45], v[14:15]
	v_fmac_f64_e32 v[44:45], v[46:47], v[12:13]
	v_add_f64 v[54:55], v[54:55], v[44:45]
	v_mul_f64 v[44:45], v[10:11], v[6:7]
	v_fma_f64 v[44:45], v[8:9], v[4:5], -v[44:45]
	v_mul_f64 v[6:7], v[8:9], v[6:7]
	v_fmac_f64_e32 v[50:51], v[46:47], v[4:5]
	v_fmac_f64_e32 v[6:7], v[10:11], v[4:5]
	v_add_f64 v[4:5], v[76:77], v[44:45]
	v_mul_f64 v[44:45], v[10:11], v[14:15]
	v_mul_f64 v[46:47], v[8:9], v[14:15]
	v_fma_f64 v[44:45], v[8:9], v[12:13], -v[44:45]
	v_fmac_f64_e32 v[46:47], v[10:11], v[12:13]
	ds_read_b128 v[8:11], v58 offset:320
	ds_read_b128 v[12:15], v56 offset:10240
	v_add_f64 v[52:53], v[52:53], v[68:69]
	v_add_f64 v[68:69], v[40:41], v[44:45]
	v_add_f64 v[70:71], v[42:43], v[46:47]
	ds_read_b128 v[40:43], v56 offset:10496
	ds_read_b128 v[44:47], v58 offset:336
	v_add_f64 v[48:49], v[72:73], v[48:49]
	s_waitcnt lgkmcnt(2)
	v_mul_f64 v[72:73], v[10:11], v[14:15]
	v_add_f64 v[50:51], v[74:75], v[50:51]
	v_fma_f64 v[72:73], v[8:9], v[12:13], -v[72:73]
	v_mul_f64 v[74:75], v[8:9], v[14:15]
	v_fmac_f64_e32 v[74:75], v[10:11], v[12:13]
	v_add_f64 v[72:73], v[48:49], v[72:73]
	s_waitcnt lgkmcnt(1)
	v_mul_f64 v[48:49], v[10:11], v[42:43]
	v_add_f64 v[74:75], v[50:51], v[74:75]
	v_fma_f64 v[76:77], v[8:9], v[40:41], -v[48:49]
	ds_read_b128 v[48:51], v58 offset:8512
	v_mul_f64 v[8:9], v[8:9], v[42:43]
	v_fmac_f64_e32 v[8:9], v[10:11], v[40:41]
	v_add_f64 v[52:53], v[52:53], v[76:77]
	v_add_f64 v[54:55], v[54:55], v[8:9]
	ds_read_b128 v[8:11], v58 offset:8528
	s_waitcnt lgkmcnt(1)
	v_mul_f64 v[76:77], v[50:51], v[14:15]
	v_mul_f64 v[14:15], v[48:49], v[14:15]
	v_add_f64 v[6:7], v[78:79], v[6:7]
	v_fma_f64 v[76:77], v[48:49], v[12:13], -v[76:77]
	v_fmac_f64_e32 v[14:15], v[50:51], v[12:13]
	v_add_f64 v[76:77], v[4:5], v[76:77]
	v_add_f64 v[78:79], v[6:7], v[14:15]
	v_mul_f64 v[4:5], v[50:51], v[42:43]
	v_mul_f64 v[14:15], v[48:49], v[42:43]
	v_fma_f64 v[12:13], v[48:49], v[40:41], -v[4:5]
	v_fmac_f64_e32 v[14:15], v[50:51], v[40:41]
	ds_read_b128 v[4:7], v56 offset:10752
	v_add_f64 v[40:41], v[68:69], v[12:13]
	v_add_f64 v[42:43], v[70:71], v[14:15]
	ds_read_b128 v[12:15], v56 offset:11008
	s_waitcnt lgkmcnt(1)
	v_mul_f64 v[48:49], v[46:47], v[6:7]
	v_fma_f64 v[48:49], v[44:45], v[4:5], -v[48:49]
	v_mul_f64 v[50:51], v[44:45], v[6:7]
	s_waitcnt lgkmcnt(0)
	v_mul_f64 v[68:69], v[46:47], v[14:15]
	v_fma_f64 v[68:69], v[44:45], v[12:13], -v[68:69]
	v_mul_f64 v[44:45], v[44:45], v[14:15]
	v_fmac_f64_e32 v[44:45], v[46:47], v[12:13]
	v_add_f64 v[54:55], v[54:55], v[44:45]
	v_mul_f64 v[44:45], v[10:11], v[6:7]
	v_fma_f64 v[44:45], v[8:9], v[4:5], -v[44:45]
	v_mul_f64 v[6:7], v[8:9], v[6:7]
	v_fmac_f64_e32 v[50:51], v[46:47], v[4:5]
	v_fmac_f64_e32 v[6:7], v[10:11], v[4:5]
	v_add_f64 v[4:5], v[76:77], v[44:45]
	v_mul_f64 v[44:45], v[10:11], v[14:15]
	v_mul_f64 v[46:47], v[8:9], v[14:15]
	v_fma_f64 v[44:45], v[8:9], v[12:13], -v[44:45]
	v_fmac_f64_e32 v[46:47], v[10:11], v[12:13]
	ds_read_b128 v[8:11], v58 offset:352
	ds_read_b128 v[12:15], v56 offset:11264
	v_add_f64 v[52:53], v[52:53], v[68:69]
	v_add_f64 v[68:69], v[40:41], v[44:45]
	v_add_f64 v[70:71], v[42:43], v[46:47]
	ds_read_b128 v[40:43], v56 offset:11520
	ds_read_b128 v[44:47], v58 offset:368
	v_add_f64 v[48:49], v[72:73], v[48:49]
	s_waitcnt lgkmcnt(2)
	v_mul_f64 v[72:73], v[10:11], v[14:15]
	v_add_f64 v[50:51], v[74:75], v[50:51]
	v_fma_f64 v[72:73], v[8:9], v[12:13], -v[72:73]
	v_mul_f64 v[74:75], v[8:9], v[14:15]
	v_fmac_f64_e32 v[74:75], v[10:11], v[12:13]
	v_add_f64 v[72:73], v[48:49], v[72:73]
	s_waitcnt lgkmcnt(1)
	v_mul_f64 v[48:49], v[10:11], v[42:43]
	v_add_f64 v[74:75], v[50:51], v[74:75]
	v_fma_f64 v[76:77], v[8:9], v[40:41], -v[48:49]
	ds_read_b128 v[48:51], v58 offset:8544
	v_mul_f64 v[8:9], v[8:9], v[42:43]
	v_fmac_f64_e32 v[8:9], v[10:11], v[40:41]
	v_add_f64 v[52:53], v[52:53], v[76:77]
	v_add_f64 v[54:55], v[54:55], v[8:9]
	ds_read_b128 v[8:11], v58 offset:8560
	s_waitcnt lgkmcnt(1)
	v_mul_f64 v[76:77], v[50:51], v[14:15]
	v_mul_f64 v[14:15], v[48:49], v[14:15]
	v_add_f64 v[6:7], v[78:79], v[6:7]
	v_fma_f64 v[76:77], v[48:49], v[12:13], -v[76:77]
	v_fmac_f64_e32 v[14:15], v[50:51], v[12:13]
	v_add_f64 v[76:77], v[4:5], v[76:77]
	v_add_f64 v[78:79], v[6:7], v[14:15]
	v_mul_f64 v[4:5], v[50:51], v[42:43]
	v_mul_f64 v[14:15], v[48:49], v[42:43]
	v_fma_f64 v[12:13], v[48:49], v[40:41], -v[4:5]
	v_fmac_f64_e32 v[14:15], v[50:51], v[40:41]
	ds_read_b128 v[4:7], v56 offset:11776
	v_add_f64 v[40:41], v[68:69], v[12:13]
	v_add_f64 v[42:43], v[70:71], v[14:15]
	ds_read_b128 v[12:15], v56 offset:12032
	s_waitcnt lgkmcnt(1)
	v_mul_f64 v[48:49], v[46:47], v[6:7]
	v_fma_f64 v[48:49], v[44:45], v[4:5], -v[48:49]
	v_mul_f64 v[50:51], v[44:45], v[6:7]
	s_waitcnt lgkmcnt(0)
	v_mul_f64 v[68:69], v[46:47], v[14:15]
	v_fma_f64 v[68:69], v[44:45], v[12:13], -v[68:69]
	v_mul_f64 v[44:45], v[44:45], v[14:15]
	v_fmac_f64_e32 v[44:45], v[46:47], v[12:13]
	v_add_f64 v[54:55], v[54:55], v[44:45]
	v_mul_f64 v[44:45], v[10:11], v[6:7]
	v_fma_f64 v[44:45], v[8:9], v[4:5], -v[44:45]
	v_mul_f64 v[6:7], v[8:9], v[6:7]
	v_fmac_f64_e32 v[50:51], v[46:47], v[4:5]
	v_fmac_f64_e32 v[6:7], v[10:11], v[4:5]
	v_add_f64 v[4:5], v[76:77], v[44:45]
	v_mul_f64 v[44:45], v[10:11], v[14:15]
	v_mul_f64 v[46:47], v[8:9], v[14:15]
	v_fma_f64 v[44:45], v[8:9], v[12:13], -v[44:45]
	v_fmac_f64_e32 v[46:47], v[10:11], v[12:13]
	ds_read_b128 v[8:11], v58 offset:384
	ds_read_b128 v[12:15], v56 offset:12288
	v_add_f64 v[52:53], v[52:53], v[68:69]
	v_add_f64 v[68:69], v[40:41], v[44:45]
	v_add_f64 v[70:71], v[42:43], v[46:47]
	ds_read_b128 v[40:43], v56 offset:12544
	ds_read_b128 v[44:47], v58 offset:400
	v_add_f64 v[48:49], v[72:73], v[48:49]
	s_waitcnt lgkmcnt(2)
	v_mul_f64 v[72:73], v[10:11], v[14:15]
	v_add_f64 v[50:51], v[74:75], v[50:51]
	v_fma_f64 v[72:73], v[8:9], v[12:13], -v[72:73]
	v_mul_f64 v[74:75], v[8:9], v[14:15]
	v_fmac_f64_e32 v[74:75], v[10:11], v[12:13]
	v_add_f64 v[72:73], v[48:49], v[72:73]
	s_waitcnt lgkmcnt(1)
	v_mul_f64 v[48:49], v[10:11], v[42:43]
	v_add_f64 v[74:75], v[50:51], v[74:75]
	v_fma_f64 v[76:77], v[8:9], v[40:41], -v[48:49]
	ds_read_b128 v[48:51], v58 offset:8576
	v_mul_f64 v[8:9], v[8:9], v[42:43]
	v_fmac_f64_e32 v[8:9], v[10:11], v[40:41]
	v_add_f64 v[52:53], v[52:53], v[76:77]
	v_add_f64 v[54:55], v[54:55], v[8:9]
	ds_read_b128 v[8:11], v58 offset:8592
	s_waitcnt lgkmcnt(1)
	v_mul_f64 v[76:77], v[50:51], v[14:15]
	v_mul_f64 v[14:15], v[48:49], v[14:15]
	v_add_f64 v[6:7], v[78:79], v[6:7]
	v_fma_f64 v[76:77], v[48:49], v[12:13], -v[76:77]
	v_fmac_f64_e32 v[14:15], v[50:51], v[12:13]
	v_add_f64 v[76:77], v[4:5], v[76:77]
	v_add_f64 v[78:79], v[6:7], v[14:15]
	v_mul_f64 v[4:5], v[50:51], v[42:43]
	v_mul_f64 v[14:15], v[48:49], v[42:43]
	v_fma_f64 v[12:13], v[48:49], v[40:41], -v[4:5]
	v_fmac_f64_e32 v[14:15], v[50:51], v[40:41]
	ds_read_b128 v[4:7], v56 offset:12800
	v_add_f64 v[40:41], v[68:69], v[12:13]
	v_add_f64 v[42:43], v[70:71], v[14:15]
	ds_read_b128 v[12:15], v56 offset:13056
	s_waitcnt lgkmcnt(1)
	v_mul_f64 v[48:49], v[46:47], v[6:7]
	v_fma_f64 v[48:49], v[44:45], v[4:5], -v[48:49]
	v_mul_f64 v[50:51], v[44:45], v[6:7]
	s_waitcnt lgkmcnt(0)
	v_mul_f64 v[68:69], v[46:47], v[14:15]
	v_fma_f64 v[68:69], v[44:45], v[12:13], -v[68:69]
	v_mul_f64 v[44:45], v[44:45], v[14:15]
	v_fmac_f64_e32 v[44:45], v[46:47], v[12:13]
	v_add_f64 v[54:55], v[54:55], v[44:45]
	v_mul_f64 v[44:45], v[10:11], v[6:7]
	v_fma_f64 v[44:45], v[8:9], v[4:5], -v[44:45]
	v_mul_f64 v[6:7], v[8:9], v[6:7]
	v_fmac_f64_e32 v[50:51], v[46:47], v[4:5]
	v_fmac_f64_e32 v[6:7], v[10:11], v[4:5]
	v_add_f64 v[4:5], v[76:77], v[44:45]
	v_mul_f64 v[44:45], v[10:11], v[14:15]
	v_mul_f64 v[46:47], v[8:9], v[14:15]
	v_fma_f64 v[44:45], v[8:9], v[12:13], -v[44:45]
	v_fmac_f64_e32 v[46:47], v[10:11], v[12:13]
	ds_read_b128 v[8:11], v58 offset:416
	ds_read_b128 v[12:15], v56 offset:13312
	v_add_f64 v[52:53], v[52:53], v[68:69]
	v_add_f64 v[68:69], v[40:41], v[44:45]
	v_add_f64 v[70:71], v[42:43], v[46:47]
	ds_read_b128 v[40:43], v56 offset:13568
	ds_read_b128 v[44:47], v58 offset:432
	v_add_f64 v[48:49], v[72:73], v[48:49]
	s_waitcnt lgkmcnt(2)
	v_mul_f64 v[72:73], v[10:11], v[14:15]
	v_add_f64 v[50:51], v[74:75], v[50:51]
	v_fma_f64 v[72:73], v[8:9], v[12:13], -v[72:73]
	v_mul_f64 v[74:75], v[8:9], v[14:15]
	v_fmac_f64_e32 v[74:75], v[10:11], v[12:13]
	v_add_f64 v[72:73], v[48:49], v[72:73]
	s_waitcnt lgkmcnt(1)
	v_mul_f64 v[48:49], v[10:11], v[42:43]
	v_add_f64 v[74:75], v[50:51], v[74:75]
	v_fma_f64 v[76:77], v[8:9], v[40:41], -v[48:49]
	ds_read_b128 v[48:51], v58 offset:8608
	v_mul_f64 v[8:9], v[8:9], v[42:43]
	v_fmac_f64_e32 v[8:9], v[10:11], v[40:41]
	v_add_f64 v[52:53], v[52:53], v[76:77]
	v_add_f64 v[54:55], v[54:55], v[8:9]
	ds_read_b128 v[8:11], v58 offset:8624
	s_waitcnt lgkmcnt(1)
	v_mul_f64 v[76:77], v[50:51], v[14:15]
	v_mul_f64 v[14:15], v[48:49], v[14:15]
	v_add_f64 v[6:7], v[78:79], v[6:7]
	v_fma_f64 v[76:77], v[48:49], v[12:13], -v[76:77]
	v_fmac_f64_e32 v[14:15], v[50:51], v[12:13]
	v_add_f64 v[76:77], v[4:5], v[76:77]
	v_add_f64 v[78:79], v[6:7], v[14:15]
	v_mul_f64 v[4:5], v[50:51], v[42:43]
	v_mul_f64 v[14:15], v[48:49], v[42:43]
	v_fma_f64 v[12:13], v[48:49], v[40:41], -v[4:5]
	v_fmac_f64_e32 v[14:15], v[50:51], v[40:41]
	ds_read_b128 v[4:7], v56 offset:13824
	v_add_f64 v[40:41], v[68:69], v[12:13]
	v_add_f64 v[42:43], v[70:71], v[14:15]
	ds_read_b128 v[12:15], v56 offset:14080
	s_waitcnt lgkmcnt(1)
	v_mul_f64 v[48:49], v[46:47], v[6:7]
	v_fma_f64 v[48:49], v[44:45], v[4:5], -v[48:49]
	v_mul_f64 v[50:51], v[44:45], v[6:7]
	s_waitcnt lgkmcnt(0)
	v_mul_f64 v[68:69], v[46:47], v[14:15]
	v_fma_f64 v[68:69], v[44:45], v[12:13], -v[68:69]
	v_mul_f64 v[44:45], v[44:45], v[14:15]
	v_fmac_f64_e32 v[44:45], v[46:47], v[12:13]
	v_add_f64 v[54:55], v[54:55], v[44:45]
	v_mul_f64 v[44:45], v[10:11], v[6:7]
	v_fma_f64 v[44:45], v[8:9], v[4:5], -v[44:45]
	v_mul_f64 v[6:7], v[8:9], v[6:7]
	v_fmac_f64_e32 v[50:51], v[46:47], v[4:5]
	v_fmac_f64_e32 v[6:7], v[10:11], v[4:5]
	v_add_f64 v[4:5], v[76:77], v[44:45]
	v_mul_f64 v[44:45], v[10:11], v[14:15]
	v_mul_f64 v[46:47], v[8:9], v[14:15]
	v_fma_f64 v[44:45], v[8:9], v[12:13], -v[44:45]
	v_fmac_f64_e32 v[46:47], v[10:11], v[12:13]
	ds_read_b128 v[8:11], v58 offset:448
	ds_read_b128 v[12:15], v56 offset:14336
	v_add_f64 v[52:53], v[52:53], v[68:69]
	v_add_f64 v[68:69], v[40:41], v[44:45]
	v_add_f64 v[70:71], v[42:43], v[46:47]
	ds_read_b128 v[40:43], v56 offset:14592
	ds_read_b128 v[44:47], v58 offset:464
	v_add_f64 v[48:49], v[72:73], v[48:49]
	s_waitcnt lgkmcnt(2)
	v_mul_f64 v[72:73], v[10:11], v[14:15]
	v_add_f64 v[50:51], v[74:75], v[50:51]
	v_fma_f64 v[72:73], v[8:9], v[12:13], -v[72:73]
	v_mul_f64 v[74:75], v[8:9], v[14:15]
	v_fmac_f64_e32 v[74:75], v[10:11], v[12:13]
	v_add_f64 v[72:73], v[48:49], v[72:73]
	s_waitcnt lgkmcnt(1)
	v_mul_f64 v[48:49], v[10:11], v[42:43]
	v_add_f64 v[74:75], v[50:51], v[74:75]
	v_fma_f64 v[76:77], v[8:9], v[40:41], -v[48:49]
	ds_read_b128 v[48:51], v58 offset:8640
	v_mul_f64 v[8:9], v[8:9], v[42:43]
	v_fmac_f64_e32 v[8:9], v[10:11], v[40:41]
	v_add_f64 v[52:53], v[52:53], v[76:77]
	v_add_f64 v[54:55], v[54:55], v[8:9]
	ds_read_b128 v[8:11], v58 offset:8656
	s_waitcnt lgkmcnt(1)
	v_mul_f64 v[76:77], v[50:51], v[14:15]
	v_mul_f64 v[14:15], v[48:49], v[14:15]
	v_add_f64 v[6:7], v[78:79], v[6:7]
	v_fma_f64 v[76:77], v[48:49], v[12:13], -v[76:77]
	v_fmac_f64_e32 v[14:15], v[50:51], v[12:13]
	v_add_f64 v[76:77], v[4:5], v[76:77]
	v_add_f64 v[78:79], v[6:7], v[14:15]
	v_mul_f64 v[4:5], v[50:51], v[42:43]
	v_mul_f64 v[14:15], v[48:49], v[42:43]
	v_fma_f64 v[12:13], v[48:49], v[40:41], -v[4:5]
	v_fmac_f64_e32 v[14:15], v[50:51], v[40:41]
	ds_read_b128 v[4:7], v56 offset:14848
	v_add_f64 v[40:41], v[68:69], v[12:13]
	v_add_f64 v[42:43], v[70:71], v[14:15]
	ds_read_b128 v[12:15], v56 offset:15104
	s_waitcnt lgkmcnt(1)
	v_mul_f64 v[48:49], v[46:47], v[6:7]
	v_fma_f64 v[48:49], v[44:45], v[4:5], -v[48:49]
	v_mul_f64 v[50:51], v[44:45], v[6:7]
	s_waitcnt lgkmcnt(0)
	v_mul_f64 v[68:69], v[46:47], v[14:15]
	v_fma_f64 v[68:69], v[44:45], v[12:13], -v[68:69]
	v_mul_f64 v[44:45], v[44:45], v[14:15]
	v_fmac_f64_e32 v[44:45], v[46:47], v[12:13]
	v_add_f64 v[54:55], v[54:55], v[44:45]
	v_mul_f64 v[44:45], v[10:11], v[6:7]
	v_fma_f64 v[44:45], v[8:9], v[4:5], -v[44:45]
	v_mul_f64 v[6:7], v[8:9], v[6:7]
	v_fmac_f64_e32 v[50:51], v[46:47], v[4:5]
	v_fmac_f64_e32 v[6:7], v[10:11], v[4:5]
	v_add_f64 v[4:5], v[76:77], v[44:45]
	v_mul_f64 v[44:45], v[10:11], v[14:15]
	v_mul_f64 v[46:47], v[8:9], v[14:15]
	v_fma_f64 v[44:45], v[8:9], v[12:13], -v[44:45]
	v_fmac_f64_e32 v[46:47], v[10:11], v[12:13]
	ds_read_b128 v[8:11], v58 offset:480
	ds_read_b128 v[12:15], v56 offset:15360
	v_add_f64 v[52:53], v[52:53], v[68:69]
	v_add_f64 v[68:69], v[40:41], v[44:45]
	;; [unrolled: 1-line block ×3, first 2 shown]
	ds_read_b128 v[40:43], v56 offset:15616
	ds_read_b128 v[44:47], v58 offset:496
	v_add_f64 v[48:49], v[72:73], v[48:49]
	s_waitcnt lgkmcnt(2)
	v_mul_f64 v[72:73], v[10:11], v[14:15]
	v_add_f64 v[50:51], v[74:75], v[50:51]
	v_fma_f64 v[72:73], v[8:9], v[12:13], -v[72:73]
	v_mul_f64 v[74:75], v[8:9], v[14:15]
	v_fmac_f64_e32 v[74:75], v[10:11], v[12:13]
	v_add_f64 v[72:73], v[48:49], v[72:73]
	s_waitcnt lgkmcnt(1)
	v_mul_f64 v[48:49], v[10:11], v[42:43]
	v_add_f64 v[74:75], v[50:51], v[74:75]
	v_fma_f64 v[76:77], v[8:9], v[40:41], -v[48:49]
	ds_read_b128 v[48:51], v58 offset:8672
	v_mul_f64 v[8:9], v[8:9], v[42:43]
	v_fmac_f64_e32 v[8:9], v[10:11], v[40:41]
	v_add_f64 v[6:7], v[78:79], v[6:7]
	v_add_f64 v[76:77], v[52:53], v[76:77]
	;; [unrolled: 1-line block ×3, first 2 shown]
	ds_read_b128 v[8:11], v58 offset:8688
	s_waitcnt lgkmcnt(1)
	v_mul_f64 v[52:53], v[50:51], v[14:15]
	v_fma_f64 v[52:53], v[48:49], v[12:13], -v[52:53]
	v_mul_f64 v[14:15], v[48:49], v[14:15]
	v_fmac_f64_e32 v[14:15], v[50:51], v[12:13]
	v_add_f64 v[80:81], v[4:5], v[52:53]
	v_mul_f64 v[4:5], v[50:51], v[42:43]
	v_add_f64 v[82:83], v[6:7], v[14:15]
	v_fma_f64 v[12:13], v[48:49], v[40:41], -v[4:5]
	v_mul_f64 v[14:15], v[48:49], v[42:43]
	ds_read_b128 v[4:7], v56 offset:15872
	v_fmac_f64_e32 v[14:15], v[50:51], v[40:41]
	v_add_f64 v[40:41], v[68:69], v[12:13]
	v_add_f64 v[68:69], v[70:71], v[14:15]
	ds_read_b128 v[12:15], v56 offset:16128
	s_waitcnt lgkmcnt(1)
	v_mul_f64 v[42:43], v[46:47], v[6:7]
	v_fma_f64 v[42:43], v[44:45], v[4:5], -v[42:43]
	v_mul_f64 v[48:49], v[44:45], v[6:7]
	v_add_f64 v[52:53], v[72:73], v[42:43]
	s_waitcnt lgkmcnt(0)
	v_mul_f64 v[42:43], v[46:47], v[14:15]
	v_fmac_f64_e32 v[48:49], v[46:47], v[4:5]
	v_fma_f64 v[42:43], v[44:45], v[12:13], -v[42:43]
	v_add_f64 v[54:55], v[74:75], v[48:49]
	v_add_f64 v[48:49], v[76:77], v[42:43]
	v_mul_f64 v[42:43], v[10:11], v[6:7]
	v_mul_f64 v[6:7], v[8:9], v[6:7]
	;; [unrolled: 1-line block ×3, first 2 shown]
	v_fmac_f64_e32 v[6:7], v[10:11], v[4:5]
	v_fmac_f64_e32 v[44:45], v[46:47], v[12:13]
	v_fma_f64 v[42:43], v[8:9], v[4:5], -v[42:43]
	v_add_f64 v[46:47], v[82:83], v[6:7]
	v_mul_f64 v[4:5], v[10:11], v[14:15]
	v_mul_f64 v[6:7], v[8:9], v[14:15]
	v_fma_f64 v[4:5], v[8:9], v[12:13], -v[4:5]
	v_fmac_f64_e32 v[6:7], v[10:11], v[12:13]
	v_add_f64 v[50:51], v[78:79], v[44:45]
	v_add_f64 v[44:45], v[80:81], v[42:43]
	;; [unrolled: 1-line block ×4, first 2 shown]
	s_barrier
	s_cbranch_scc1 .LBB119_55
.LBB119_7:                              ;   Parent Loop BB119_4 Depth=1
                                        ; =>  This Inner Loop Header: Depth=2
	v_mov_b32_e32 v4, s27
	v_add_co_u32_e64 v8, s[10:11], s26, v16
	v_addc_co_u32_e64 v9, s[10:11], 0, v4, s[10:11]
	v_mov_b32_e32 v4, s23
	v_add_co_u32_e64 v6, s[10:11], s22, v1
	v_addc_co_u32_e64 v7, s[10:11], v17, v4, s[10:11]
	v_cmp_eq_u64_e64 s[10:11], s[26:27], v[24:25]
	v_cmp_le_i64_e64 s[12:13], s[36:37], v[8:9]
	s_and_b64 s[44:45], s[34:35], s[10:11]
	v_cmp_gt_i64_e64 s[10:11], v[8:9], v[18:19]
	s_or_b64 s[16:17], s[12:13], s[10:11]
	s_or_b64 s[16:17], s[16:17], s[44:45]
	;; [unrolled: 1-line block ×3, first 2 shown]
	s_xor_b64 s[16:17], s[16:17], -1
	s_and_saveexec_b64 s[42:43], s[16:17]
	s_xor_b64 s[16:17], exec, s[42:43]
	s_cbranch_execz .LBB119_9
; %bb.8:                                ;   in Loop: Header=BB119_7 Depth=2
	global_load_dwordx4 v[10:13], v[6:7], off
	s_waitcnt vmcnt(0)
	v_xor_b32_e32 v13, 0x80000000, v13
	ds_write_b128 v57, v[10:13]
.LBB119_9:                              ;   in Loop: Header=BB119_7 Depth=2
	s_or_saveexec_b64 s[16:17], s[16:17]
	s_xor_b64 s[42:43], s[44:45], -1
	s_xor_b64 exec, exec, s[16:17]
	s_cbranch_execz .LBB119_15
; %bb.10:                               ;   in Loop: Header=BB119_7 Depth=2
	s_and_saveexec_b64 s[48:49], s[42:43]
	s_xor_b64 s[48:49], exec, s[48:49]
	s_cbranch_execz .LBB119_12
; %bb.11:                               ;   in Loop: Header=BB119_7 Depth=2
	v_mov_b32_e32 v10, v2
	v_mov_b32_e32 v11, v2
	v_mov_b32_e32 v12, v2
	v_mov_b32_e32 v13, v2
	ds_write_b128 v57, v[10:13]
.LBB119_12:                             ;   in Loop: Header=BB119_7 Depth=2
	s_andn2_saveexec_b64 s[48:49], s[48:49]
	s_cbranch_execz .LBB119_14
; %bb.13:                               ;   in Loop: Header=BB119_7 Depth=2
	v_mov_b32_e32 v4, v2
	v_mov_b32_e32 v5, v2
	ds_write_b128 v57, v[2:5]
.LBB119_14:                             ;   in Loop: Header=BB119_7 Depth=2
	s_or_b64 exec, exec, s[48:49]
.LBB119_15:                             ;   in Loop: Header=BB119_7 Depth=2
	s_or_b64 exec, exec, s[16:17]
	v_cmp_eq_u64_e64 s[16:17], s[26:27], v[26:27]
	s_and_b64 s[48:49], s[34:35], s[16:17]
	v_cmp_lt_i64_e64 s[16:17], v[20:21], v[8:9]
	s_or_b64 s[12:13], s[12:13], s[16:17]
	s_or_b64 s[12:13], s[12:13], s[48:49]
	;; [unrolled: 1-line block ×3, first 2 shown]
	s_xor_b64 s[12:13], s[12:13], -1
	s_and_saveexec_b64 s[16:17], s[12:13]
	s_xor_b64 s[16:17], exec, s[16:17]
	s_cbranch_execz .LBB119_17
; %bb.16:                               ;   in Loop: Header=BB119_7 Depth=2
	v_mov_b32_e32 v5, s23
	v_add_co_u32_e64 v4, s[12:13], s22, v63
	v_addc_co_u32_e64 v5, s[12:13], v64, v5, s[12:13]
	global_load_dwordx4 v[10:13], v[4:5], off
	s_waitcnt vmcnt(0)
	v_xor_b32_e32 v13, 0x80000000, v13
	ds_write_b128 v57, v[10:13] offset:256
.LBB119_17:                             ;   in Loop: Header=BB119_7 Depth=2
	s_andn2_saveexec_b64 s[12:13], s[16:17]
	s_cbranch_execz .LBB119_23
; %bb.18:                               ;   in Loop: Header=BB119_7 Depth=2
	s_xor_b64 s[16:17], s[48:49], -1
	s_and_saveexec_b64 s[48:49], s[16:17]
	s_xor_b64 s[16:17], exec, s[48:49]
	s_cbranch_execz .LBB119_20
; %bb.19:                               ;   in Loop: Header=BB119_7 Depth=2
	v_mov_b32_e32 v10, v2
	v_mov_b32_e32 v11, v2
	;; [unrolled: 1-line block ×4, first 2 shown]
	ds_write_b128 v57, v[10:13] offset:256
.LBB119_20:                             ;   in Loop: Header=BB119_7 Depth=2
	s_andn2_saveexec_b64 s[16:17], s[16:17]
	s_cbranch_execz .LBB119_22
; %bb.21:                               ;   in Loop: Header=BB119_7 Depth=2
	v_mov_b32_e32 v4, v2
	v_mov_b32_e32 v5, v2
	ds_write_b128 v57, v[2:5] offset:256
.LBB119_22:                             ;   in Loop: Header=BB119_7 Depth=2
	s_or_b64 exec, exec, s[16:17]
.LBB119_23:                             ;   in Loop: Header=BB119_7 Depth=2
	s_or_b64 exec, exec, s[12:13]
	v_add_co_u32_e64 v4, s[12:13], 16, v8
	v_addc_co_u32_e64 v5, s[12:13], 0, v9, s[12:13]
	v_cmp_eq_u64_e64 s[16:17], s[26:27], v[28:29]
	v_cmp_le_i64_e64 s[12:13], s[36:37], v[4:5]
	s_and_b64 s[48:49], s[34:35], s[16:17]
	v_cmp_gt_i64_e64 s[16:17], v[4:5], v[18:19]
	s_or_b64 s[16:17], s[12:13], s[16:17]
	s_or_b64 s[16:17], s[16:17], s[48:49]
	;; [unrolled: 1-line block ×3, first 2 shown]
	s_xor_b64 s[16:17], s[16:17], -1
	s_and_saveexec_b64 s[54:55], s[16:17]
	s_xor_b64 s[16:17], exec, s[54:55]
	s_cbranch_execz .LBB119_25
; %bb.24:                               ;   in Loop: Header=BB119_7 Depth=2
	global_load_dwordx4 v[4:7], v[6:7], off offset:256
	s_waitcnt vmcnt(0)
	v_xor_b32_e32 v7, 0x80000000, v7
	ds_write_b128 v57, v[4:7] offset:8192
.LBB119_25:                             ;   in Loop: Header=BB119_7 Depth=2
	s_andn2_saveexec_b64 s[16:17], s[16:17]
	s_cbranch_execz .LBB119_31
; %bb.26:                               ;   in Loop: Header=BB119_7 Depth=2
	s_xor_b64 s[48:49], s[48:49], -1
	s_and_saveexec_b64 s[54:55], s[48:49]
	s_xor_b64 s[48:49], exec, s[54:55]
	s_cbranch_execz .LBB119_28
; %bb.27:                               ;   in Loop: Header=BB119_7 Depth=2
	v_mov_b32_e32 v4, v2
	v_mov_b32_e32 v5, v2
	;; [unrolled: 1-line block ×4, first 2 shown]
	ds_write_b128 v57, v[4:7] offset:8192
.LBB119_28:                             ;   in Loop: Header=BB119_7 Depth=2
	s_andn2_saveexec_b64 s[48:49], s[48:49]
	s_cbranch_execz .LBB119_30
; %bb.29:                               ;   in Loop: Header=BB119_7 Depth=2
	v_mov_b32_e32 v4, v2
	v_mov_b32_e32 v5, v2
	ds_write_b128 v57, v[2:5] offset:8192
.LBB119_30:                             ;   in Loop: Header=BB119_7 Depth=2
	s_or_b64 exec, exec, s[48:49]
.LBB119_31:                             ;   in Loop: Header=BB119_7 Depth=2
	s_or_b64 exec, exec, s[16:17]
	s_or_b64 s[10:11], s[12:13], s[10:11]
	s_or_b64 s[10:11], s[10:11], s[44:45]
	;; [unrolled: 1-line block ×3, first 2 shown]
	s_xor_b64 s[10:11], s[10:11], -1
	s_and_saveexec_b64 s[12:13], s[10:11]
	s_xor_b64 s[12:13], exec, s[12:13]
	s_cbranch_execz .LBB119_33
; %bb.32:                               ;   in Loop: Header=BB119_7 Depth=2
	v_mov_b32_e32 v5, s23
	v_add_co_u32_e64 v4, s[10:11], s22, v63
	v_addc_co_u32_e64 v5, s[10:11], v64, v5, s[10:11]
	global_load_dwordx4 v[4:7], v[4:5], off offset:256
	s_waitcnt vmcnt(0)
	v_xor_b32_e32 v7, 0x80000000, v7
	ds_write_b128 v57, v[4:7] offset:8448
.LBB119_33:                             ;   in Loop: Header=BB119_7 Depth=2
	s_andn2_saveexec_b64 s[10:11], s[12:13]
	s_cbranch_execz .LBB119_39
; %bb.34:                               ;   in Loop: Header=BB119_7 Depth=2
	s_and_saveexec_b64 s[12:13], s[42:43]
	s_xor_b64 s[12:13], exec, s[12:13]
	s_cbranch_execz .LBB119_36
; %bb.35:                               ;   in Loop: Header=BB119_7 Depth=2
	v_mov_b32_e32 v4, v2
	v_mov_b32_e32 v5, v2
	;; [unrolled: 1-line block ×4, first 2 shown]
	ds_write_b128 v57, v[4:7] offset:8448
.LBB119_36:                             ;   in Loop: Header=BB119_7 Depth=2
	s_andn2_saveexec_b64 s[12:13], s[12:13]
	s_cbranch_execz .LBB119_38
; %bb.37:                               ;   in Loop: Header=BB119_7 Depth=2
	v_mov_b32_e32 v4, v2
	v_mov_b32_e32 v5, v2
	ds_write_b128 v57, v[2:5] offset:8448
.LBB119_38:                             ;   in Loop: Header=BB119_7 Depth=2
	s_or_b64 exec, exec, s[12:13]
.LBB119_39:                             ;   in Loop: Header=BB119_7 Depth=2
	s_or_b64 exec, exec, s[10:11]
	v_mov_b32_e32 v5, s27
	v_add_co_u32_e64 v4, s[10:11], s26, v0
	v_addc_co_u32_e64 v5, s[10:11], 0, v5, s[10:11]
	v_cmp_gt_i64_e64 s[10:11], s[36:37], v[4:5]
	s_and_b64 s[12:13], vcc, s[10:11]
	s_xor_b64 s[12:13], s[12:13], -1
	s_and_saveexec_b64 s[16:17], s[12:13]
	s_xor_b64 s[12:13], exec, s[16:17]
	s_cbranch_execz .LBB119_41
; %bb.40:                               ;   in Loop: Header=BB119_7 Depth=2
	v_mov_b32_e32 v6, v2
	v_mov_b32_e32 v7, v2
	;; [unrolled: 1-line block ×4, first 2 shown]
	ds_write_b128 v59, v[6:9]
.LBB119_41:                             ;   in Loop: Header=BB119_7 Depth=2
	s_or_saveexec_b64 s[16:17], s[12:13]
	v_mov_b32_e32 v7, s23
	v_add_co_u32_e64 v6, s[12:13], s22, v36
	v_addc_co_u32_e64 v7, s[12:13], v37, v7, s[12:13]
	s_xor_b64 exec, exec, s[16:17]
	s_cbranch_execz .LBB119_43
; %bb.42:                               ;   in Loop: Header=BB119_7 Depth=2
	global_load_dwordx4 v[8:11], v[6:7], off offset:-256
	s_waitcnt vmcnt(0)
	ds_write2_b64 v59, v[8:9], v[10:11] offset1:1
.LBB119_43:                             ;   in Loop: Header=BB119_7 Depth=2
	s_or_b64 exec, exec, s[16:17]
	v_cmp_gt_i64_e64 s[12:13], s[38:39], v[4:5]
	s_and_b64 s[16:17], vcc, s[12:13]
	s_xor_b64 s[16:17], s[16:17], -1
	s_and_saveexec_b64 s[42:43], s[16:17]
	s_xor_b64 s[16:17], exec, s[42:43]
	s_cbranch_execz .LBB119_45
; %bb.44:                               ;   in Loop: Header=BB119_7 Depth=2
	v_mov_b32_e32 v4, v2
	v_mov_b32_e32 v5, v2
	v_mov_b32_e32 v6, v2
	v_mov_b32_e32 v7, v2
	ds_write_b128 v60, v[4:7]
                                        ; implicit-def: $vgpr6_vgpr7
.LBB119_45:                             ;   in Loop: Header=BB119_7 Depth=2
	s_andn2_saveexec_b64 s[16:17], s[16:17]
	s_cbranch_execz .LBB119_47
; %bb.46:                               ;   in Loop: Header=BB119_7 Depth=2
	global_load_dwordx4 v[4:7], v[6:7], off
	s_waitcnt vmcnt(0)
	ds_write2_b64 v60, v[4:5], v[6:7] offset1:1
.LBB119_47:                             ;   in Loop: Header=BB119_7 Depth=2
	s_or_b64 exec, exec, s[16:17]
	s_and_b64 s[10:11], s[8:9], s[10:11]
	s_xor_b64 s[10:11], s[10:11], -1
	s_and_saveexec_b64 s[16:17], s[10:11]
	s_xor_b64 s[10:11], exec, s[16:17]
	s_cbranch_execz .LBB119_49
; %bb.48:                               ;   in Loop: Header=BB119_7 Depth=2
	v_mov_b32_e32 v4, v2
	v_mov_b32_e32 v5, v2
	v_mov_b32_e32 v6, v2
	v_mov_b32_e32 v7, v2
	ds_write_b128 v61, v[4:7]
.LBB119_49:                             ;   in Loop: Header=BB119_7 Depth=2
	s_andn2_saveexec_b64 s[16:17], s[10:11]
	s_cbranch_execz .LBB119_51
; %bb.50:                               ;   in Loop: Header=BB119_7 Depth=2
	v_mov_b32_e32 v5, s23
	v_add_co_u32_e64 v4, s[10:11], s22, v38
	v_addc_co_u32_e64 v5, s[10:11], v39, v5, s[10:11]
	global_load_dwordx4 v[4:7], v[4:5], off offset:-256
	s_waitcnt vmcnt(0)
	ds_write2_b64 v61, v[4:5], v[6:7] offset1:1
.LBB119_51:                             ;   in Loop: Header=BB119_7 Depth=2
	s_or_b64 exec, exec, s[16:17]
	s_and_b64 s[10:11], s[8:9], s[12:13]
	s_xor_b64 s[10:11], s[10:11], -1
	s_and_saveexec_b64 s[12:13], s[10:11]
	s_xor_b64 s[10:11], exec, s[12:13]
	s_cbranch_execz .LBB119_53
; %bb.52:                               ;   in Loop: Header=BB119_7 Depth=2
	v_mov_b32_e32 v4, v2
	v_mov_b32_e32 v5, v2
	;; [unrolled: 1-line block ×4, first 2 shown]
	ds_write_b128 v62, v[4:7]
.LBB119_53:                             ;   in Loop: Header=BB119_7 Depth=2
	s_andn2_saveexec_b64 s[12:13], s[10:11]
	s_cbranch_execz .LBB119_6
; %bb.54:                               ;   in Loop: Header=BB119_7 Depth=2
	v_mov_b32_e32 v5, s23
	v_add_co_u32_e64 v4, s[10:11], s22, v38
	v_addc_co_u32_e64 v5, s[10:11], v39, v5, s[10:11]
	global_load_dwordx4 v[4:7], v[4:5], off
	s_waitcnt vmcnt(0)
	ds_write2_b64 v62, v[4:5], v[6:7] offset1:1
	s_branch .LBB119_6
.LBB119_55:                             ;   in Loop: Header=BB119_4 Depth=1
	v_mul_lo_u32 v6, v66, s40
	v_mul_lo_u32 v7, v65, s41
	v_mad_u64_u32 v[4:5], s[8:9], v65, s40, 0
	v_add3_u32 v5, v5, v7, v6
	v_lshlrev_b64 v[4:5], 4, v[4:5]
	v_mov_b32_e32 v6, s50
	v_add_co_u32_e64 v4, s[8:9], s47, v4
	v_cmp_gt_i32_e32 vcc, s46, v65
	v_addc_co_u32_e64 v5, s[8:9], v6, v5, s[8:9]
	s_and_b64 s[8:9], s[4:5], vcc
	s_and_saveexec_b64 s[10:11], s[8:9]
	s_cbranch_execz .LBB119_57
; %bb.56:                               ;   in Loop: Header=BB119_4 Depth=1
	v_add_co_u32_e64 v10, s[8:9], v4, v34
	v_addc_co_u32_e64 v11, s[8:9], v5, v35, s[8:9]
	global_load_dwordx4 v[6:9], v[10:11], off
	v_mul_f64 v[12:13], s[30:31], v[54:55]
	v_mul_f64 v[14:15], s[28:29], v[54:55]
	v_fma_f64 v[12:13], s[28:29], v[52:53], -v[12:13]
	v_fmac_f64_e32 v[14:15], s[30:31], v[52:53]
	s_waitcnt vmcnt(0)
	v_add_f64 v[6:7], v[6:7], v[12:13]
	v_add_f64 v[8:9], v[8:9], v[14:15]
	global_store_dwordx4 v[10:11], v[6:9], off
.LBB119_57:                             ;   in Loop: Header=BB119_4 Depth=1
	s_or_b64 exec, exec, s[10:11]
	s_and_b64 s[10:11], s[14:15], vcc
	s_and_saveexec_b64 s[8:9], s[10:11]
	s_cbranch_execz .LBB119_59
; %bb.58:                               ;   in Loop: Header=BB119_4 Depth=1
	v_lshlrev_b64 v[6:7], 4, v[22:23]
	v_add_co_u32_e32 v8, vcc, v4, v6
	v_addc_co_u32_e32 v9, vcc, v5, v7, vcc
	global_load_dwordx4 v[4:7], v[8:9], off
	v_mul_f64 v[10:11], s[30:31], v[50:51]
	v_mul_f64 v[12:13], s[28:29], v[50:51]
	v_fma_f64 v[10:11], s[28:29], v[48:49], -v[10:11]
	v_fmac_f64_e32 v[12:13], s[30:31], v[48:49]
	s_waitcnt vmcnt(0)
	v_add_f64 v[4:5], v[4:5], v[10:11]
	v_add_f64 v[6:7], v[6:7], v[12:13]
	global_store_dwordx4 v[8:9], v[4:7], off
.LBB119_59:                             ;   in Loop: Header=BB119_4 Depth=1
	s_or_b64 exec, exec, s[8:9]
	v_add_u32_e32 v4, 16, v65
	v_ashrrev_i32_e32 v5, 31, v4
	v_cmp_gt_i32_e32 vcc, s46, v4
	v_mul_lo_u32 v6, v5, s40
	v_mul_lo_u32 v7, v4, s41
	v_mad_u64_u32 v[4:5], s[8:9], v4, s40, 0
	v_add3_u32 v5, v5, v7, v6
	v_lshlrev_b64 v[4:5], 4, v[4:5]
	v_mov_b32_e32 v6, s50
	v_add_co_u32_e64 v4, s[8:9], s47, v4
	v_addc_co_u32_e64 v5, s[8:9], v6, v5, s[8:9]
	s_and_b64 s[8:9], s[4:5], vcc
	s_and_saveexec_b64 s[10:11], s[8:9]
	s_cbranch_execz .LBB119_61
; %bb.60:                               ;   in Loop: Header=BB119_4 Depth=1
	v_add_co_u32_e64 v10, s[8:9], v4, v34
	v_addc_co_u32_e64 v11, s[8:9], v5, v35, s[8:9]
	global_load_dwordx4 v[6:9], v[10:11], off
	v_mul_f64 v[12:13], s[30:31], v[46:47]
	v_mul_f64 v[14:15], s[28:29], v[46:47]
	v_fma_f64 v[12:13], s[28:29], v[44:45], -v[12:13]
	v_fmac_f64_e32 v[14:15], s[30:31], v[44:45]
	s_waitcnt vmcnt(0)
	v_add_f64 v[6:7], v[6:7], v[12:13]
	v_add_f64 v[8:9], v[8:9], v[14:15]
	global_store_dwordx4 v[10:11], v[6:9], off
.LBB119_61:                             ;   in Loop: Header=BB119_4 Depth=1
	s_or_b64 exec, exec, s[10:11]
	s_and_b64 s[10:11], s[14:15], vcc
	s_and_saveexec_b64 s[8:9], s[10:11]
	s_cbranch_execz .LBB119_3
; %bb.62:                               ;   in Loop: Header=BB119_4 Depth=1
	v_lshlrev_b64 v[6:7], 4, v[22:23]
	v_add_co_u32_e32 v8, vcc, v4, v6
	v_addc_co_u32_e32 v9, vcc, v5, v7, vcc
	global_load_dwordx4 v[4:7], v[8:9], off
	v_mul_f64 v[10:11], s[30:31], v[40:41]
	v_mul_f64 v[12:13], s[28:29], v[40:41]
	v_fma_f64 v[10:11], s[28:29], v[42:43], -v[10:11]
	v_fmac_f64_e32 v[12:13], s[30:31], v[42:43]
	s_waitcnt vmcnt(0)
	v_add_f64 v[4:5], v[4:5], v[10:11]
	v_add_f64 v[6:7], v[6:7], v[12:13]
	global_store_dwordx4 v[8:9], v[4:7], off
	s_branch .LBB119_3
.LBB119_63:
	s_endpgm
	.section	.rodata,"a",@progbits
	.p2align	6, 0x0
	.amdhsa_kernel _ZL30rocblas_trmm_outofplace_kernelI19rocblas_complex_numIdELi32ELi2ELb1ELb1ELb1ELb1ES1_KS1_S1_Ev17rocblas_diagonal_iiT6_lPT7_lllS6_lllPT8_llli
		.amdhsa_group_segment_fixed_size 32768
		.amdhsa_private_segment_fixed_size 0
		.amdhsa_kernarg_size 400
		.amdhsa_user_sgpr_count 6
		.amdhsa_user_sgpr_private_segment_buffer 1
		.amdhsa_user_sgpr_dispatch_ptr 0
		.amdhsa_user_sgpr_queue_ptr 0
		.amdhsa_user_sgpr_kernarg_segment_ptr 1
		.amdhsa_user_sgpr_dispatch_id 0
		.amdhsa_user_sgpr_flat_scratch_init 0
		.amdhsa_user_sgpr_kernarg_preload_length 0
		.amdhsa_user_sgpr_kernarg_preload_offset 0
		.amdhsa_user_sgpr_private_segment_size 0
		.amdhsa_uses_dynamic_stack 0
		.amdhsa_system_sgpr_private_segment_wavefront_offset 0
		.amdhsa_system_sgpr_workgroup_id_x 1
		.amdhsa_system_sgpr_workgroup_id_y 1
		.amdhsa_system_sgpr_workgroup_id_z 1
		.amdhsa_system_sgpr_workgroup_info 0
		.amdhsa_system_vgpr_workitem_id 1
		.amdhsa_next_free_vgpr 86
		.amdhsa_next_free_sgpr 56
		.amdhsa_accum_offset 88
		.amdhsa_reserve_vcc 1
		.amdhsa_reserve_flat_scratch 0
		.amdhsa_float_round_mode_32 0
		.amdhsa_float_round_mode_16_64 0
		.amdhsa_float_denorm_mode_32 3
		.amdhsa_float_denorm_mode_16_64 3
		.amdhsa_dx10_clamp 1
		.amdhsa_ieee_mode 1
		.amdhsa_fp16_overflow 0
		.amdhsa_tg_split 0
		.amdhsa_exception_fp_ieee_invalid_op 0
		.amdhsa_exception_fp_denorm_src 0
		.amdhsa_exception_fp_ieee_div_zero 0
		.amdhsa_exception_fp_ieee_overflow 0
		.amdhsa_exception_fp_ieee_underflow 0
		.amdhsa_exception_fp_ieee_inexact 0
		.amdhsa_exception_int_div_zero 0
	.end_amdhsa_kernel
	.section	.text._ZL30rocblas_trmm_outofplace_kernelI19rocblas_complex_numIdELi32ELi2ELb1ELb1ELb1ELb1ES1_KS1_S1_Ev17rocblas_diagonal_iiT6_lPT7_lllS6_lllPT8_llli,"axG",@progbits,_ZL30rocblas_trmm_outofplace_kernelI19rocblas_complex_numIdELi32ELi2ELb1ELb1ELb1ELb1ES1_KS1_S1_Ev17rocblas_diagonal_iiT6_lPT7_lllS6_lllPT8_llli,comdat
.Lfunc_end119:
	.size	_ZL30rocblas_trmm_outofplace_kernelI19rocblas_complex_numIdELi32ELi2ELb1ELb1ELb1ELb1ES1_KS1_S1_Ev17rocblas_diagonal_iiT6_lPT7_lllS6_lllPT8_llli, .Lfunc_end119-_ZL30rocblas_trmm_outofplace_kernelI19rocblas_complex_numIdELi32ELi2ELb1ELb1ELb1ELb1ES1_KS1_S1_Ev17rocblas_diagonal_iiT6_lPT7_lllS6_lllPT8_llli
                                        ; -- End function
	.section	.AMDGPU.csdata,"",@progbits
; Kernel info:
; codeLenInByte = 9580
; NumSgprs: 60
; NumVgprs: 86
; NumAgprs: 0
; TotalNumVgprs: 86
; ScratchSize: 0
; MemoryBound: 0
; FloatMode: 240
; IeeeMode: 1
; LDSByteSize: 32768 bytes/workgroup (compile time only)
; SGPRBlocks: 7
; VGPRBlocks: 10
; NumSGPRsForWavesPerEU: 60
; NumVGPRsForWavesPerEU: 86
; AccumOffset: 88
; Occupancy: 5
; WaveLimiterHint : 0
; COMPUTE_PGM_RSRC2:SCRATCH_EN: 0
; COMPUTE_PGM_RSRC2:USER_SGPR: 6
; COMPUTE_PGM_RSRC2:TRAP_HANDLER: 0
; COMPUTE_PGM_RSRC2:TGID_X_EN: 1
; COMPUTE_PGM_RSRC2:TGID_Y_EN: 1
; COMPUTE_PGM_RSRC2:TGID_Z_EN: 1
; COMPUTE_PGM_RSRC2:TIDIG_COMP_CNT: 1
; COMPUTE_PGM_RSRC3_GFX90A:ACCUM_OFFSET: 21
; COMPUTE_PGM_RSRC3_GFX90A:TG_SPLIT: 0
	.section	.text._ZL30rocblas_trmm_outofplace_kernelI19rocblas_complex_numIdELi32ELi2ELb0ELb0ELb0ELb0EPKS1_S2_S1_Ev17rocblas_diagonal_iiT6_lPT7_lllS7_lllPT8_llli,"axG",@progbits,_ZL30rocblas_trmm_outofplace_kernelI19rocblas_complex_numIdELi32ELi2ELb0ELb0ELb0ELb0EPKS1_S2_S1_Ev17rocblas_diagonal_iiT6_lPT7_lllS7_lllPT8_llli,comdat
	.globl	_ZL30rocblas_trmm_outofplace_kernelI19rocblas_complex_numIdELi32ELi2ELb0ELb0ELb0ELb0EPKS1_S2_S1_Ev17rocblas_diagonal_iiT6_lPT7_lllS7_lllPT8_llli ; -- Begin function _ZL30rocblas_trmm_outofplace_kernelI19rocblas_complex_numIdELi32ELi2ELb0ELb0ELb0ELb0EPKS1_S2_S1_Ev17rocblas_diagonal_iiT6_lPT7_lllS7_lllPT8_llli
	.p2align	8
	.type	_ZL30rocblas_trmm_outofplace_kernelI19rocblas_complex_numIdELi32ELi2ELb0ELb0ELb0ELb0EPKS1_S2_S1_Ev17rocblas_diagonal_iiT6_lPT7_lllS7_lllPT8_llli,@function
_ZL30rocblas_trmm_outofplace_kernelI19rocblas_complex_numIdELi32ELi2ELb0ELb0ELb0ELb0EPKS1_S2_S1_Ev17rocblas_diagonal_iiT6_lPT7_lllS7_lllPT8_llli: ; @_ZL30rocblas_trmm_outofplace_kernelI19rocblas_complex_numIdELi32ELi2ELb0ELb0ELb0ELb0EPKS1_S2_S1_Ev17rocblas_diagonal_iiT6_lPT7_lllS7_lllPT8_llli
; %bb.0:
	s_load_dwordx16 s[16:31], s[4:5], 0x10
	s_waitcnt lgkmcnt(0)
	s_mul_i32 s0, s8, s19
	s_mul_hi_u32 s1, s8, s18
	s_add_i32 s1, s1, s0
	s_mul_i32 s0, s8, s18
	s_lshl_b64 s[0:1], s[0:1], 4
	s_add_u32 s0, s16, s0
	s_addc_u32 s1, s17, s1
	s_load_dwordx4 s[44:47], s[0:1], 0x0
	s_waitcnt lgkmcnt(0)
	v_cmp_eq_f64_e64 s[0:1], s[44:45], 0
	v_cmp_eq_f64_e64 s[2:3], s[46:47], 0
	s_and_b64 s[0:1], s[0:1], s[2:3]
	s_and_b64 vcc, exec, s[0:1]
	s_cbranch_vccnz .LBB120_63
; %bb.1:
	s_load_dwordx4 s[48:51], s[4:5], 0x0
	s_waitcnt lgkmcnt(0)
	s_add_i32 s0, s50, -1
	s_ashr_i32 s1, s0, 31
	s_lshr_b32 s1, s1, 27
	s_add_i32 s0, s0, s1
	s_ashr_i32 s33, s0, 5
	s_cmp_gt_i32 s7, s33
	s_cbranch_scc1 .LBB120_63
; %bb.2:
	s_load_dwordx8 s[36:43], s[4:5], 0x50
	s_load_dwordx4 s[52:55], s[4:5], 0x70
	s_load_dword s56, s[4:5], 0x8c
	v_and_b32_e32 v4, 0x3ff, v0
	v_bfe_u32 v62, v0, 10, 10
	s_waitcnt lgkmcnt(0)
	s_mul_i32 s1, s8, s39
	s_mul_hi_u32 s2, s8, s38
	s_mul_i32 s0, s8, s38
	s_add_i32 s1, s2, s1
	s_lshl_b64 s[0:1], s[0:1], 4
	s_add_u32 s2, s28, s0
	s_addc_u32 s3, s29, s1
	s_lshl_b64 s[0:1], s[30:31], 4
	s_add_u32 s2, s2, s0
	s_addc_u32 s3, s3, s1
	s_mul_i32 s0, s8, s55
	s_mul_hi_u32 s1, s8, s54
	s_add_i32 s1, s1, s0
	s_mul_i32 s0, s8, s54
	s_lshl_b64 s[0:1], s[0:1], 4
	s_add_u32 s4, s40, s0
	s_addc_u32 s5, s41, s1
	s_lshl_b64 s[0:1], s[42:43], 4
	s_add_u32 s57, s4, s0
	s_addc_u32 s58, s5, s1
	s_cmpk_eq_i32 s48, 0x84
	s_cselect_b64 s[28:29], -1, 0
	s_ashr_i32 s51, s50, 31
	s_ashr_i32 s0, s49, 31
	s_lshl_b64 s[30:31], s[36:37], 9
	s_add_u32 s34, s50, -16
	v_lshl_add_u32 v0, s6, 5, v4
	s_addc_u32 s35, s51, -1
	s_lshl_b32 s9, s7, 5
	v_ashrrev_i32_e32 v1, 31, v0
	v_add_u32_e32 v20, s9, v4
	v_add_u32_e32 v22, s9, v62
	s_mul_i32 s9, s27, s8
	s_mul_hi_u32 s10, s26, s8
	v_lshlrev_b64 v[14:15], 4, v[0:1]
	s_add_i32 s9, s10, s9
	s_mul_i32 s8, s26, s8
	v_mov_b32_e32 v2, s3
	v_add_co_u32_e32 v16, vcc, s2, v14
	s_lshl_b32 s59, s56, 5
	s_lshl_b64 s[38:39], s[36:37], 4
	s_lshl_b64 s[8:9], s[8:9], 4
	;; [unrolled: 1-line block ×3, first 2 shown]
	v_addc_co_u32_e32 v17, vcc, v2, v15, vcc
	s_add_u32 s8, s8, s10
	v_mov_b32_e32 v3, s0
	v_sub_co_u32_e32 v2, vcc, s49, v0
	s_addc_u32 s9, s9, s11
	v_subb_co_u32_e32 v3, vcc, v3, v1, vcc
	v_lshlrev_b32_e32 v1, 4, v4
	s_add_u32 s20, s20, s8
	v_lshlrev_b32_e32 v63, 9, v62
	v_or_b32_e32 v68, 0x4000, v1
	s_addc_u32 s21, s21, s9
	v_add_u32_e32 v64, v63, v1
	v_add_u32_e32 v69, v68, v63
	;; [unrolled: 1-line block ×3, first 2 shown]
	s_add_u32 s22, s20, 0x100
	s_movk_i32 s6, 0x100
	v_add_u32_e32 v65, 0x100, v64
	v_add_u32_e32 v66, 0x2000, v64
	;; [unrolled: 1-line block ×3, first 2 shown]
	v_cmp_gt_i64_e64 s[0:1], 1, v[2:3]
	v_cmp_gt_i64_e64 s[2:3], 17, v[2:3]
	v_add_u32_e32 v70, 0x100, v69
	v_add_u32_e32 v71, 0x2000, v69
	;; [unrolled: 1-line block ×3, first 2 shown]
	v_cmp_gt_i32_e64 s[4:5], s49, v0
	v_cmp_gt_i32_e64 s[16:17], s49, v18
	v_ashrrev_i32_e32 v19, 31, v18
	v_add_u32_e32 v73, 0x4100, v1
	s_addc_u32 s23, s21, 0
	s_lshl_b64 s[26:27], s[24:25], 4
	v_mov_b32_e32 v0, 0
	v_mov_b32_e32 v1, 0x3ff00000
	s_branch .LBB120_4
.LBB120_3:                              ;   in Loop: Header=BB120_4 Depth=1
	s_or_b64 exec, exec, s[8:9]
	s_add_i32 s7, s56, s7
	v_add_u32_e32 v20, s59, v20
	s_cmp_le_i32 s7, s33
	v_add_u32_e32 v22, s59, v22
	s_cbranch_scc0 .LBB120_63
.LBB120_4:                              ; =>This Loop Header: Depth=1
                                        ;     Child Loop BB120_7 Depth 2
	s_lshl_b32 s8, s7, 5
	v_add_u32_e32 v24, s8, v62
	s_sub_i32 s60, s50, s8
	v_pk_mov_b32 v[58:59], 0, 0
	v_ashrrev_i32_e32 v21, 31, v20
	v_ashrrev_i32_e32 v23, 31, v22
	;; [unrolled: 1-line block ×3, first 2 shown]
	s_cmp_lt_i32 s60, 1
	v_pk_mov_b32 v[60:61], v[58:59], v[58:59] op_sel:[0,1]
	v_pk_mov_b32 v[52:53], v[58:59], v[58:59] op_sel:[0,1]
	v_pk_mov_b32 v[56:57], v[58:59], v[58:59] op_sel:[0,1]
	v_pk_mov_b32 v[50:51], v[58:59], v[58:59] op_sel:[0,1]
	v_pk_mov_b32 v[54:55], v[58:59], v[58:59] op_sel:[0,1]
	v_pk_mov_b32 v[48:49], v[58:59], v[58:59] op_sel:[0,1]
	v_pk_mov_b32 v[46:47], v[58:59], v[58:59] op_sel:[0,1]
	s_cbranch_scc1 .LBB120_55
; %bb.5:                                ;   in Loop: Header=BB120_4 Depth=1
	v_mov_b32_e32 v2, 0x100
	v_mov_b32_e32 v3, 0
	v_mad_u64_u32 v[28:29], s[8:9], s38, v22, v[2:3]
	v_mul_lo_u32 v4, s38, v23
	v_mul_lo_u32 v5, s39, v22
	v_add3_u32 v29, v5, v29, v4
	v_pk_mov_b32 v[4:5], s[22:23], s[22:23] op_sel:[0,1]
	v_sub_co_u32_e32 v26, vcc, v22, v20
	v_mad_u64_u32 v[32:33], s[8:9], s26, v22, v[4:5]
	v_mul_lo_u32 v4, s26, v23
	v_mul_lo_u32 v5, s27, v22
	v_subb_co_u32_e32 v27, vcc, v23, v21, vcc
	v_add3_u32 v33, v5, v33, v4
	v_lshlrev_b64 v[4:5], 4, v[22:23]
	v_add_co_u32_e32 v6, vcc, s6, v4
	v_addc_co_u32_e32 v7, vcc, 0, v5, vcc
	v_add_co_u32_e32 v38, vcc, 16, v24
	v_addc_co_u32_e32 v39, vcc, 0, v25, vcc
	v_add_co_u32_e32 v40, vcc, 16, v26
	v_pk_mov_b32 v[4:5], s[20:21], s[20:21] op_sel:[0,1]
	v_addc_co_u32_e32 v41, vcc, 0, v27, vcc
	v_mul_lo_u32 v8, s24, v7
	v_mul_lo_u32 v9, s25, v6
	v_mad_u64_u32 v[34:35], s[8:9], s24, v6, v[4:5]
	v_mul_lo_u32 v4, s36, v7
	v_mul_lo_u32 v5, s37, v6
	v_mad_u64_u32 v[36:37], s[8:9], s36, v6, v[2:3]
	v_add_co_u32_e32 v42, vcc, -16, v26
	v_pk_mov_b32 v[46:47], 0, 0
	v_lshlrev_b64 v[30:31], 4, v[20:21]
	v_add3_u32 v35, v9, v35, v8
	v_add3_u32 v37, v5, v37, v4
	v_cmp_le_i32_e64 s[8:9], s50, v24
	v_cmp_le_i64_e64 s[10:11], s[50:51], v[38:39]
	v_addc_co_u32_e32 v43, vcc, -1, v27, vcc
	s_mov_b64 s[40:41], 0
	v_pk_mov_b32 v[44:45], v[16:17], v[16:17] op_sel:[0,1]
	v_pk_mov_b32 v[48:49], v[46:47], v[46:47] op_sel:[0,1]
	;; [unrolled: 1-line block ×8, first 2 shown]
	s_branch .LBB120_7
.LBB120_6:                              ;   in Loop: Header=BB120_7 Depth=2
	s_or_b64 exec, exec, s[12:13]
	s_waitcnt lgkmcnt(0)
	s_barrier
	ds_read_b128 v[74:77], v63
	ds_read_b128 v[10:13], v63 offset:16
	ds_read_b128 v[6:9], v63 offset:32
	;; [unrolled: 1-line block ×3, first 2 shown]
	ds_read_b128 v[78:81], v68
	v_add_co_u32_e32 v44, vcc, s30, v44
	s_add_u32 s40, s40, 32
	s_addc_u32 s41, s41, 0
	s_waitcnt lgkmcnt(0)
	v_mul_f64 v[82:83], v[76:77], v[80:81]
	v_mul_f64 v[84:85], v[74:75], v[80:81]
	v_fma_f64 v[82:83], v[74:75], v[78:79], -v[82:83]
	v_fmac_f64_e32 v[84:85], v[76:77], v[78:79]
	v_add_f64 v[82:83], v[58:59], v[82:83]
	v_add_f64 v[84:85], v[60:61], v[84:85]
	ds_read_b128 v[58:61], v73
	s_cmp_ge_i32 s40, s60
	s_waitcnt lgkmcnt(0)
	v_mul_f64 v[86:87], v[76:77], v[60:61]
	v_fma_f64 v[86:87], v[74:75], v[58:59], -v[86:87]
	v_mul_f64 v[74:75], v[74:75], v[60:61]
	v_fmac_f64_e32 v[74:75], v[76:77], v[58:59]
	v_add_f64 v[88:89], v[56:57], v[74:75]
	ds_read_b128 v[74:77], v63 offset:8192
	v_add_f64 v[86:87], v[52:53], v[86:87]
	s_waitcnt lgkmcnt(0)
	v_mul_f64 v[52:53], v[76:77], v[80:81]
	v_mul_f64 v[56:57], v[74:75], v[80:81]
	v_fma_f64 v[52:53], v[74:75], v[78:79], -v[52:53]
	v_fmac_f64_e32 v[56:57], v[76:77], v[78:79]
	v_add_f64 v[50:51], v[50:51], v[52:53]
	v_add_f64 v[52:53], v[54:55], v[56:57]
	v_mul_f64 v[54:55], v[76:77], v[60:61]
	v_mul_f64 v[56:57], v[74:75], v[60:61]
	v_fma_f64 v[54:55], v[74:75], v[58:59], -v[54:55]
	v_fmac_f64_e32 v[56:57], v[76:77], v[58:59]
	v_add_f64 v[48:49], v[48:49], v[54:55]
	v_add_f64 v[46:47], v[46:47], v[56:57]
	ds_read_b128 v[54:57], v68 offset:512
	s_waitcnt lgkmcnt(0)
	v_mul_f64 v[58:59], v[12:13], v[56:57]
	v_mul_f64 v[60:61], v[10:11], v[56:57]
	v_fma_f64 v[58:59], v[10:11], v[54:55], -v[58:59]
	v_fmac_f64_e32 v[60:61], v[12:13], v[54:55]
	v_add_f64 v[74:75], v[82:83], v[58:59]
	v_add_f64 v[76:77], v[84:85], v[60:61]
	ds_read_b128 v[58:61], v73 offset:512
	s_waitcnt lgkmcnt(0)
	v_mul_f64 v[78:79], v[12:13], v[60:61]
	v_fma_f64 v[78:79], v[10:11], v[58:59], -v[78:79]
	v_mul_f64 v[10:11], v[10:11], v[60:61]
	v_fmac_f64_e32 v[10:11], v[12:13], v[58:59]
	v_add_f64 v[80:81], v[88:89], v[10:11]
	ds_read_b128 v[10:13], v63 offset:8208
	v_add_f64 v[78:79], v[86:87], v[78:79]
	s_waitcnt lgkmcnt(0)
	v_mul_f64 v[82:83], v[12:13], v[56:57]
	v_mul_f64 v[56:57], v[10:11], v[56:57]
	v_fma_f64 v[82:83], v[10:11], v[54:55], -v[82:83]
	v_fmac_f64_e32 v[56:57], v[12:13], v[54:55]
	v_mul_f64 v[54:55], v[12:13], v[60:61]
	v_fma_f64 v[54:55], v[10:11], v[58:59], -v[54:55]
	v_mul_f64 v[10:11], v[10:11], v[60:61]
	v_fmac_f64_e32 v[10:11], v[12:13], v[58:59]
	v_add_f64 v[52:53], v[52:53], v[56:57]
	v_add_f64 v[56:57], v[46:47], v[10:11]
	ds_read_b128 v[10:13], v68 offset:1024
	v_add_f64 v[54:55], v[48:49], v[54:55]
	v_add_f64 v[50:51], v[50:51], v[82:83]
	s_waitcnt lgkmcnt(0)
	v_mul_f64 v[46:47], v[8:9], v[12:13]
	v_mul_f64 v[48:49], v[6:7], v[12:13]
	v_fma_f64 v[46:47], v[6:7], v[10:11], -v[46:47]
	v_fmac_f64_e32 v[48:49], v[8:9], v[10:11]
	v_add_f64 v[58:59], v[74:75], v[46:47]
	v_add_f64 v[60:61], v[76:77], v[48:49]
	ds_read_b128 v[46:49], v73 offset:1024
	s_waitcnt lgkmcnt(0)
	v_mul_f64 v[74:75], v[8:9], v[48:49]
	v_fma_f64 v[74:75], v[6:7], v[46:47], -v[74:75]
	v_mul_f64 v[6:7], v[6:7], v[48:49]
	v_fmac_f64_e32 v[6:7], v[8:9], v[46:47]
	v_add_f64 v[76:77], v[80:81], v[6:7]
	ds_read_b128 v[6:9], v63 offset:8224
	v_add_f64 v[74:75], v[78:79], v[74:75]
	s_waitcnt lgkmcnt(0)
	v_mul_f64 v[78:79], v[8:9], v[12:13]
	v_fma_f64 v[78:79], v[6:7], v[10:11], -v[78:79]
	v_mul_f64 v[12:13], v[6:7], v[12:13]
	v_fmac_f64_e32 v[12:13], v[8:9], v[10:11]
	v_add_f64 v[10:11], v[50:51], v[78:79]
	v_mul_f64 v[50:51], v[8:9], v[48:49]
	v_mul_f64 v[48:49], v[6:7], v[48:49]
	v_fmac_f64_e32 v[48:49], v[8:9], v[46:47]
	v_fma_f64 v[50:51], v[6:7], v[46:47], -v[50:51]
	v_add_f64 v[8:9], v[56:57], v[48:49]
	ds_read_b128 v[46:49], v68 offset:1536
	v_add_f64 v[12:13], v[52:53], v[12:13]
	v_add_f64 v[6:7], v[54:55], v[50:51]
	s_waitcnt lgkmcnt(0)
	v_mul_f64 v[50:51], v[4:5], v[48:49]
	v_mul_f64 v[52:53], v[2:3], v[48:49]
	v_fma_f64 v[50:51], v[2:3], v[46:47], -v[50:51]
	v_fmac_f64_e32 v[52:53], v[4:5], v[46:47]
	v_add_f64 v[54:55], v[58:59], v[50:51]
	v_add_f64 v[56:57], v[60:61], v[52:53]
	ds_read_b128 v[50:53], v73 offset:1536
	s_waitcnt lgkmcnt(0)
	v_mul_f64 v[58:59], v[4:5], v[52:53]
	v_fma_f64 v[58:59], v[2:3], v[50:51], -v[58:59]
	v_mul_f64 v[2:3], v[2:3], v[52:53]
	v_fmac_f64_e32 v[2:3], v[4:5], v[50:51]
	v_add_f64 v[60:61], v[76:77], v[2:3]
	ds_read_b128 v[2:5], v63 offset:8240
	v_add_f64 v[58:59], v[74:75], v[58:59]
	s_waitcnt lgkmcnt(0)
	v_mul_f64 v[74:75], v[4:5], v[48:49]
	v_fma_f64 v[74:75], v[2:3], v[46:47], -v[74:75]
	v_mul_f64 v[48:49], v[2:3], v[48:49]
	v_fmac_f64_e32 v[48:49], v[4:5], v[46:47]
	v_add_f64 v[46:47], v[10:11], v[74:75]
	v_mul_f64 v[10:11], v[4:5], v[52:53]
	v_fma_f64 v[10:11], v[2:3], v[50:51], -v[10:11]
	v_mul_f64 v[2:3], v[2:3], v[52:53]
	v_fmac_f64_e32 v[2:3], v[4:5], v[50:51]
	v_add_f64 v[50:51], v[6:7], v[10:11]
	v_add_f64 v[52:53], v[8:9], v[2:3]
	ds_read_b128 v[2:5], v63 offset:64
	ds_read_b128 v[6:9], v68 offset:2048
	v_add_f64 v[48:49], v[12:13], v[48:49]
	s_waitcnt lgkmcnt(0)
	v_mul_f64 v[10:11], v[4:5], v[8:9]
	v_mul_f64 v[12:13], v[2:3], v[8:9]
	v_fma_f64 v[10:11], v[2:3], v[6:7], -v[10:11]
	v_fmac_f64_e32 v[12:13], v[4:5], v[6:7]
	v_add_f64 v[54:55], v[54:55], v[10:11]
	v_add_f64 v[56:57], v[56:57], v[12:13]
	ds_read_b128 v[10:13], v73 offset:2048
	s_waitcnt lgkmcnt(0)
	v_mul_f64 v[74:75], v[4:5], v[12:13]
	v_fma_f64 v[74:75], v[2:3], v[10:11], -v[74:75]
	v_mul_f64 v[2:3], v[2:3], v[12:13]
	v_fmac_f64_e32 v[2:3], v[4:5], v[10:11]
	v_add_f64 v[60:61], v[60:61], v[2:3]
	ds_read_b128 v[2:5], v63 offset:8256
	v_add_f64 v[58:59], v[58:59], v[74:75]
	s_waitcnt lgkmcnt(0)
	v_mul_f64 v[74:75], v[4:5], v[8:9]
	v_fma_f64 v[74:75], v[2:3], v[6:7], -v[74:75]
	v_mul_f64 v[8:9], v[2:3], v[8:9]
	v_fmac_f64_e32 v[8:9], v[4:5], v[6:7]
	v_add_f64 v[6:7], v[46:47], v[74:75]
	v_mul_f64 v[46:47], v[4:5], v[12:13]
	v_mul_f64 v[12:13], v[2:3], v[12:13]
	v_fma_f64 v[46:47], v[2:3], v[10:11], -v[46:47]
	v_fmac_f64_e32 v[12:13], v[4:5], v[10:11]
	v_add_f64 v[8:9], v[48:49], v[8:9]
	v_add_f64 v[2:3], v[50:51], v[46:47]
	v_add_f64 v[4:5], v[52:53], v[12:13]
	ds_read_b128 v[10:13], v63 offset:80
	ds_read_b128 v[46:49], v68 offset:2560
	s_waitcnt lgkmcnt(0)
	v_mul_f64 v[50:51], v[12:13], v[48:49]
	v_mul_f64 v[52:53], v[10:11], v[48:49]
	v_fma_f64 v[50:51], v[10:11], v[46:47], -v[50:51]
	v_fmac_f64_e32 v[52:53], v[12:13], v[46:47]
	v_add_f64 v[54:55], v[54:55], v[50:51]
	v_add_f64 v[56:57], v[56:57], v[52:53]
	ds_read_b128 v[50:53], v73 offset:2560
	s_waitcnt lgkmcnt(0)
	v_mul_f64 v[74:75], v[12:13], v[52:53]
	v_fma_f64 v[74:75], v[10:11], v[50:51], -v[74:75]
	v_mul_f64 v[10:11], v[10:11], v[52:53]
	v_fmac_f64_e32 v[10:11], v[12:13], v[50:51]
	v_add_f64 v[60:61], v[60:61], v[10:11]
	ds_read_b128 v[10:13], v63 offset:8272
	v_add_f64 v[58:59], v[58:59], v[74:75]
	s_waitcnt lgkmcnt(0)
	v_mul_f64 v[74:75], v[12:13], v[48:49]
	v_mul_f64 v[48:49], v[10:11], v[48:49]
	v_fma_f64 v[74:75], v[10:11], v[46:47], -v[74:75]
	v_fmac_f64_e32 v[48:49], v[12:13], v[46:47]
	v_add_f64 v[46:47], v[6:7], v[74:75]
	v_add_f64 v[48:49], v[8:9], v[48:49]
	v_mul_f64 v[6:7], v[12:13], v[52:53]
	v_mul_f64 v[8:9], v[10:11], v[52:53]
	v_fma_f64 v[6:7], v[10:11], v[50:51], -v[6:7]
	v_fmac_f64_e32 v[8:9], v[12:13], v[50:51]
	v_add_f64 v[50:51], v[2:3], v[6:7]
	v_add_f64 v[52:53], v[4:5], v[8:9]
	ds_read_b128 v[2:5], v63 offset:96
	ds_read_b128 v[6:9], v68 offset:3072
	s_waitcnt lgkmcnt(0)
	v_mul_f64 v[10:11], v[4:5], v[8:9]
	v_mul_f64 v[12:13], v[2:3], v[8:9]
	v_fma_f64 v[10:11], v[2:3], v[6:7], -v[10:11]
	v_fmac_f64_e32 v[12:13], v[4:5], v[6:7]
	v_add_f64 v[54:55], v[54:55], v[10:11]
	v_add_f64 v[56:57], v[56:57], v[12:13]
	ds_read_b128 v[10:13], v73 offset:3072
	s_waitcnt lgkmcnt(0)
	v_mul_f64 v[74:75], v[4:5], v[12:13]
	v_fma_f64 v[74:75], v[2:3], v[10:11], -v[74:75]
	v_mul_f64 v[2:3], v[2:3], v[12:13]
	v_fmac_f64_e32 v[2:3], v[4:5], v[10:11]
	v_add_f64 v[60:61], v[60:61], v[2:3]
	ds_read_b128 v[2:5], v63 offset:8288
	v_add_f64 v[58:59], v[58:59], v[74:75]
	s_waitcnt lgkmcnt(0)
	v_mul_f64 v[74:75], v[4:5], v[8:9]
	v_fma_f64 v[74:75], v[2:3], v[6:7], -v[74:75]
	v_mul_f64 v[8:9], v[2:3], v[8:9]
	v_fmac_f64_e32 v[8:9], v[4:5], v[6:7]
	v_add_f64 v[6:7], v[46:47], v[74:75]
	v_mul_f64 v[46:47], v[4:5], v[12:13]
	v_mul_f64 v[12:13], v[2:3], v[12:13]
	v_fma_f64 v[46:47], v[2:3], v[10:11], -v[46:47]
	v_fmac_f64_e32 v[12:13], v[4:5], v[10:11]
	v_add_f64 v[8:9], v[48:49], v[8:9]
	v_add_f64 v[2:3], v[50:51], v[46:47]
	v_add_f64 v[4:5], v[52:53], v[12:13]
	ds_read_b128 v[10:13], v63 offset:112
	ds_read_b128 v[46:49], v68 offset:3584
	s_waitcnt lgkmcnt(0)
	v_mul_f64 v[50:51], v[12:13], v[48:49]
	v_mul_f64 v[52:53], v[10:11], v[48:49]
	v_fma_f64 v[50:51], v[10:11], v[46:47], -v[50:51]
	v_fmac_f64_e32 v[52:53], v[12:13], v[46:47]
	v_add_f64 v[54:55], v[54:55], v[50:51]
	v_add_f64 v[56:57], v[56:57], v[52:53]
	ds_read_b128 v[50:53], v73 offset:3584
	s_waitcnt lgkmcnt(0)
	v_mul_f64 v[74:75], v[12:13], v[52:53]
	v_fma_f64 v[74:75], v[10:11], v[50:51], -v[74:75]
	v_mul_f64 v[10:11], v[10:11], v[52:53]
	v_fmac_f64_e32 v[10:11], v[12:13], v[50:51]
	v_add_f64 v[60:61], v[60:61], v[10:11]
	ds_read_b128 v[10:13], v63 offset:8304
	v_add_f64 v[58:59], v[58:59], v[74:75]
	s_waitcnt lgkmcnt(0)
	v_mul_f64 v[74:75], v[12:13], v[48:49]
	v_mul_f64 v[48:49], v[10:11], v[48:49]
	v_fma_f64 v[74:75], v[10:11], v[46:47], -v[74:75]
	v_fmac_f64_e32 v[48:49], v[12:13], v[46:47]
	v_add_f64 v[46:47], v[6:7], v[74:75]
	v_add_f64 v[48:49], v[8:9], v[48:49]
	v_mul_f64 v[6:7], v[12:13], v[52:53]
	v_mul_f64 v[8:9], v[10:11], v[52:53]
	v_fma_f64 v[6:7], v[10:11], v[50:51], -v[6:7]
	v_fmac_f64_e32 v[8:9], v[12:13], v[50:51]
	v_add_f64 v[50:51], v[2:3], v[6:7]
	v_add_f64 v[52:53], v[4:5], v[8:9]
	ds_read_b128 v[2:5], v63 offset:128
	ds_read_b128 v[6:9], v68 offset:4096
	;; [unrolled: 62-line block ×13, first 2 shown]
	s_waitcnt lgkmcnt(0)
	v_mul_f64 v[10:11], v[4:5], v[8:9]
	v_mul_f64 v[12:13], v[2:3], v[8:9]
	v_fma_f64 v[10:11], v[2:3], v[6:7], -v[10:11]
	v_fmac_f64_e32 v[12:13], v[4:5], v[6:7]
	v_add_f64 v[54:55], v[54:55], v[10:11]
	v_add_f64 v[56:57], v[56:57], v[12:13]
	ds_read_b128 v[10:13], v73 offset:15360
	s_waitcnt lgkmcnt(0)
	v_mul_f64 v[74:75], v[4:5], v[12:13]
	v_fma_f64 v[74:75], v[2:3], v[10:11], -v[74:75]
	v_mul_f64 v[2:3], v[2:3], v[12:13]
	v_fmac_f64_e32 v[2:3], v[4:5], v[10:11]
	v_add_f64 v[80:81], v[60:61], v[2:3]
	ds_read_b128 v[2:5], v63 offset:8672
	v_add_f64 v[78:79], v[58:59], v[74:75]
	s_waitcnt lgkmcnt(0)
	v_mul_f64 v[58:59], v[4:5], v[8:9]
	v_fma_f64 v[58:59], v[2:3], v[6:7], -v[58:59]
	v_mul_f64 v[8:9], v[2:3], v[8:9]
	v_fmac_f64_e32 v[8:9], v[4:5], v[6:7]
	v_add_f64 v[6:7], v[46:47], v[58:59]
	v_mul_f64 v[46:47], v[4:5], v[12:13]
	v_mul_f64 v[12:13], v[2:3], v[12:13]
	v_fma_f64 v[46:47], v[2:3], v[10:11], -v[46:47]
	v_fmac_f64_e32 v[12:13], v[4:5], v[10:11]
	v_add_f64 v[8:9], v[48:49], v[8:9]
	v_add_f64 v[2:3], v[50:51], v[46:47]
	;; [unrolled: 1-line block ×3, first 2 shown]
	ds_read_b128 v[10:13], v63 offset:496
	ds_read_b128 v[46:49], v68 offset:15872
	;; [unrolled: 1-line block ×3, first 2 shown]
	s_waitcnt lgkmcnt(1)
	v_mul_f64 v[50:51], v[12:13], v[48:49]
	v_fma_f64 v[50:51], v[10:11], v[46:47], -v[50:51]
	v_add_f64 v[58:59], v[54:55], v[50:51]
	s_waitcnt lgkmcnt(0)
	v_mul_f64 v[50:51], v[12:13], v[76:77]
	v_mul_f64 v[52:53], v[10:11], v[48:49]
	v_fma_f64 v[50:51], v[10:11], v[74:75], -v[50:51]
	v_mul_f64 v[10:11], v[10:11], v[76:77]
	v_fmac_f64_e32 v[52:53], v[12:13], v[46:47]
	v_fmac_f64_e32 v[10:11], v[12:13], v[74:75]
	v_add_f64 v[60:61], v[56:57], v[52:53]
	v_add_f64 v[56:57], v[80:81], v[10:11]
	ds_read_b128 v[10:13], v63 offset:8688
	v_add_f64 v[52:53], v[78:79], v[50:51]
	s_waitcnt lgkmcnt(0)
	s_barrier
	v_mul_f64 v[50:51], v[12:13], v[48:49]
	v_fma_f64 v[50:51], v[10:11], v[46:47], -v[50:51]
	v_mul_f64 v[48:49], v[10:11], v[48:49]
	v_add_f64 v[50:51], v[6:7], v[50:51]
	v_mul_f64 v[6:7], v[12:13], v[76:77]
	v_fmac_f64_e32 v[48:49], v[12:13], v[46:47]
	v_fma_f64 v[6:7], v[10:11], v[74:75], -v[6:7]
	v_add_f64 v[54:55], v[8:9], v[48:49]
	v_add_f64 v[48:49], v[2:3], v[6:7]
	v_mov_b32_e32 v2, s31
	v_addc_co_u32_e32 v45, vcc, v45, v2, vcc
	v_add_co_u32_e32 v32, vcc, 0x200, v32
	v_mul_f64 v[8:9], v[10:11], v[76:77]
	v_addc_co_u32_e32 v33, vcc, 0, v33, vcc
	v_fmac_f64_e32 v[8:9], v[12:13], v[74:75]
	v_add_co_u32_e32 v34, vcc, 0x200, v34
	v_add_f64 v[46:47], v[4:5], v[8:9]
	v_addc_co_u32_e32 v35, vcc, 0, v35, vcc
	s_cbranch_scc1 .LBB120_55
.LBB120_7:                              ;   Parent Loop BB120_4 Depth=1
                                        ; =>  This Inner Loop Header: Depth=2
	v_mov_b32_e32 v2, s41
	v_add_co_u32_e32 v4, vcc, s40, v20
	v_addc_co_u32_e32 v5, vcc, v21, v2, vcc
	v_add_co_u32_e32 v6, vcc, v32, v30
	v_addc_co_u32_e32 v7, vcc, v33, v31, vcc
	v_cmp_eq_u64_e32 vcc, s[40:41], v[26:27]
	s_and_b64 s[48:49], s[28:29], vcc
	v_cmp_lt_i64_e32 vcc, v[4:5], v[24:25]
	v_cmp_le_i64_e64 s[12:13], s[50:51], v[4:5]
	s_or_b64 s[14:15], s[8:9], vcc
	s_or_b64 s[14:15], s[12:13], s[14:15]
	s_or_b64 s[14:15], s[14:15], s[48:49]
	s_xor_b64 s[14:15], s[14:15], -1
	s_and_saveexec_b64 s[18:19], s[14:15]
	s_xor_b64 s[14:15], exec, s[18:19]
	s_cbranch_execz .LBB120_9
; %bb.8:                                ;   in Loop: Header=BB120_7 Depth=2
	global_load_dwordx4 v[8:11], v[6:7], off offset:-256
	s_waitcnt vmcnt(0)
	ds_write2_b64 v64, v[8:9], v[10:11] offset1:1
.LBB120_9:                              ;   in Loop: Header=BB120_7 Depth=2
	s_or_saveexec_b64 s[14:15], s[14:15]
	s_xor_b64 s[42:43], s[48:49], -1
	s_xor_b64 exec, exec, s[14:15]
	s_cbranch_execz .LBB120_15
; %bb.10:                               ;   in Loop: Header=BB120_7 Depth=2
	s_and_saveexec_b64 s[18:19], s[42:43]
	s_xor_b64 s[18:19], exec, s[18:19]
	s_cbranch_execz .LBB120_12
; %bb.11:                               ;   in Loop: Header=BB120_7 Depth=2
	v_mov_b32_e32 v8, v0
	v_mov_b32_e32 v9, v0
	;; [unrolled: 1-line block ×4, first 2 shown]
	ds_write_b128 v64, v[8:11]
.LBB120_12:                             ;   in Loop: Header=BB120_7 Depth=2
	s_andn2_saveexec_b64 s[18:19], s[18:19]
	s_cbranch_execz .LBB120_14
; %bb.13:                               ;   in Loop: Header=BB120_7 Depth=2
	v_mov_b32_e32 v2, v0
	v_mov_b32_e32 v3, v0
	ds_write_b128 v64, v[0:3]
.LBB120_14:                             ;   in Loop: Header=BB120_7 Depth=2
	s_or_b64 exec, exec, s[18:19]
.LBB120_15:                             ;   in Loop: Header=BB120_7 Depth=2
	s_or_b64 exec, exec, s[14:15]
	v_add_co_u32_e64 v2, s[14:15], 16, v4
	v_addc_co_u32_e64 v3, s[14:15], 0, v5, s[14:15]
	v_cmp_eq_u64_e64 s[14:15], s[40:41], v[42:43]
	v_cmp_lt_i64_e64 s[18:19], v[2:3], v[24:25]
	s_and_b64 s[54:55], s[28:29], s[14:15]
	v_cmp_le_i64_e64 s[14:15], s[50:51], v[2:3]
	s_or_b64 s[18:19], s[8:9], s[18:19]
	s_or_b64 s[18:19], s[14:15], s[18:19]
	;; [unrolled: 1-line block ×3, first 2 shown]
	s_xor_b64 s[18:19], s[18:19], -1
	s_and_saveexec_b64 s[62:63], s[18:19]
	s_xor_b64 s[18:19], exec, s[62:63]
	s_cbranch_execz .LBB120_17
; %bb.16:                               ;   in Loop: Header=BB120_7 Depth=2
	global_load_dwordx4 v[6:9], v[6:7], off
	s_waitcnt vmcnt(0)
	ds_write2_b64 v65, v[6:7], v[8:9] offset1:1
.LBB120_17:                             ;   in Loop: Header=BB120_7 Depth=2
	s_andn2_saveexec_b64 s[18:19], s[18:19]
	s_cbranch_execz .LBB120_23
; %bb.18:                               ;   in Loop: Header=BB120_7 Depth=2
	s_xor_b64 s[54:55], s[54:55], -1
	s_and_saveexec_b64 s[62:63], s[54:55]
	s_xor_b64 s[54:55], exec, s[62:63]
	s_cbranch_execz .LBB120_20
; %bb.19:                               ;   in Loop: Header=BB120_7 Depth=2
	v_mov_b32_e32 v6, v0
	v_mov_b32_e32 v7, v0
	v_mov_b32_e32 v8, v0
	v_mov_b32_e32 v9, v0
	ds_write_b128 v65, v[6:9]
.LBB120_20:                             ;   in Loop: Header=BB120_7 Depth=2
	s_andn2_saveexec_b64 s[54:55], s[54:55]
	s_cbranch_execz .LBB120_22
; %bb.21:                               ;   in Loop: Header=BB120_7 Depth=2
	v_mov_b32_e32 v2, v0
	v_mov_b32_e32 v3, v0
	ds_write_b128 v65, v[0:3]
.LBB120_22:                             ;   in Loop: Header=BB120_7 Depth=2
	s_or_b64 exec, exec, s[54:55]
.LBB120_23:                             ;   in Loop: Header=BB120_7 Depth=2
	s_or_b64 exec, exec, s[18:19]
	v_cmp_eq_u64_e64 s[18:19], s[40:41], v[40:41]
	s_and_b64 s[54:55], s[28:29], s[18:19]
	v_cmp_lt_i64_e64 s[18:19], v[4:5], v[38:39]
	s_or_b64 s[18:19], s[10:11], s[18:19]
	s_or_b64 s[18:19], s[18:19], s[54:55]
	;; [unrolled: 1-line block ×3, first 2 shown]
	s_xor_b64 s[12:13], s[12:13], -1
	s_and_saveexec_b64 s[18:19], s[12:13]
	s_xor_b64 s[18:19], exec, s[18:19]
	s_cbranch_execz .LBB120_25
; %bb.24:                               ;   in Loop: Header=BB120_7 Depth=2
	v_add_co_u32_e64 v2, s[12:13], v34, v30
	v_addc_co_u32_e64 v3, s[12:13], v35, v31, s[12:13]
	global_load_dwordx4 v[2:5], v[2:3], off
	s_waitcnt vmcnt(0)
	ds_write2_b64 v66, v[2:3], v[4:5] offset1:1
.LBB120_25:                             ;   in Loop: Header=BB120_7 Depth=2
	s_andn2_saveexec_b64 s[12:13], s[18:19]
	s_cbranch_execz .LBB120_31
; %bb.26:                               ;   in Loop: Header=BB120_7 Depth=2
	s_xor_b64 s[18:19], s[54:55], -1
	s_and_saveexec_b64 s[54:55], s[18:19]
	s_xor_b64 s[18:19], exec, s[54:55]
	s_cbranch_execz .LBB120_28
; %bb.27:                               ;   in Loop: Header=BB120_7 Depth=2
	v_mov_b32_e32 v2, v0
	v_mov_b32_e32 v3, v0
	v_mov_b32_e32 v4, v0
	v_mov_b32_e32 v5, v0
	ds_write_b128 v66, v[2:5]
.LBB120_28:                             ;   in Loop: Header=BB120_7 Depth=2
	s_andn2_saveexec_b64 s[18:19], s[18:19]
	s_cbranch_execz .LBB120_30
; %bb.29:                               ;   in Loop: Header=BB120_7 Depth=2
	v_mov_b32_e32 v2, v0
	v_mov_b32_e32 v3, v0
	ds_write_b128 v66, v[0:3]
.LBB120_30:                             ;   in Loop: Header=BB120_7 Depth=2
	s_or_b64 exec, exec, s[18:19]
.LBB120_31:                             ;   in Loop: Header=BB120_7 Depth=2
	s_or_b64 exec, exec, s[12:13]
	s_or_b64 s[12:13], s[10:11], vcc
	s_or_b64 s[12:13], s[14:15], s[12:13]
	s_or_b64 s[12:13], s[12:13], s[48:49]
	s_xor_b64 s[12:13], s[12:13], -1
	s_and_saveexec_b64 s[14:15], s[12:13]
	s_xor_b64 s[12:13], exec, s[14:15]
	s_cbranch_execz .LBB120_33
; %bb.32:                               ;   in Loop: Header=BB120_7 Depth=2
	v_add_co_u32_e32 v2, vcc, v34, v30
	v_addc_co_u32_e32 v3, vcc, v35, v31, vcc
	global_load_dwordx4 v[2:5], v[2:3], off offset:256
	s_waitcnt vmcnt(0)
	ds_write2_b64 v67, v[2:3], v[4:5] offset1:1
.LBB120_33:                             ;   in Loop: Header=BB120_7 Depth=2
	s_andn2_saveexec_b64 s[12:13], s[12:13]
	s_cbranch_execz .LBB120_39
; %bb.34:                               ;   in Loop: Header=BB120_7 Depth=2
	s_and_saveexec_b64 s[14:15], s[42:43]
	s_xor_b64 s[14:15], exec, s[14:15]
	s_cbranch_execz .LBB120_36
; %bb.35:                               ;   in Loop: Header=BB120_7 Depth=2
	v_mov_b32_e32 v2, v0
	v_mov_b32_e32 v3, v0
	;; [unrolled: 1-line block ×4, first 2 shown]
	ds_write_b128 v67, v[2:5]
.LBB120_36:                             ;   in Loop: Header=BB120_7 Depth=2
	s_andn2_saveexec_b64 s[14:15], s[14:15]
	s_cbranch_execz .LBB120_38
; %bb.37:                               ;   in Loop: Header=BB120_7 Depth=2
	v_mov_b32_e32 v2, v0
	v_mov_b32_e32 v3, v0
	ds_write_b128 v67, v[0:3]
.LBB120_38:                             ;   in Loop: Header=BB120_7 Depth=2
	s_or_b64 exec, exec, s[14:15]
.LBB120_39:                             ;   in Loop: Header=BB120_7 Depth=2
	s_or_b64 exec, exec, s[12:13]
	v_mov_b32_e32 v3, s41
	v_add_co_u32_e32 v2, vcc, s40, v22
	v_addc_co_u32_e32 v3, vcc, v23, v3, vcc
	v_add_co_u32_e32 v4, vcc, v44, v28
	v_addc_co_u32_e32 v5, vcc, v45, v29, vcc
	v_cmp_le_i64_e32 vcc, s[50:51], v[2:3]
	s_or_b64 s[12:13], vcc, s[0:1]
	s_xor_b64 s[12:13], s[12:13], -1
	s_and_saveexec_b64 s[14:15], s[12:13]
	s_xor_b64 s[12:13], exec, s[14:15]
	s_cbranch_execz .LBB120_41
; %bb.40:                               ;   in Loop: Header=BB120_7 Depth=2
	global_load_dwordx4 v[6:9], v[4:5], off offset:-256
	s_waitcnt vmcnt(0)
	ds_write2_b64 v69, v[6:7], v[8:9] offset1:1
.LBB120_41:                             ;   in Loop: Header=BB120_7 Depth=2
	s_andn2_saveexec_b64 s[12:13], s[12:13]
	s_cbranch_execz .LBB120_43
; %bb.42:                               ;   in Loop: Header=BB120_7 Depth=2
	v_mov_b32_e32 v6, v0
	v_mov_b32_e32 v7, v0
	;; [unrolled: 1-line block ×4, first 2 shown]
	ds_write_b128 v69, v[6:9]
.LBB120_43:                             ;   in Loop: Header=BB120_7 Depth=2
	s_or_b64 exec, exec, s[12:13]
	s_or_b64 s[12:13], vcc, s[2:3]
	s_xor_b64 s[12:13], s[12:13], -1
	s_and_saveexec_b64 s[14:15], s[12:13]
	s_xor_b64 s[12:13], exec, s[14:15]
	s_cbranch_execz .LBB120_45
; %bb.44:                               ;   in Loop: Header=BB120_7 Depth=2
	global_load_dwordx4 v[4:7], v[4:5], off
	s_waitcnt vmcnt(0)
	ds_write2_b64 v70, v[4:5], v[6:7] offset1:1
.LBB120_45:                             ;   in Loop: Header=BB120_7 Depth=2
	s_andn2_saveexec_b64 s[12:13], s[12:13]
	s_cbranch_execz .LBB120_47
; %bb.46:                               ;   in Loop: Header=BB120_7 Depth=2
	v_mov_b32_e32 v4, v0
	v_mov_b32_e32 v5, v0
	;; [unrolled: 1-line block ×4, first 2 shown]
	ds_write_b128 v70, v[4:7]
.LBB120_47:                             ;   in Loop: Header=BB120_7 Depth=2
	s_or_b64 exec, exec, s[12:13]
	v_cmp_le_i64_e32 vcc, s[34:35], v[2:3]
	s_or_b64 s[12:13], vcc, s[0:1]
	s_xor_b64 s[12:13], s[12:13], -1
	s_and_saveexec_b64 s[14:15], s[12:13]
	s_xor_b64 s[14:15], exec, s[14:15]
	s_cbranch_execz .LBB120_49
; %bb.48:                               ;   in Loop: Header=BB120_7 Depth=2
	v_add_co_u32_e64 v2, s[12:13], v44, v36
	v_addc_co_u32_e64 v3, s[12:13], v45, v37, s[12:13]
	global_load_dwordx4 v[2:5], v[2:3], off offset:-256
	s_waitcnt vmcnt(0)
	ds_write2_b64 v71, v[2:3], v[4:5] offset1:1
.LBB120_49:                             ;   in Loop: Header=BB120_7 Depth=2
	s_andn2_saveexec_b64 s[12:13], s[14:15]
	s_cbranch_execz .LBB120_51
; %bb.50:                               ;   in Loop: Header=BB120_7 Depth=2
	v_mov_b32_e32 v2, v0
	v_mov_b32_e32 v3, v0
	;; [unrolled: 1-line block ×4, first 2 shown]
	ds_write_b128 v71, v[2:5]
.LBB120_51:                             ;   in Loop: Header=BB120_7 Depth=2
	s_or_b64 exec, exec, s[12:13]
	s_or_b64 s[12:13], vcc, s[2:3]
	s_xor_b64 s[12:13], s[12:13], -1
	s_and_saveexec_b64 s[14:15], s[12:13]
	s_xor_b64 s[12:13], exec, s[14:15]
	s_cbranch_execz .LBB120_53
; %bb.52:                               ;   in Loop: Header=BB120_7 Depth=2
	v_add_co_u32_e32 v2, vcc, v44, v36
	v_addc_co_u32_e32 v3, vcc, v45, v37, vcc
	global_load_dwordx4 v[2:5], v[2:3], off
	s_waitcnt vmcnt(0)
	ds_write2_b64 v72, v[2:3], v[4:5] offset1:1
.LBB120_53:                             ;   in Loop: Header=BB120_7 Depth=2
	s_andn2_saveexec_b64 s[12:13], s[12:13]
	s_cbranch_execz .LBB120_6
; %bb.54:                               ;   in Loop: Header=BB120_7 Depth=2
	v_mov_b32_e32 v2, v0
	v_mov_b32_e32 v3, v0
	;; [unrolled: 1-line block ×4, first 2 shown]
	ds_write_b128 v72, v[2:5]
	s_branch .LBB120_6
.LBB120_55:                             ;   in Loop: Header=BB120_4 Depth=1
	v_mul_lo_u32 v4, v25, s52
	v_mul_lo_u32 v5, v24, s53
	v_mad_u64_u32 v[2:3], s[8:9], v24, s52, 0
	v_add3_u32 v3, v3, v5, v4
	v_lshlrev_b64 v[2:3], 4, v[2:3]
	v_mov_b32_e32 v4, s58
	v_add_co_u32_e64 v2, s[8:9], s57, v2
	v_cmp_gt_i32_e32 vcc, s50, v24
	v_addc_co_u32_e64 v3, s[8:9], v4, v3, s[8:9]
	s_and_b64 s[8:9], s[4:5], vcc
	s_and_saveexec_b64 s[10:11], s[8:9]
	s_cbranch_execz .LBB120_57
; %bb.56:                               ;   in Loop: Header=BB120_4 Depth=1
	v_add_co_u32_e64 v8, s[8:9], v2, v14
	v_addc_co_u32_e64 v9, s[8:9], v3, v15, s[8:9]
	global_load_dwordx4 v[4:7], v[8:9], off
	v_mul_f64 v[10:11], s[46:47], v[60:61]
	v_mul_f64 v[12:13], s[44:45], v[60:61]
	v_fma_f64 v[10:11], s[44:45], v[58:59], -v[10:11]
	v_fmac_f64_e32 v[12:13], s[46:47], v[58:59]
	s_waitcnt vmcnt(0)
	v_add_f64 v[4:5], v[4:5], v[10:11]
	v_add_f64 v[6:7], v[6:7], v[12:13]
	global_store_dwordx4 v[8:9], v[4:7], off
.LBB120_57:                             ;   in Loop: Header=BB120_4 Depth=1
	s_or_b64 exec, exec, s[10:11]
	s_and_b64 s[10:11], s[16:17], vcc
	s_and_saveexec_b64 s[8:9], s[10:11]
	s_cbranch_execz .LBB120_59
; %bb.58:                               ;   in Loop: Header=BB120_4 Depth=1
	v_lshlrev_b64 v[4:5], 4, v[18:19]
	v_add_co_u32_e32 v6, vcc, v2, v4
	v_addc_co_u32_e32 v7, vcc, v3, v5, vcc
	global_load_dwordx4 v[2:5], v[6:7], off
	v_mul_f64 v[8:9], s[46:47], v[56:57]
	v_mul_f64 v[10:11], s[44:45], v[56:57]
	v_fma_f64 v[8:9], s[44:45], v[52:53], -v[8:9]
	v_fmac_f64_e32 v[10:11], s[46:47], v[52:53]
	s_waitcnt vmcnt(0)
	v_add_f64 v[2:3], v[2:3], v[8:9]
	v_add_f64 v[4:5], v[4:5], v[10:11]
	global_store_dwordx4 v[6:7], v[2:5], off
.LBB120_59:                             ;   in Loop: Header=BB120_4 Depth=1
	s_or_b64 exec, exec, s[8:9]
	v_add_u32_e32 v2, 16, v24
	v_ashrrev_i32_e32 v3, 31, v2
	v_cmp_gt_i32_e32 vcc, s50, v2
	v_mul_lo_u32 v4, v3, s52
	v_mul_lo_u32 v5, v2, s53
	v_mad_u64_u32 v[2:3], s[8:9], v2, s52, 0
	v_add3_u32 v3, v3, v5, v4
	v_lshlrev_b64 v[2:3], 4, v[2:3]
	v_mov_b32_e32 v4, s58
	v_add_co_u32_e64 v2, s[8:9], s57, v2
	v_addc_co_u32_e64 v3, s[8:9], v4, v3, s[8:9]
	s_and_b64 s[8:9], s[4:5], vcc
	s_and_saveexec_b64 s[10:11], s[8:9]
	s_cbranch_execz .LBB120_61
; %bb.60:                               ;   in Loop: Header=BB120_4 Depth=1
	v_add_co_u32_e64 v8, s[8:9], v2, v14
	v_addc_co_u32_e64 v9, s[8:9], v3, v15, s[8:9]
	global_load_dwordx4 v[4:7], v[8:9], off
	v_mul_f64 v[10:11], s[46:47], v[54:55]
	v_mul_f64 v[12:13], s[44:45], v[54:55]
	v_fma_f64 v[10:11], s[44:45], v[50:51], -v[10:11]
	v_fmac_f64_e32 v[12:13], s[46:47], v[50:51]
	s_waitcnt vmcnt(0)
	v_add_f64 v[4:5], v[4:5], v[10:11]
	v_add_f64 v[6:7], v[6:7], v[12:13]
	global_store_dwordx4 v[8:9], v[4:7], off
.LBB120_61:                             ;   in Loop: Header=BB120_4 Depth=1
	s_or_b64 exec, exec, s[10:11]
	s_and_b64 s[10:11], s[16:17], vcc
	s_and_saveexec_b64 s[8:9], s[10:11]
	s_cbranch_execz .LBB120_3
; %bb.62:                               ;   in Loop: Header=BB120_4 Depth=1
	v_lshlrev_b64 v[4:5], 4, v[18:19]
	v_add_co_u32_e32 v6, vcc, v2, v4
	v_addc_co_u32_e32 v7, vcc, v3, v5, vcc
	global_load_dwordx4 v[2:5], v[6:7], off
	v_mul_f64 v[8:9], s[46:47], v[46:47]
	v_mul_f64 v[10:11], s[44:45], v[46:47]
	v_fma_f64 v[8:9], s[44:45], v[48:49], -v[8:9]
	v_fmac_f64_e32 v[10:11], s[46:47], v[48:49]
	s_waitcnt vmcnt(0)
	v_add_f64 v[2:3], v[2:3], v[8:9]
	v_add_f64 v[4:5], v[4:5], v[10:11]
	global_store_dwordx4 v[6:7], v[2:5], off
	s_branch .LBB120_3
.LBB120_63:
	s_endpgm
	.section	.rodata,"a",@progbits
	.p2align	6, 0x0
	.amdhsa_kernel _ZL30rocblas_trmm_outofplace_kernelI19rocblas_complex_numIdELi32ELi2ELb0ELb0ELb0ELb0EPKS1_S2_S1_Ev17rocblas_diagonal_iiT6_lPT7_lllS7_lllPT8_llli
		.amdhsa_group_segment_fixed_size 32768
		.amdhsa_private_segment_fixed_size 0
		.amdhsa_kernarg_size 392
		.amdhsa_user_sgpr_count 6
		.amdhsa_user_sgpr_private_segment_buffer 1
		.amdhsa_user_sgpr_dispatch_ptr 0
		.amdhsa_user_sgpr_queue_ptr 0
		.amdhsa_user_sgpr_kernarg_segment_ptr 1
		.amdhsa_user_sgpr_dispatch_id 0
		.amdhsa_user_sgpr_flat_scratch_init 0
		.amdhsa_user_sgpr_kernarg_preload_length 0
		.amdhsa_user_sgpr_kernarg_preload_offset 0
		.amdhsa_user_sgpr_private_segment_size 0
		.amdhsa_uses_dynamic_stack 0
		.amdhsa_system_sgpr_private_segment_wavefront_offset 0
		.amdhsa_system_sgpr_workgroup_id_x 1
		.amdhsa_system_sgpr_workgroup_id_y 1
		.amdhsa_system_sgpr_workgroup_id_z 1
		.amdhsa_system_sgpr_workgroup_info 0
		.amdhsa_system_vgpr_workitem_id 1
		.amdhsa_next_free_vgpr 90
		.amdhsa_next_free_sgpr 64
		.amdhsa_accum_offset 92
		.amdhsa_reserve_vcc 1
		.amdhsa_reserve_flat_scratch 0
		.amdhsa_float_round_mode_32 0
		.amdhsa_float_round_mode_16_64 0
		.amdhsa_float_denorm_mode_32 3
		.amdhsa_float_denorm_mode_16_64 3
		.amdhsa_dx10_clamp 1
		.amdhsa_ieee_mode 1
		.amdhsa_fp16_overflow 0
		.amdhsa_tg_split 0
		.amdhsa_exception_fp_ieee_invalid_op 0
		.amdhsa_exception_fp_denorm_src 0
		.amdhsa_exception_fp_ieee_div_zero 0
		.amdhsa_exception_fp_ieee_overflow 0
		.amdhsa_exception_fp_ieee_underflow 0
		.amdhsa_exception_fp_ieee_inexact 0
		.amdhsa_exception_int_div_zero 0
	.end_amdhsa_kernel
	.section	.text._ZL30rocblas_trmm_outofplace_kernelI19rocblas_complex_numIdELi32ELi2ELb0ELb0ELb0ELb0EPKS1_S2_S1_Ev17rocblas_diagonal_iiT6_lPT7_lllS7_lllPT8_llli,"axG",@progbits,_ZL30rocblas_trmm_outofplace_kernelI19rocblas_complex_numIdELi32ELi2ELb0ELb0ELb0ELb0EPKS1_S2_S1_Ev17rocblas_diagonal_iiT6_lPT7_lllS7_lllPT8_llli,comdat
.Lfunc_end120:
	.size	_ZL30rocblas_trmm_outofplace_kernelI19rocblas_complex_numIdELi32ELi2ELb0ELb0ELb0ELb0EPKS1_S2_S1_Ev17rocblas_diagonal_iiT6_lPT7_lllS7_lllPT8_llli, .Lfunc_end120-_ZL30rocblas_trmm_outofplace_kernelI19rocblas_complex_numIdELi32ELi2ELb0ELb0ELb0ELb0EPKS1_S2_S1_Ev17rocblas_diagonal_iiT6_lPT7_lllS7_lllPT8_llli
                                        ; -- End function
	.section	.AMDGPU.csdata,"",@progbits
; Kernel info:
; codeLenInByte = 9588
; NumSgprs: 68
; NumVgprs: 90
; NumAgprs: 0
; TotalNumVgprs: 90
; ScratchSize: 0
; MemoryBound: 0
; FloatMode: 240
; IeeeMode: 1
; LDSByteSize: 32768 bytes/workgroup (compile time only)
; SGPRBlocks: 8
; VGPRBlocks: 11
; NumSGPRsForWavesPerEU: 68
; NumVGPRsForWavesPerEU: 90
; AccumOffset: 92
; Occupancy: 5
; WaveLimiterHint : 0
; COMPUTE_PGM_RSRC2:SCRATCH_EN: 0
; COMPUTE_PGM_RSRC2:USER_SGPR: 6
; COMPUTE_PGM_RSRC2:TRAP_HANDLER: 0
; COMPUTE_PGM_RSRC2:TGID_X_EN: 1
; COMPUTE_PGM_RSRC2:TGID_Y_EN: 1
; COMPUTE_PGM_RSRC2:TGID_Z_EN: 1
; COMPUTE_PGM_RSRC2:TIDIG_COMP_CNT: 1
; COMPUTE_PGM_RSRC3_GFX90A:ACCUM_OFFSET: 22
; COMPUTE_PGM_RSRC3_GFX90A:TG_SPLIT: 0
	.section	.text._ZL30rocblas_trmm_outofplace_kernelI19rocblas_complex_numIdELi32ELi2ELb0ELb0ELb0ELb0ES1_KS1_S1_Ev17rocblas_diagonal_iiT6_lPT7_lllS6_lllPT8_llli,"axG",@progbits,_ZL30rocblas_trmm_outofplace_kernelI19rocblas_complex_numIdELi32ELi2ELb0ELb0ELb0ELb0ES1_KS1_S1_Ev17rocblas_diagonal_iiT6_lPT7_lllS6_lllPT8_llli,comdat
	.globl	_ZL30rocblas_trmm_outofplace_kernelI19rocblas_complex_numIdELi32ELi2ELb0ELb0ELb0ELb0ES1_KS1_S1_Ev17rocblas_diagonal_iiT6_lPT7_lllS6_lllPT8_llli ; -- Begin function _ZL30rocblas_trmm_outofplace_kernelI19rocblas_complex_numIdELi32ELi2ELb0ELb0ELb0ELb0ES1_KS1_S1_Ev17rocblas_diagonal_iiT6_lPT7_lllS6_lllPT8_llli
	.p2align	8
	.type	_ZL30rocblas_trmm_outofplace_kernelI19rocblas_complex_numIdELi32ELi2ELb0ELb0ELb0ELb0ES1_KS1_S1_Ev17rocblas_diagonal_iiT6_lPT7_lllS6_lllPT8_llli,@function
_ZL30rocblas_trmm_outofplace_kernelI19rocblas_complex_numIdELi32ELi2ELb0ELb0ELb0ELb0ES1_KS1_S1_Ev17rocblas_diagonal_iiT6_lPT7_lllS6_lllPT8_llli: ; @_ZL30rocblas_trmm_outofplace_kernelI19rocblas_complex_numIdELi32ELi2ELb0ELb0ELb0ELb0ES1_KS1_S1_Ev17rocblas_diagonal_iiT6_lPT7_lllS6_lllPT8_llli
; %bb.0:
	s_load_dwordx4 s[24:27], s[4:5], 0x10
	s_waitcnt lgkmcnt(0)
	v_cmp_eq_f64_e64 s[0:1], s[24:25], 0
	v_cmp_eq_f64_e64 s[2:3], s[26:27], 0
	s_and_b64 s[0:1], s[0:1], s[2:3]
	s_and_b64 vcc, exec, s[0:1]
	s_cbranch_vccnz .LBB121_63
; %bb.1:
	s_load_dwordx4 s[28:31], s[4:5], 0x0
	s_waitcnt lgkmcnt(0)
	s_add_i32 s0, s30, -1
	s_ashr_i32 s1, s0, 31
	s_lshr_b32 s1, s1, 27
	s_add_i32 s0, s0, s1
	s_ashr_i32 s33, s0, 5
	s_cmp_gt_i32 s7, s33
	s_cbranch_scc1 .LBB121_63
; %bb.2:
	s_load_dwordx16 s[36:51], s[4:5], 0x28
	s_load_dwordx8 s[16:23], s[4:5], 0x68
	v_and_b32_e32 v4, 0x3ff, v0
	v_bfe_u32 v62, v0, 10, 10
	v_lshl_add_u32 v0, s6, 5, v4
	s_waitcnt lgkmcnt(0)
	s_mul_i32 s1, s8, s51
	s_mul_hi_u32 s2, s8, s50
	s_mul_i32 s0, s8, s50
	s_add_i32 s1, s2, s1
	s_lshl_b64 s[0:1], s[0:1], 4
	s_add_u32 s2, s44, s0
	s_addc_u32 s3, s45, s1
	s_lshl_b64 s[0:1], s[46:47], 4
	s_add_u32 s2, s2, s0
	s_addc_u32 s3, s3, s1
	s_mul_i32 s0, s8, s23
	s_mul_hi_u32 s1, s8, s22
	s_add_i32 s1, s1, s0
	s_mul_i32 s0, s8, s22
	s_lshl_b64 s[0:1], s[0:1], 4
	s_add_u32 s9, s16, s0
	s_addc_u32 s10, s17, s1
	s_lshl_b64 s[0:1], s[18:19], 4
	s_add_u32 s56, s9, s0
	s_addc_u32 s57, s10, s1
	s_cmpk_eq_i32 s28, 0x84
	s_cselect_b64 s[22:23], -1, 0
	s_ashr_i32 s31, s30, 31
	s_ashr_i32 s0, s29, 31
	s_lshl_b64 s[34:35], s[48:49], 9
	s_load_dword s6, s[4:5], 0x94
	v_ashrrev_i32_e32 v1, 31, v0
	s_add_u32 s44, s30, -16
	v_lshlrev_b64 v[14:15], 4, v[0:1]
	s_addc_u32 s45, s31, -1
	s_lshl_b32 s9, s7, 5
	v_mov_b32_e32 v2, s3
	v_add_co_u32_e32 v16, vcc, s2, v14
	v_add_u32_e32 v20, s9, v4
	v_add_u32_e32 v22, s9, v62
	s_mul_i32 s9, s43, s8
	s_mul_hi_u32 s10, s42, s8
	v_addc_co_u32_e32 v17, vcc, v2, v15, vcc
	v_add_u32_e32 v18, 16, v0
	s_add_i32 s9, s10, s9
	s_mul_i32 s8, s42, s8
	v_sub_co_u32_e32 v2, vcc, s29, v0
	v_cmp_gt_i32_e64 s[4:5], s29, v0
	v_cmp_gt_i32_e64 s[16:17], s29, v18
	s_waitcnt lgkmcnt(0)
	s_lshl_b32 s59, s6, 5
	s_lshl_b64 s[28:29], s[48:49], 4
	s_lshl_b64 s[8:9], s[8:9], 4
	;; [unrolled: 1-line block ×3, first 2 shown]
	s_add_u32 s8, s8, s10
	v_mov_b32_e32 v3, s0
	s_addc_u32 s9, s9, s11
	v_subb_co_u32_e32 v3, vcc, v3, v1, vcc
	v_lshlrev_b32_e32 v1, 4, v4
	s_add_u32 s36, s36, s8
	v_lshlrev_b32_e32 v63, 9, v62
	v_or_b32_e32 v68, 0x4000, v1
	s_addc_u32 s37, s37, s9
	v_add_u32_e32 v64, v63, v1
	v_add_u32_e32 v69, v68, v63
	s_add_u32 s38, s36, 0x100
	s_movk_i32 s58, 0x100
	v_add_u32_e32 v65, 0x100, v64
	v_add_u32_e32 v66, 0x2000, v64
	v_add_u32_e32 v67, 0x2100, v64
	v_cmp_gt_i64_e64 s[0:1], 1, v[2:3]
	v_cmp_gt_i64_e64 s[2:3], 17, v[2:3]
	v_add_u32_e32 v70, 0x100, v69
	v_add_u32_e32 v71, 0x2000, v69
	v_add_u32_e32 v72, 0x2100, v69
	v_ashrrev_i32_e32 v19, 31, v18
	v_add_u32_e32 v73, 0x4100, v1
	s_addc_u32 s39, s37, 0
	s_lshl_b64 s[42:43], s[40:41], 4
	v_mov_b32_e32 v0, 0
	v_mov_b32_e32 v1, 0x3ff00000
	s_branch .LBB121_4
.LBB121_3:                              ;   in Loop: Header=BB121_4 Depth=1
	s_or_b64 exec, exec, s[8:9]
	s_add_i32 s7, s6, s7
	v_add_u32_e32 v20, s59, v20
	s_cmp_le_i32 s7, s33
	v_add_u32_e32 v22, s59, v22
	s_cbranch_scc0 .LBB121_63
.LBB121_4:                              ; =>This Loop Header: Depth=1
                                        ;     Child Loop BB121_7 Depth 2
	s_lshl_b32 s8, s7, 5
	v_add_u32_e32 v24, s8, v62
	s_sub_i32 s60, s30, s8
	v_pk_mov_b32 v[58:59], 0, 0
	v_ashrrev_i32_e32 v21, 31, v20
	v_ashrrev_i32_e32 v23, 31, v22
	;; [unrolled: 1-line block ×3, first 2 shown]
	s_cmp_lt_i32 s60, 1
	v_pk_mov_b32 v[60:61], v[58:59], v[58:59] op_sel:[0,1]
	v_pk_mov_b32 v[52:53], v[58:59], v[58:59] op_sel:[0,1]
	;; [unrolled: 1-line block ×7, first 2 shown]
	s_cbranch_scc1 .LBB121_55
; %bb.5:                                ;   in Loop: Header=BB121_4 Depth=1
	v_mov_b32_e32 v2, 0x100
	v_mov_b32_e32 v3, 0
	v_mad_u64_u32 v[28:29], s[8:9], s28, v22, v[2:3]
	v_mul_lo_u32 v4, s28, v23
	v_mul_lo_u32 v5, s29, v22
	v_add3_u32 v29, v5, v29, v4
	v_pk_mov_b32 v[4:5], s[38:39], s[38:39] op_sel:[0,1]
	v_sub_co_u32_e32 v26, vcc, v22, v20
	v_mad_u64_u32 v[32:33], s[8:9], s42, v22, v[4:5]
	v_mul_lo_u32 v4, s42, v23
	v_mul_lo_u32 v5, s43, v22
	v_subb_co_u32_e32 v27, vcc, v23, v21, vcc
	v_add3_u32 v33, v5, v33, v4
	v_lshlrev_b64 v[4:5], 4, v[22:23]
	v_add_co_u32_e32 v6, vcc, s58, v4
	v_addc_co_u32_e32 v7, vcc, 0, v5, vcc
	v_add_co_u32_e32 v38, vcc, 16, v24
	v_addc_co_u32_e32 v39, vcc, 0, v25, vcc
	v_add_co_u32_e32 v40, vcc, 16, v26
	v_pk_mov_b32 v[4:5], s[36:37], s[36:37] op_sel:[0,1]
	v_addc_co_u32_e32 v41, vcc, 0, v27, vcc
	v_mul_lo_u32 v8, s40, v7
	v_mul_lo_u32 v9, s41, v6
	v_mad_u64_u32 v[34:35], s[8:9], s40, v6, v[4:5]
	v_mul_lo_u32 v4, s48, v7
	v_mul_lo_u32 v5, s49, v6
	v_mad_u64_u32 v[36:37], s[8:9], s48, v6, v[2:3]
	v_add_co_u32_e32 v42, vcc, -16, v26
	v_pk_mov_b32 v[46:47], 0, 0
	v_lshlrev_b64 v[30:31], 4, v[20:21]
	v_add3_u32 v35, v9, v35, v8
	v_add3_u32 v37, v5, v37, v4
	v_cmp_le_i32_e64 s[8:9], s30, v24
	v_cmp_le_i64_e64 s[10:11], s[30:31], v[38:39]
	v_addc_co_u32_e32 v43, vcc, -1, v27, vcc
	s_mov_b64 s[46:47], 0
	v_pk_mov_b32 v[44:45], v[16:17], v[16:17] op_sel:[0,1]
	v_pk_mov_b32 v[48:49], v[46:47], v[46:47] op_sel:[0,1]
	;; [unrolled: 1-line block ×8, first 2 shown]
	s_branch .LBB121_7
.LBB121_6:                              ;   in Loop: Header=BB121_7 Depth=2
	s_or_b64 exec, exec, s[12:13]
	s_waitcnt lgkmcnt(0)
	s_barrier
	ds_read_b128 v[74:77], v63
	ds_read_b128 v[10:13], v63 offset:16
	ds_read_b128 v[6:9], v63 offset:32
	;; [unrolled: 1-line block ×3, first 2 shown]
	ds_read_b128 v[78:81], v68
	v_add_co_u32_e32 v44, vcc, s34, v44
	s_add_u32 s46, s46, 32
	s_addc_u32 s47, s47, 0
	s_waitcnt lgkmcnt(0)
	v_mul_f64 v[82:83], v[76:77], v[80:81]
	v_mul_f64 v[84:85], v[74:75], v[80:81]
	v_fma_f64 v[82:83], v[74:75], v[78:79], -v[82:83]
	v_fmac_f64_e32 v[84:85], v[76:77], v[78:79]
	v_add_f64 v[82:83], v[58:59], v[82:83]
	v_add_f64 v[84:85], v[60:61], v[84:85]
	ds_read_b128 v[58:61], v73
	s_cmp_ge_i32 s46, s60
	s_waitcnt lgkmcnt(0)
	v_mul_f64 v[86:87], v[76:77], v[60:61]
	v_fma_f64 v[86:87], v[74:75], v[58:59], -v[86:87]
	v_mul_f64 v[74:75], v[74:75], v[60:61]
	v_fmac_f64_e32 v[74:75], v[76:77], v[58:59]
	v_add_f64 v[88:89], v[56:57], v[74:75]
	ds_read_b128 v[74:77], v63 offset:8192
	v_add_f64 v[86:87], v[52:53], v[86:87]
	s_waitcnt lgkmcnt(0)
	v_mul_f64 v[52:53], v[76:77], v[80:81]
	v_mul_f64 v[56:57], v[74:75], v[80:81]
	v_fma_f64 v[52:53], v[74:75], v[78:79], -v[52:53]
	v_fmac_f64_e32 v[56:57], v[76:77], v[78:79]
	v_add_f64 v[50:51], v[50:51], v[52:53]
	v_add_f64 v[52:53], v[54:55], v[56:57]
	v_mul_f64 v[54:55], v[76:77], v[60:61]
	v_mul_f64 v[56:57], v[74:75], v[60:61]
	v_fma_f64 v[54:55], v[74:75], v[58:59], -v[54:55]
	v_fmac_f64_e32 v[56:57], v[76:77], v[58:59]
	v_add_f64 v[48:49], v[48:49], v[54:55]
	v_add_f64 v[46:47], v[46:47], v[56:57]
	ds_read_b128 v[54:57], v68 offset:512
	s_waitcnt lgkmcnt(0)
	v_mul_f64 v[58:59], v[12:13], v[56:57]
	v_mul_f64 v[60:61], v[10:11], v[56:57]
	v_fma_f64 v[58:59], v[10:11], v[54:55], -v[58:59]
	v_fmac_f64_e32 v[60:61], v[12:13], v[54:55]
	v_add_f64 v[74:75], v[82:83], v[58:59]
	v_add_f64 v[76:77], v[84:85], v[60:61]
	ds_read_b128 v[58:61], v73 offset:512
	s_waitcnt lgkmcnt(0)
	v_mul_f64 v[78:79], v[12:13], v[60:61]
	v_fma_f64 v[78:79], v[10:11], v[58:59], -v[78:79]
	v_mul_f64 v[10:11], v[10:11], v[60:61]
	v_fmac_f64_e32 v[10:11], v[12:13], v[58:59]
	v_add_f64 v[80:81], v[88:89], v[10:11]
	ds_read_b128 v[10:13], v63 offset:8208
	v_add_f64 v[78:79], v[86:87], v[78:79]
	s_waitcnt lgkmcnt(0)
	v_mul_f64 v[82:83], v[12:13], v[56:57]
	v_mul_f64 v[56:57], v[10:11], v[56:57]
	v_fma_f64 v[82:83], v[10:11], v[54:55], -v[82:83]
	v_fmac_f64_e32 v[56:57], v[12:13], v[54:55]
	v_mul_f64 v[54:55], v[12:13], v[60:61]
	v_fma_f64 v[54:55], v[10:11], v[58:59], -v[54:55]
	v_mul_f64 v[10:11], v[10:11], v[60:61]
	v_fmac_f64_e32 v[10:11], v[12:13], v[58:59]
	v_add_f64 v[52:53], v[52:53], v[56:57]
	v_add_f64 v[56:57], v[46:47], v[10:11]
	ds_read_b128 v[10:13], v68 offset:1024
	v_add_f64 v[54:55], v[48:49], v[54:55]
	v_add_f64 v[50:51], v[50:51], v[82:83]
	s_waitcnt lgkmcnt(0)
	v_mul_f64 v[46:47], v[8:9], v[12:13]
	v_mul_f64 v[48:49], v[6:7], v[12:13]
	v_fma_f64 v[46:47], v[6:7], v[10:11], -v[46:47]
	v_fmac_f64_e32 v[48:49], v[8:9], v[10:11]
	v_add_f64 v[58:59], v[74:75], v[46:47]
	v_add_f64 v[60:61], v[76:77], v[48:49]
	ds_read_b128 v[46:49], v73 offset:1024
	s_waitcnt lgkmcnt(0)
	v_mul_f64 v[74:75], v[8:9], v[48:49]
	v_fma_f64 v[74:75], v[6:7], v[46:47], -v[74:75]
	v_mul_f64 v[6:7], v[6:7], v[48:49]
	v_fmac_f64_e32 v[6:7], v[8:9], v[46:47]
	v_add_f64 v[76:77], v[80:81], v[6:7]
	ds_read_b128 v[6:9], v63 offset:8224
	v_add_f64 v[74:75], v[78:79], v[74:75]
	s_waitcnt lgkmcnt(0)
	v_mul_f64 v[78:79], v[8:9], v[12:13]
	v_fma_f64 v[78:79], v[6:7], v[10:11], -v[78:79]
	v_mul_f64 v[12:13], v[6:7], v[12:13]
	v_fmac_f64_e32 v[12:13], v[8:9], v[10:11]
	v_add_f64 v[10:11], v[50:51], v[78:79]
	v_mul_f64 v[50:51], v[8:9], v[48:49]
	v_mul_f64 v[48:49], v[6:7], v[48:49]
	v_fmac_f64_e32 v[48:49], v[8:9], v[46:47]
	v_fma_f64 v[50:51], v[6:7], v[46:47], -v[50:51]
	v_add_f64 v[8:9], v[56:57], v[48:49]
	ds_read_b128 v[46:49], v68 offset:1536
	v_add_f64 v[12:13], v[52:53], v[12:13]
	v_add_f64 v[6:7], v[54:55], v[50:51]
	s_waitcnt lgkmcnt(0)
	v_mul_f64 v[50:51], v[4:5], v[48:49]
	v_mul_f64 v[52:53], v[2:3], v[48:49]
	v_fma_f64 v[50:51], v[2:3], v[46:47], -v[50:51]
	v_fmac_f64_e32 v[52:53], v[4:5], v[46:47]
	v_add_f64 v[54:55], v[58:59], v[50:51]
	v_add_f64 v[56:57], v[60:61], v[52:53]
	ds_read_b128 v[50:53], v73 offset:1536
	s_waitcnt lgkmcnt(0)
	v_mul_f64 v[58:59], v[4:5], v[52:53]
	v_fma_f64 v[58:59], v[2:3], v[50:51], -v[58:59]
	v_mul_f64 v[2:3], v[2:3], v[52:53]
	v_fmac_f64_e32 v[2:3], v[4:5], v[50:51]
	v_add_f64 v[60:61], v[76:77], v[2:3]
	ds_read_b128 v[2:5], v63 offset:8240
	v_add_f64 v[58:59], v[74:75], v[58:59]
	s_waitcnt lgkmcnt(0)
	v_mul_f64 v[74:75], v[4:5], v[48:49]
	v_fma_f64 v[74:75], v[2:3], v[46:47], -v[74:75]
	v_mul_f64 v[48:49], v[2:3], v[48:49]
	v_fmac_f64_e32 v[48:49], v[4:5], v[46:47]
	v_add_f64 v[46:47], v[10:11], v[74:75]
	v_mul_f64 v[10:11], v[4:5], v[52:53]
	v_fma_f64 v[10:11], v[2:3], v[50:51], -v[10:11]
	v_mul_f64 v[2:3], v[2:3], v[52:53]
	v_fmac_f64_e32 v[2:3], v[4:5], v[50:51]
	v_add_f64 v[50:51], v[6:7], v[10:11]
	v_add_f64 v[52:53], v[8:9], v[2:3]
	ds_read_b128 v[2:5], v63 offset:64
	ds_read_b128 v[6:9], v68 offset:2048
	v_add_f64 v[48:49], v[12:13], v[48:49]
	s_waitcnt lgkmcnt(0)
	v_mul_f64 v[10:11], v[4:5], v[8:9]
	v_mul_f64 v[12:13], v[2:3], v[8:9]
	v_fma_f64 v[10:11], v[2:3], v[6:7], -v[10:11]
	v_fmac_f64_e32 v[12:13], v[4:5], v[6:7]
	v_add_f64 v[54:55], v[54:55], v[10:11]
	v_add_f64 v[56:57], v[56:57], v[12:13]
	ds_read_b128 v[10:13], v73 offset:2048
	s_waitcnt lgkmcnt(0)
	v_mul_f64 v[74:75], v[4:5], v[12:13]
	v_fma_f64 v[74:75], v[2:3], v[10:11], -v[74:75]
	v_mul_f64 v[2:3], v[2:3], v[12:13]
	v_fmac_f64_e32 v[2:3], v[4:5], v[10:11]
	v_add_f64 v[60:61], v[60:61], v[2:3]
	ds_read_b128 v[2:5], v63 offset:8256
	v_add_f64 v[58:59], v[58:59], v[74:75]
	s_waitcnt lgkmcnt(0)
	v_mul_f64 v[74:75], v[4:5], v[8:9]
	v_fma_f64 v[74:75], v[2:3], v[6:7], -v[74:75]
	v_mul_f64 v[8:9], v[2:3], v[8:9]
	v_fmac_f64_e32 v[8:9], v[4:5], v[6:7]
	v_add_f64 v[6:7], v[46:47], v[74:75]
	v_mul_f64 v[46:47], v[4:5], v[12:13]
	v_mul_f64 v[12:13], v[2:3], v[12:13]
	v_fma_f64 v[46:47], v[2:3], v[10:11], -v[46:47]
	v_fmac_f64_e32 v[12:13], v[4:5], v[10:11]
	v_add_f64 v[8:9], v[48:49], v[8:9]
	v_add_f64 v[2:3], v[50:51], v[46:47]
	v_add_f64 v[4:5], v[52:53], v[12:13]
	ds_read_b128 v[10:13], v63 offset:80
	ds_read_b128 v[46:49], v68 offset:2560
	s_waitcnt lgkmcnt(0)
	v_mul_f64 v[50:51], v[12:13], v[48:49]
	v_mul_f64 v[52:53], v[10:11], v[48:49]
	v_fma_f64 v[50:51], v[10:11], v[46:47], -v[50:51]
	v_fmac_f64_e32 v[52:53], v[12:13], v[46:47]
	v_add_f64 v[54:55], v[54:55], v[50:51]
	v_add_f64 v[56:57], v[56:57], v[52:53]
	ds_read_b128 v[50:53], v73 offset:2560
	s_waitcnt lgkmcnt(0)
	v_mul_f64 v[74:75], v[12:13], v[52:53]
	v_fma_f64 v[74:75], v[10:11], v[50:51], -v[74:75]
	v_mul_f64 v[10:11], v[10:11], v[52:53]
	v_fmac_f64_e32 v[10:11], v[12:13], v[50:51]
	v_add_f64 v[60:61], v[60:61], v[10:11]
	ds_read_b128 v[10:13], v63 offset:8272
	v_add_f64 v[58:59], v[58:59], v[74:75]
	s_waitcnt lgkmcnt(0)
	v_mul_f64 v[74:75], v[12:13], v[48:49]
	v_mul_f64 v[48:49], v[10:11], v[48:49]
	v_fma_f64 v[74:75], v[10:11], v[46:47], -v[74:75]
	v_fmac_f64_e32 v[48:49], v[12:13], v[46:47]
	v_add_f64 v[46:47], v[6:7], v[74:75]
	v_add_f64 v[48:49], v[8:9], v[48:49]
	v_mul_f64 v[6:7], v[12:13], v[52:53]
	v_mul_f64 v[8:9], v[10:11], v[52:53]
	v_fma_f64 v[6:7], v[10:11], v[50:51], -v[6:7]
	v_fmac_f64_e32 v[8:9], v[12:13], v[50:51]
	v_add_f64 v[50:51], v[2:3], v[6:7]
	v_add_f64 v[52:53], v[4:5], v[8:9]
	ds_read_b128 v[2:5], v63 offset:96
	ds_read_b128 v[6:9], v68 offset:3072
	s_waitcnt lgkmcnt(0)
	v_mul_f64 v[10:11], v[4:5], v[8:9]
	v_mul_f64 v[12:13], v[2:3], v[8:9]
	v_fma_f64 v[10:11], v[2:3], v[6:7], -v[10:11]
	v_fmac_f64_e32 v[12:13], v[4:5], v[6:7]
	v_add_f64 v[54:55], v[54:55], v[10:11]
	v_add_f64 v[56:57], v[56:57], v[12:13]
	ds_read_b128 v[10:13], v73 offset:3072
	s_waitcnt lgkmcnt(0)
	v_mul_f64 v[74:75], v[4:5], v[12:13]
	v_fma_f64 v[74:75], v[2:3], v[10:11], -v[74:75]
	v_mul_f64 v[2:3], v[2:3], v[12:13]
	v_fmac_f64_e32 v[2:3], v[4:5], v[10:11]
	v_add_f64 v[60:61], v[60:61], v[2:3]
	ds_read_b128 v[2:5], v63 offset:8288
	v_add_f64 v[58:59], v[58:59], v[74:75]
	s_waitcnt lgkmcnt(0)
	v_mul_f64 v[74:75], v[4:5], v[8:9]
	v_fma_f64 v[74:75], v[2:3], v[6:7], -v[74:75]
	v_mul_f64 v[8:9], v[2:3], v[8:9]
	v_fmac_f64_e32 v[8:9], v[4:5], v[6:7]
	v_add_f64 v[6:7], v[46:47], v[74:75]
	v_mul_f64 v[46:47], v[4:5], v[12:13]
	v_mul_f64 v[12:13], v[2:3], v[12:13]
	v_fma_f64 v[46:47], v[2:3], v[10:11], -v[46:47]
	v_fmac_f64_e32 v[12:13], v[4:5], v[10:11]
	v_add_f64 v[8:9], v[48:49], v[8:9]
	v_add_f64 v[2:3], v[50:51], v[46:47]
	v_add_f64 v[4:5], v[52:53], v[12:13]
	ds_read_b128 v[10:13], v63 offset:112
	ds_read_b128 v[46:49], v68 offset:3584
	s_waitcnt lgkmcnt(0)
	v_mul_f64 v[50:51], v[12:13], v[48:49]
	v_mul_f64 v[52:53], v[10:11], v[48:49]
	v_fma_f64 v[50:51], v[10:11], v[46:47], -v[50:51]
	v_fmac_f64_e32 v[52:53], v[12:13], v[46:47]
	v_add_f64 v[54:55], v[54:55], v[50:51]
	v_add_f64 v[56:57], v[56:57], v[52:53]
	ds_read_b128 v[50:53], v73 offset:3584
	s_waitcnt lgkmcnt(0)
	v_mul_f64 v[74:75], v[12:13], v[52:53]
	v_fma_f64 v[74:75], v[10:11], v[50:51], -v[74:75]
	v_mul_f64 v[10:11], v[10:11], v[52:53]
	v_fmac_f64_e32 v[10:11], v[12:13], v[50:51]
	v_add_f64 v[60:61], v[60:61], v[10:11]
	ds_read_b128 v[10:13], v63 offset:8304
	v_add_f64 v[58:59], v[58:59], v[74:75]
	s_waitcnt lgkmcnt(0)
	v_mul_f64 v[74:75], v[12:13], v[48:49]
	v_mul_f64 v[48:49], v[10:11], v[48:49]
	v_fma_f64 v[74:75], v[10:11], v[46:47], -v[74:75]
	v_fmac_f64_e32 v[48:49], v[12:13], v[46:47]
	v_add_f64 v[46:47], v[6:7], v[74:75]
	v_add_f64 v[48:49], v[8:9], v[48:49]
	v_mul_f64 v[6:7], v[12:13], v[52:53]
	v_mul_f64 v[8:9], v[10:11], v[52:53]
	v_fma_f64 v[6:7], v[10:11], v[50:51], -v[6:7]
	v_fmac_f64_e32 v[8:9], v[12:13], v[50:51]
	v_add_f64 v[50:51], v[2:3], v[6:7]
	v_add_f64 v[52:53], v[4:5], v[8:9]
	ds_read_b128 v[2:5], v63 offset:128
	ds_read_b128 v[6:9], v68 offset:4096
	;; [unrolled: 62-line block ×13, first 2 shown]
	s_waitcnt lgkmcnt(0)
	v_mul_f64 v[10:11], v[4:5], v[8:9]
	v_mul_f64 v[12:13], v[2:3], v[8:9]
	v_fma_f64 v[10:11], v[2:3], v[6:7], -v[10:11]
	v_fmac_f64_e32 v[12:13], v[4:5], v[6:7]
	v_add_f64 v[54:55], v[54:55], v[10:11]
	v_add_f64 v[56:57], v[56:57], v[12:13]
	ds_read_b128 v[10:13], v73 offset:15360
	s_waitcnt lgkmcnt(0)
	v_mul_f64 v[74:75], v[4:5], v[12:13]
	v_fma_f64 v[74:75], v[2:3], v[10:11], -v[74:75]
	v_mul_f64 v[2:3], v[2:3], v[12:13]
	v_fmac_f64_e32 v[2:3], v[4:5], v[10:11]
	v_add_f64 v[80:81], v[60:61], v[2:3]
	ds_read_b128 v[2:5], v63 offset:8672
	v_add_f64 v[78:79], v[58:59], v[74:75]
	s_waitcnt lgkmcnt(0)
	v_mul_f64 v[58:59], v[4:5], v[8:9]
	v_fma_f64 v[58:59], v[2:3], v[6:7], -v[58:59]
	v_mul_f64 v[8:9], v[2:3], v[8:9]
	v_fmac_f64_e32 v[8:9], v[4:5], v[6:7]
	v_add_f64 v[6:7], v[46:47], v[58:59]
	v_mul_f64 v[46:47], v[4:5], v[12:13]
	v_mul_f64 v[12:13], v[2:3], v[12:13]
	v_fma_f64 v[46:47], v[2:3], v[10:11], -v[46:47]
	v_fmac_f64_e32 v[12:13], v[4:5], v[10:11]
	v_add_f64 v[8:9], v[48:49], v[8:9]
	v_add_f64 v[2:3], v[50:51], v[46:47]
	;; [unrolled: 1-line block ×3, first 2 shown]
	ds_read_b128 v[10:13], v63 offset:496
	ds_read_b128 v[46:49], v68 offset:15872
	;; [unrolled: 1-line block ×3, first 2 shown]
	s_waitcnt lgkmcnt(1)
	v_mul_f64 v[50:51], v[12:13], v[48:49]
	v_fma_f64 v[50:51], v[10:11], v[46:47], -v[50:51]
	v_add_f64 v[58:59], v[54:55], v[50:51]
	s_waitcnt lgkmcnt(0)
	v_mul_f64 v[50:51], v[12:13], v[76:77]
	v_mul_f64 v[52:53], v[10:11], v[48:49]
	v_fma_f64 v[50:51], v[10:11], v[74:75], -v[50:51]
	v_mul_f64 v[10:11], v[10:11], v[76:77]
	v_fmac_f64_e32 v[52:53], v[12:13], v[46:47]
	v_fmac_f64_e32 v[10:11], v[12:13], v[74:75]
	v_add_f64 v[60:61], v[56:57], v[52:53]
	v_add_f64 v[56:57], v[80:81], v[10:11]
	ds_read_b128 v[10:13], v63 offset:8688
	v_add_f64 v[52:53], v[78:79], v[50:51]
	s_waitcnt lgkmcnt(0)
	s_barrier
	v_mul_f64 v[50:51], v[12:13], v[48:49]
	v_fma_f64 v[50:51], v[10:11], v[46:47], -v[50:51]
	v_mul_f64 v[48:49], v[10:11], v[48:49]
	v_add_f64 v[50:51], v[6:7], v[50:51]
	v_mul_f64 v[6:7], v[12:13], v[76:77]
	v_fmac_f64_e32 v[48:49], v[12:13], v[46:47]
	v_fma_f64 v[6:7], v[10:11], v[74:75], -v[6:7]
	v_add_f64 v[54:55], v[8:9], v[48:49]
	v_add_f64 v[48:49], v[2:3], v[6:7]
	v_mov_b32_e32 v2, s35
	v_addc_co_u32_e32 v45, vcc, v45, v2, vcc
	v_add_co_u32_e32 v32, vcc, 0x200, v32
	v_mul_f64 v[8:9], v[10:11], v[76:77]
	v_addc_co_u32_e32 v33, vcc, 0, v33, vcc
	v_fmac_f64_e32 v[8:9], v[12:13], v[74:75]
	v_add_co_u32_e32 v34, vcc, 0x200, v34
	v_add_f64 v[46:47], v[4:5], v[8:9]
	v_addc_co_u32_e32 v35, vcc, 0, v35, vcc
	s_cbranch_scc1 .LBB121_55
.LBB121_7:                              ;   Parent Loop BB121_4 Depth=1
                                        ; =>  This Inner Loop Header: Depth=2
	v_mov_b32_e32 v2, s47
	v_add_co_u32_e32 v4, vcc, s46, v20
	v_addc_co_u32_e32 v5, vcc, v21, v2, vcc
	v_add_co_u32_e32 v6, vcc, v32, v30
	v_addc_co_u32_e32 v7, vcc, v33, v31, vcc
	v_cmp_eq_u64_e32 vcc, s[46:47], v[26:27]
	s_and_b64 s[52:53], s[22:23], vcc
	v_cmp_lt_i64_e32 vcc, v[4:5], v[24:25]
	v_cmp_le_i64_e64 s[12:13], s[30:31], v[4:5]
	s_or_b64 s[14:15], s[8:9], vcc
	s_or_b64 s[14:15], s[12:13], s[14:15]
	s_or_b64 s[14:15], s[14:15], s[52:53]
	s_xor_b64 s[14:15], s[14:15], -1
	s_and_saveexec_b64 s[18:19], s[14:15]
	s_xor_b64 s[14:15], exec, s[18:19]
	s_cbranch_execz .LBB121_9
; %bb.8:                                ;   in Loop: Header=BB121_7 Depth=2
	global_load_dwordx4 v[8:11], v[6:7], off offset:-256
	s_waitcnt vmcnt(0)
	ds_write2_b64 v64, v[8:9], v[10:11] offset1:1
.LBB121_9:                              ;   in Loop: Header=BB121_7 Depth=2
	s_or_saveexec_b64 s[14:15], s[14:15]
	s_xor_b64 s[50:51], s[52:53], -1
	s_xor_b64 exec, exec, s[14:15]
	s_cbranch_execz .LBB121_15
; %bb.10:                               ;   in Loop: Header=BB121_7 Depth=2
	s_and_saveexec_b64 s[18:19], s[50:51]
	s_xor_b64 s[18:19], exec, s[18:19]
	s_cbranch_execz .LBB121_12
; %bb.11:                               ;   in Loop: Header=BB121_7 Depth=2
	v_mov_b32_e32 v8, v0
	v_mov_b32_e32 v9, v0
	;; [unrolled: 1-line block ×4, first 2 shown]
	ds_write_b128 v64, v[8:11]
.LBB121_12:                             ;   in Loop: Header=BB121_7 Depth=2
	s_andn2_saveexec_b64 s[18:19], s[18:19]
	s_cbranch_execz .LBB121_14
; %bb.13:                               ;   in Loop: Header=BB121_7 Depth=2
	v_mov_b32_e32 v2, v0
	v_mov_b32_e32 v3, v0
	ds_write_b128 v64, v[0:3]
.LBB121_14:                             ;   in Loop: Header=BB121_7 Depth=2
	s_or_b64 exec, exec, s[18:19]
.LBB121_15:                             ;   in Loop: Header=BB121_7 Depth=2
	s_or_b64 exec, exec, s[14:15]
	v_add_co_u32_e64 v2, s[14:15], 16, v4
	v_addc_co_u32_e64 v3, s[14:15], 0, v5, s[14:15]
	v_cmp_eq_u64_e64 s[14:15], s[46:47], v[42:43]
	v_cmp_lt_i64_e64 s[18:19], v[2:3], v[24:25]
	s_and_b64 s[54:55], s[22:23], s[14:15]
	v_cmp_le_i64_e64 s[14:15], s[30:31], v[2:3]
	s_or_b64 s[18:19], s[8:9], s[18:19]
	s_or_b64 s[18:19], s[14:15], s[18:19]
	;; [unrolled: 1-line block ×3, first 2 shown]
	s_xor_b64 s[18:19], s[18:19], -1
	s_and_saveexec_b64 s[62:63], s[18:19]
	s_xor_b64 s[18:19], exec, s[62:63]
	s_cbranch_execz .LBB121_17
; %bb.16:                               ;   in Loop: Header=BB121_7 Depth=2
	global_load_dwordx4 v[6:9], v[6:7], off
	s_waitcnt vmcnt(0)
	ds_write2_b64 v65, v[6:7], v[8:9] offset1:1
.LBB121_17:                             ;   in Loop: Header=BB121_7 Depth=2
	s_andn2_saveexec_b64 s[18:19], s[18:19]
	s_cbranch_execz .LBB121_23
; %bb.18:                               ;   in Loop: Header=BB121_7 Depth=2
	s_xor_b64 s[54:55], s[54:55], -1
	s_and_saveexec_b64 s[62:63], s[54:55]
	s_xor_b64 s[54:55], exec, s[62:63]
	s_cbranch_execz .LBB121_20
; %bb.19:                               ;   in Loop: Header=BB121_7 Depth=2
	v_mov_b32_e32 v6, v0
	v_mov_b32_e32 v7, v0
	;; [unrolled: 1-line block ×4, first 2 shown]
	ds_write_b128 v65, v[6:9]
.LBB121_20:                             ;   in Loop: Header=BB121_7 Depth=2
	s_andn2_saveexec_b64 s[54:55], s[54:55]
	s_cbranch_execz .LBB121_22
; %bb.21:                               ;   in Loop: Header=BB121_7 Depth=2
	v_mov_b32_e32 v2, v0
	v_mov_b32_e32 v3, v0
	ds_write_b128 v65, v[0:3]
.LBB121_22:                             ;   in Loop: Header=BB121_7 Depth=2
	s_or_b64 exec, exec, s[54:55]
.LBB121_23:                             ;   in Loop: Header=BB121_7 Depth=2
	s_or_b64 exec, exec, s[18:19]
	v_cmp_eq_u64_e64 s[18:19], s[46:47], v[40:41]
	s_and_b64 s[54:55], s[22:23], s[18:19]
	v_cmp_lt_i64_e64 s[18:19], v[4:5], v[38:39]
	s_or_b64 s[18:19], s[10:11], s[18:19]
	s_or_b64 s[18:19], s[18:19], s[54:55]
	;; [unrolled: 1-line block ×3, first 2 shown]
	s_xor_b64 s[12:13], s[12:13], -1
	s_and_saveexec_b64 s[18:19], s[12:13]
	s_xor_b64 s[18:19], exec, s[18:19]
	s_cbranch_execz .LBB121_25
; %bb.24:                               ;   in Loop: Header=BB121_7 Depth=2
	v_add_co_u32_e64 v2, s[12:13], v34, v30
	v_addc_co_u32_e64 v3, s[12:13], v35, v31, s[12:13]
	global_load_dwordx4 v[2:5], v[2:3], off
	s_waitcnt vmcnt(0)
	ds_write2_b64 v66, v[2:3], v[4:5] offset1:1
.LBB121_25:                             ;   in Loop: Header=BB121_7 Depth=2
	s_andn2_saveexec_b64 s[12:13], s[18:19]
	s_cbranch_execz .LBB121_31
; %bb.26:                               ;   in Loop: Header=BB121_7 Depth=2
	s_xor_b64 s[18:19], s[54:55], -1
	s_and_saveexec_b64 s[54:55], s[18:19]
	s_xor_b64 s[18:19], exec, s[54:55]
	s_cbranch_execz .LBB121_28
; %bb.27:                               ;   in Loop: Header=BB121_7 Depth=2
	v_mov_b32_e32 v2, v0
	v_mov_b32_e32 v3, v0
	;; [unrolled: 1-line block ×4, first 2 shown]
	ds_write_b128 v66, v[2:5]
.LBB121_28:                             ;   in Loop: Header=BB121_7 Depth=2
	s_andn2_saveexec_b64 s[18:19], s[18:19]
	s_cbranch_execz .LBB121_30
; %bb.29:                               ;   in Loop: Header=BB121_7 Depth=2
	v_mov_b32_e32 v2, v0
	v_mov_b32_e32 v3, v0
	ds_write_b128 v66, v[0:3]
.LBB121_30:                             ;   in Loop: Header=BB121_7 Depth=2
	s_or_b64 exec, exec, s[18:19]
.LBB121_31:                             ;   in Loop: Header=BB121_7 Depth=2
	s_or_b64 exec, exec, s[12:13]
	s_or_b64 s[12:13], s[10:11], vcc
	s_or_b64 s[12:13], s[14:15], s[12:13]
	s_or_b64 s[12:13], s[12:13], s[52:53]
	s_xor_b64 s[12:13], s[12:13], -1
	s_and_saveexec_b64 s[14:15], s[12:13]
	s_xor_b64 s[12:13], exec, s[14:15]
	s_cbranch_execz .LBB121_33
; %bb.32:                               ;   in Loop: Header=BB121_7 Depth=2
	v_add_co_u32_e32 v2, vcc, v34, v30
	v_addc_co_u32_e32 v3, vcc, v35, v31, vcc
	global_load_dwordx4 v[2:5], v[2:3], off offset:256
	s_waitcnt vmcnt(0)
	ds_write2_b64 v67, v[2:3], v[4:5] offset1:1
.LBB121_33:                             ;   in Loop: Header=BB121_7 Depth=2
	s_andn2_saveexec_b64 s[12:13], s[12:13]
	s_cbranch_execz .LBB121_39
; %bb.34:                               ;   in Loop: Header=BB121_7 Depth=2
	s_and_saveexec_b64 s[14:15], s[50:51]
	s_xor_b64 s[14:15], exec, s[14:15]
	s_cbranch_execz .LBB121_36
; %bb.35:                               ;   in Loop: Header=BB121_7 Depth=2
	v_mov_b32_e32 v2, v0
	v_mov_b32_e32 v3, v0
	;; [unrolled: 1-line block ×4, first 2 shown]
	ds_write_b128 v67, v[2:5]
.LBB121_36:                             ;   in Loop: Header=BB121_7 Depth=2
	s_andn2_saveexec_b64 s[14:15], s[14:15]
	s_cbranch_execz .LBB121_38
; %bb.37:                               ;   in Loop: Header=BB121_7 Depth=2
	v_mov_b32_e32 v2, v0
	v_mov_b32_e32 v3, v0
	ds_write_b128 v67, v[0:3]
.LBB121_38:                             ;   in Loop: Header=BB121_7 Depth=2
	s_or_b64 exec, exec, s[14:15]
.LBB121_39:                             ;   in Loop: Header=BB121_7 Depth=2
	s_or_b64 exec, exec, s[12:13]
	v_mov_b32_e32 v3, s47
	v_add_co_u32_e32 v2, vcc, s46, v22
	v_addc_co_u32_e32 v3, vcc, v23, v3, vcc
	v_add_co_u32_e32 v4, vcc, v44, v28
	v_addc_co_u32_e32 v5, vcc, v45, v29, vcc
	v_cmp_le_i64_e32 vcc, s[30:31], v[2:3]
	s_or_b64 s[12:13], vcc, s[0:1]
	s_xor_b64 s[12:13], s[12:13], -1
	s_and_saveexec_b64 s[14:15], s[12:13]
	s_xor_b64 s[12:13], exec, s[14:15]
	s_cbranch_execz .LBB121_41
; %bb.40:                               ;   in Loop: Header=BB121_7 Depth=2
	global_load_dwordx4 v[6:9], v[4:5], off offset:-256
	s_waitcnt vmcnt(0)
	ds_write2_b64 v69, v[6:7], v[8:9] offset1:1
.LBB121_41:                             ;   in Loop: Header=BB121_7 Depth=2
	s_andn2_saveexec_b64 s[12:13], s[12:13]
	s_cbranch_execz .LBB121_43
; %bb.42:                               ;   in Loop: Header=BB121_7 Depth=2
	v_mov_b32_e32 v6, v0
	v_mov_b32_e32 v7, v0
	;; [unrolled: 1-line block ×4, first 2 shown]
	ds_write_b128 v69, v[6:9]
.LBB121_43:                             ;   in Loop: Header=BB121_7 Depth=2
	s_or_b64 exec, exec, s[12:13]
	s_or_b64 s[12:13], vcc, s[2:3]
	s_xor_b64 s[12:13], s[12:13], -1
	s_and_saveexec_b64 s[14:15], s[12:13]
	s_xor_b64 s[12:13], exec, s[14:15]
	s_cbranch_execz .LBB121_45
; %bb.44:                               ;   in Loop: Header=BB121_7 Depth=2
	global_load_dwordx4 v[4:7], v[4:5], off
	s_waitcnt vmcnt(0)
	ds_write2_b64 v70, v[4:5], v[6:7] offset1:1
.LBB121_45:                             ;   in Loop: Header=BB121_7 Depth=2
	s_andn2_saveexec_b64 s[12:13], s[12:13]
	s_cbranch_execz .LBB121_47
; %bb.46:                               ;   in Loop: Header=BB121_7 Depth=2
	v_mov_b32_e32 v4, v0
	v_mov_b32_e32 v5, v0
	;; [unrolled: 1-line block ×4, first 2 shown]
	ds_write_b128 v70, v[4:7]
.LBB121_47:                             ;   in Loop: Header=BB121_7 Depth=2
	s_or_b64 exec, exec, s[12:13]
	v_cmp_le_i64_e32 vcc, s[44:45], v[2:3]
	s_or_b64 s[12:13], vcc, s[0:1]
	s_xor_b64 s[12:13], s[12:13], -1
	s_and_saveexec_b64 s[14:15], s[12:13]
	s_xor_b64 s[14:15], exec, s[14:15]
	s_cbranch_execz .LBB121_49
; %bb.48:                               ;   in Loop: Header=BB121_7 Depth=2
	v_add_co_u32_e64 v2, s[12:13], v44, v36
	v_addc_co_u32_e64 v3, s[12:13], v45, v37, s[12:13]
	global_load_dwordx4 v[2:5], v[2:3], off offset:-256
	s_waitcnt vmcnt(0)
	ds_write2_b64 v71, v[2:3], v[4:5] offset1:1
.LBB121_49:                             ;   in Loop: Header=BB121_7 Depth=2
	s_andn2_saveexec_b64 s[12:13], s[14:15]
	s_cbranch_execz .LBB121_51
; %bb.50:                               ;   in Loop: Header=BB121_7 Depth=2
	v_mov_b32_e32 v2, v0
	v_mov_b32_e32 v3, v0
	;; [unrolled: 1-line block ×4, first 2 shown]
	ds_write_b128 v71, v[2:5]
.LBB121_51:                             ;   in Loop: Header=BB121_7 Depth=2
	s_or_b64 exec, exec, s[12:13]
	s_or_b64 s[12:13], vcc, s[2:3]
	s_xor_b64 s[12:13], s[12:13], -1
	s_and_saveexec_b64 s[14:15], s[12:13]
	s_xor_b64 s[12:13], exec, s[14:15]
	s_cbranch_execz .LBB121_53
; %bb.52:                               ;   in Loop: Header=BB121_7 Depth=2
	v_add_co_u32_e32 v2, vcc, v44, v36
	v_addc_co_u32_e32 v3, vcc, v45, v37, vcc
	global_load_dwordx4 v[2:5], v[2:3], off
	s_waitcnt vmcnt(0)
	ds_write2_b64 v72, v[2:3], v[4:5] offset1:1
.LBB121_53:                             ;   in Loop: Header=BB121_7 Depth=2
	s_andn2_saveexec_b64 s[12:13], s[12:13]
	s_cbranch_execz .LBB121_6
; %bb.54:                               ;   in Loop: Header=BB121_7 Depth=2
	v_mov_b32_e32 v2, v0
	v_mov_b32_e32 v3, v0
	;; [unrolled: 1-line block ×4, first 2 shown]
	ds_write_b128 v72, v[2:5]
	s_branch .LBB121_6
.LBB121_55:                             ;   in Loop: Header=BB121_4 Depth=1
	v_mul_lo_u32 v4, v25, s20
	v_mul_lo_u32 v5, v24, s21
	v_mad_u64_u32 v[2:3], s[8:9], v24, s20, 0
	v_add3_u32 v3, v3, v5, v4
	v_lshlrev_b64 v[2:3], 4, v[2:3]
	v_mov_b32_e32 v4, s57
	v_add_co_u32_e64 v2, s[8:9], s56, v2
	v_cmp_gt_i32_e32 vcc, s30, v24
	v_addc_co_u32_e64 v3, s[8:9], v4, v3, s[8:9]
	s_and_b64 s[8:9], s[4:5], vcc
	s_and_saveexec_b64 s[10:11], s[8:9]
	s_cbranch_execz .LBB121_57
; %bb.56:                               ;   in Loop: Header=BB121_4 Depth=1
	v_add_co_u32_e64 v8, s[8:9], v2, v14
	v_addc_co_u32_e64 v9, s[8:9], v3, v15, s[8:9]
	global_load_dwordx4 v[4:7], v[8:9], off
	v_mul_f64 v[10:11], s[26:27], v[60:61]
	v_mul_f64 v[12:13], s[24:25], v[60:61]
	v_fma_f64 v[10:11], s[24:25], v[58:59], -v[10:11]
	v_fmac_f64_e32 v[12:13], s[26:27], v[58:59]
	s_waitcnt vmcnt(0)
	v_add_f64 v[4:5], v[4:5], v[10:11]
	v_add_f64 v[6:7], v[6:7], v[12:13]
	global_store_dwordx4 v[8:9], v[4:7], off
.LBB121_57:                             ;   in Loop: Header=BB121_4 Depth=1
	s_or_b64 exec, exec, s[10:11]
	s_and_b64 s[10:11], s[16:17], vcc
	s_and_saveexec_b64 s[8:9], s[10:11]
	s_cbranch_execz .LBB121_59
; %bb.58:                               ;   in Loop: Header=BB121_4 Depth=1
	v_lshlrev_b64 v[4:5], 4, v[18:19]
	v_add_co_u32_e32 v6, vcc, v2, v4
	v_addc_co_u32_e32 v7, vcc, v3, v5, vcc
	global_load_dwordx4 v[2:5], v[6:7], off
	v_mul_f64 v[8:9], s[26:27], v[56:57]
	v_mul_f64 v[10:11], s[24:25], v[56:57]
	v_fma_f64 v[8:9], s[24:25], v[52:53], -v[8:9]
	v_fmac_f64_e32 v[10:11], s[26:27], v[52:53]
	s_waitcnt vmcnt(0)
	v_add_f64 v[2:3], v[2:3], v[8:9]
	v_add_f64 v[4:5], v[4:5], v[10:11]
	global_store_dwordx4 v[6:7], v[2:5], off
.LBB121_59:                             ;   in Loop: Header=BB121_4 Depth=1
	s_or_b64 exec, exec, s[8:9]
	v_add_u32_e32 v2, 16, v24
	v_ashrrev_i32_e32 v3, 31, v2
	v_cmp_gt_i32_e32 vcc, s30, v2
	v_mul_lo_u32 v4, v3, s20
	v_mul_lo_u32 v5, v2, s21
	v_mad_u64_u32 v[2:3], s[8:9], v2, s20, 0
	v_add3_u32 v3, v3, v5, v4
	v_lshlrev_b64 v[2:3], 4, v[2:3]
	v_mov_b32_e32 v4, s57
	v_add_co_u32_e64 v2, s[8:9], s56, v2
	v_addc_co_u32_e64 v3, s[8:9], v4, v3, s[8:9]
	s_and_b64 s[8:9], s[4:5], vcc
	s_and_saveexec_b64 s[10:11], s[8:9]
	s_cbranch_execz .LBB121_61
; %bb.60:                               ;   in Loop: Header=BB121_4 Depth=1
	v_add_co_u32_e64 v8, s[8:9], v2, v14
	v_addc_co_u32_e64 v9, s[8:9], v3, v15, s[8:9]
	global_load_dwordx4 v[4:7], v[8:9], off
	v_mul_f64 v[10:11], s[26:27], v[54:55]
	v_mul_f64 v[12:13], s[24:25], v[54:55]
	v_fma_f64 v[10:11], s[24:25], v[50:51], -v[10:11]
	v_fmac_f64_e32 v[12:13], s[26:27], v[50:51]
	s_waitcnt vmcnt(0)
	v_add_f64 v[4:5], v[4:5], v[10:11]
	v_add_f64 v[6:7], v[6:7], v[12:13]
	global_store_dwordx4 v[8:9], v[4:7], off
.LBB121_61:                             ;   in Loop: Header=BB121_4 Depth=1
	s_or_b64 exec, exec, s[10:11]
	s_and_b64 s[10:11], s[16:17], vcc
	s_and_saveexec_b64 s[8:9], s[10:11]
	s_cbranch_execz .LBB121_3
; %bb.62:                               ;   in Loop: Header=BB121_4 Depth=1
	v_lshlrev_b64 v[4:5], 4, v[18:19]
	v_add_co_u32_e32 v6, vcc, v2, v4
	v_addc_co_u32_e32 v7, vcc, v3, v5, vcc
	global_load_dwordx4 v[2:5], v[6:7], off
	v_mul_f64 v[8:9], s[26:27], v[46:47]
	v_mul_f64 v[10:11], s[24:25], v[46:47]
	v_fma_f64 v[8:9], s[24:25], v[48:49], -v[8:9]
	v_fmac_f64_e32 v[10:11], s[26:27], v[48:49]
	s_waitcnt vmcnt(0)
	v_add_f64 v[2:3], v[2:3], v[8:9]
	v_add_f64 v[4:5], v[4:5], v[10:11]
	global_store_dwordx4 v[6:7], v[2:5], off
	s_branch .LBB121_3
.LBB121_63:
	s_endpgm
	.section	.rodata,"a",@progbits
	.p2align	6, 0x0
	.amdhsa_kernel _ZL30rocblas_trmm_outofplace_kernelI19rocblas_complex_numIdELi32ELi2ELb0ELb0ELb0ELb0ES1_KS1_S1_Ev17rocblas_diagonal_iiT6_lPT7_lllS6_lllPT8_llli
		.amdhsa_group_segment_fixed_size 32768
		.amdhsa_private_segment_fixed_size 0
		.amdhsa_kernarg_size 400
		.amdhsa_user_sgpr_count 6
		.amdhsa_user_sgpr_private_segment_buffer 1
		.amdhsa_user_sgpr_dispatch_ptr 0
		.amdhsa_user_sgpr_queue_ptr 0
		.amdhsa_user_sgpr_kernarg_segment_ptr 1
		.amdhsa_user_sgpr_dispatch_id 0
		.amdhsa_user_sgpr_flat_scratch_init 0
		.amdhsa_user_sgpr_kernarg_preload_length 0
		.amdhsa_user_sgpr_kernarg_preload_offset 0
		.amdhsa_user_sgpr_private_segment_size 0
		.amdhsa_uses_dynamic_stack 0
		.amdhsa_system_sgpr_private_segment_wavefront_offset 0
		.amdhsa_system_sgpr_workgroup_id_x 1
		.amdhsa_system_sgpr_workgroup_id_y 1
		.amdhsa_system_sgpr_workgroup_id_z 1
		.amdhsa_system_sgpr_workgroup_info 0
		.amdhsa_system_vgpr_workitem_id 1
		.amdhsa_next_free_vgpr 90
		.amdhsa_next_free_sgpr 64
		.amdhsa_accum_offset 92
		.amdhsa_reserve_vcc 1
		.amdhsa_reserve_flat_scratch 0
		.amdhsa_float_round_mode_32 0
		.amdhsa_float_round_mode_16_64 0
		.amdhsa_float_denorm_mode_32 3
		.amdhsa_float_denorm_mode_16_64 3
		.amdhsa_dx10_clamp 1
		.amdhsa_ieee_mode 1
		.amdhsa_fp16_overflow 0
		.amdhsa_tg_split 0
		.amdhsa_exception_fp_ieee_invalid_op 0
		.amdhsa_exception_fp_denorm_src 0
		.amdhsa_exception_fp_ieee_div_zero 0
		.amdhsa_exception_fp_ieee_overflow 0
		.amdhsa_exception_fp_ieee_underflow 0
		.amdhsa_exception_fp_ieee_inexact 0
		.amdhsa_exception_int_div_zero 0
	.end_amdhsa_kernel
	.section	.text._ZL30rocblas_trmm_outofplace_kernelI19rocblas_complex_numIdELi32ELi2ELb0ELb0ELb0ELb0ES1_KS1_S1_Ev17rocblas_diagonal_iiT6_lPT7_lllS6_lllPT8_llli,"axG",@progbits,_ZL30rocblas_trmm_outofplace_kernelI19rocblas_complex_numIdELi32ELi2ELb0ELb0ELb0ELb0ES1_KS1_S1_Ev17rocblas_diagonal_iiT6_lPT7_lllS6_lllPT8_llli,comdat
.Lfunc_end121:
	.size	_ZL30rocblas_trmm_outofplace_kernelI19rocblas_complex_numIdELi32ELi2ELb0ELb0ELb0ELb0ES1_KS1_S1_Ev17rocblas_diagonal_iiT6_lPT7_lllS6_lllPT8_llli, .Lfunc_end121-_ZL30rocblas_trmm_outofplace_kernelI19rocblas_complex_numIdELi32ELi2ELb0ELb0ELb0ELb0ES1_KS1_S1_Ev17rocblas_diagonal_iiT6_lPT7_lllS6_lllPT8_llli
                                        ; -- End function
	.section	.AMDGPU.csdata,"",@progbits
; Kernel info:
; codeLenInByte = 9552
; NumSgprs: 68
; NumVgprs: 90
; NumAgprs: 0
; TotalNumVgprs: 90
; ScratchSize: 0
; MemoryBound: 0
; FloatMode: 240
; IeeeMode: 1
; LDSByteSize: 32768 bytes/workgroup (compile time only)
; SGPRBlocks: 8
; VGPRBlocks: 11
; NumSGPRsForWavesPerEU: 68
; NumVGPRsForWavesPerEU: 90
; AccumOffset: 92
; Occupancy: 5
; WaveLimiterHint : 0
; COMPUTE_PGM_RSRC2:SCRATCH_EN: 0
; COMPUTE_PGM_RSRC2:USER_SGPR: 6
; COMPUTE_PGM_RSRC2:TRAP_HANDLER: 0
; COMPUTE_PGM_RSRC2:TGID_X_EN: 1
; COMPUTE_PGM_RSRC2:TGID_Y_EN: 1
; COMPUTE_PGM_RSRC2:TGID_Z_EN: 1
; COMPUTE_PGM_RSRC2:TIDIG_COMP_CNT: 1
; COMPUTE_PGM_RSRC3_GFX90A:ACCUM_OFFSET: 22
; COMPUTE_PGM_RSRC3_GFX90A:TG_SPLIT: 0
	.section	.text._ZL30rocblas_trmm_outofplace_kernelI19rocblas_complex_numIdELi32ELi2ELb0ELb1ELb0ELb0EPKS1_S2_S1_Ev17rocblas_diagonal_iiT6_lPT7_lllS7_lllPT8_llli,"axG",@progbits,_ZL30rocblas_trmm_outofplace_kernelI19rocblas_complex_numIdELi32ELi2ELb0ELb1ELb0ELb0EPKS1_S2_S1_Ev17rocblas_diagonal_iiT6_lPT7_lllS7_lllPT8_llli,comdat
	.globl	_ZL30rocblas_trmm_outofplace_kernelI19rocblas_complex_numIdELi32ELi2ELb0ELb1ELb0ELb0EPKS1_S2_S1_Ev17rocblas_diagonal_iiT6_lPT7_lllS7_lllPT8_llli ; -- Begin function _ZL30rocblas_trmm_outofplace_kernelI19rocblas_complex_numIdELi32ELi2ELb0ELb1ELb0ELb0EPKS1_S2_S1_Ev17rocblas_diagonal_iiT6_lPT7_lllS7_lllPT8_llli
	.p2align	8
	.type	_ZL30rocblas_trmm_outofplace_kernelI19rocblas_complex_numIdELi32ELi2ELb0ELb1ELb0ELb0EPKS1_S2_S1_Ev17rocblas_diagonal_iiT6_lPT7_lllS7_lllPT8_llli,@function
_ZL30rocblas_trmm_outofplace_kernelI19rocblas_complex_numIdELi32ELi2ELb0ELb1ELb0ELb0EPKS1_S2_S1_Ev17rocblas_diagonal_iiT6_lPT7_lllS7_lllPT8_llli: ; @_ZL30rocblas_trmm_outofplace_kernelI19rocblas_complex_numIdELi32ELi2ELb0ELb1ELb0ELb0EPKS1_S2_S1_Ev17rocblas_diagonal_iiT6_lPT7_lllS7_lllPT8_llli
; %bb.0:
	s_load_dwordx16 s[16:31], s[4:5], 0x10
	s_waitcnt lgkmcnt(0)
	s_mul_i32 s0, s8, s19
	s_mul_hi_u32 s1, s8, s18
	s_add_i32 s1, s1, s0
	s_mul_i32 s0, s8, s18
	s_lshl_b64 s[0:1], s[0:1], 4
	s_add_u32 s0, s16, s0
	s_addc_u32 s1, s17, s1
	s_load_dwordx4 s[36:39], s[0:1], 0x0
	s_waitcnt lgkmcnt(0)
	v_cmp_eq_f64_e64 s[0:1], s[36:37], 0
	v_cmp_eq_f64_e64 s[2:3], s[38:39], 0
	s_and_b64 s[0:1], s[0:1], s[2:3]
	s_and_b64 vcc, exec, s[0:1]
	s_cbranch_vccnz .LBB122_63
; %bb.1:
	s_load_dwordx4 s[40:43], s[4:5], 0x0
	s_waitcnt lgkmcnt(0)
	s_add_i32 s0, s42, -1
	s_ashr_i32 s1, s0, 31
	s_lshr_b32 s1, s1, 27
	s_add_i32 s0, s0, s1
	s_ashr_i32 s33, s0, 5
	s_cmp_gt_i32 s7, s33
	s_cbranch_scc1 .LBB122_63
; %bb.2:
	s_load_dwordx4 s[44:47], s[4:5], 0x70
	s_load_dwordx8 s[12:19], s[4:5], 0x50
	s_load_dword s52, s[4:5], 0x8c
	v_and_b32_e32 v16, 0x3ff, v0
	v_lshl_add_u32 v2, s6, 5, v16
	v_ashrrev_i32_e32 v3, 31, v2
	s_waitcnt lgkmcnt(0)
	s_mul_i32 s0, s8, s47
	s_mul_hi_u32 s1, s8, s46
	s_add_i32 s1, s1, s0
	s_mul_i32 s0, s8, s46
	s_lshl_b64 s[0:1], s[0:1], 4
	s_add_u32 s2, s16, s0
	s_addc_u32 s3, s17, s1
	s_lshl_b64 s[0:1], s[18:19], 4
	s_add_u32 s53, s2, s0
	s_addc_u32 s54, s3, s1
	s_cmpk_eq_i32 s40, 0x84
	s_cselect_b64 s[34:35], -1, 0
	s_ashr_i32 s0, s41, 31
	v_mov_b32_e32 v1, s0
	v_sub_co_u32_e32 v4, vcc, s41, v2
	v_bfe_u32 v14, v0, 10, 10
	v_subb_co_u32_e32 v5, vcc, v1, v3, vcc
	v_cmp_gt_i64_e64 s[0:1], 1, v[4:5]
	v_cmp_gt_i64_e64 s[2:3], 17, v[4:5]
	v_mad_u64_u32 v[4:5], s[10:11], s12, v14, 0
	v_sub_co_u32_e32 v73, vcc, 0, v16
	v_mov_b32_e32 v6, v5
	s_ashr_i32 s43, s42, 31
	s_lshl_b64 s[46:47], s[12:13], 9
	v_subb_co_u32_e64 v74, s[10:11], 0, 0, vcc
	v_mad_u64_u32 v[6:7], s[10:11], s13, v14, v[6:7]
	s_add_u32 s48, s42, -16
	s_mul_i32 s10, s15, s8
	s_mul_hi_u32 s11, s14, s8
	s_addc_u32 s49, s43, -1
	s_add_i32 s11, s11, s10
	s_mul_i32 s10, s14, s8
	s_lshl_b32 s6, s52, 5
	s_lshl_b64 s[10:11], s[10:11], 4
	s_lshl_b64 s[14:15], s[30:31], 4
	s_add_u32 s10, s10, s14
	s_addc_u32 s11, s11, s15
	s_add_u32 s10, s28, s10
	v_lshlrev_b64 v[26:27], 4, v[2:3]
	s_addc_u32 s11, s29, s11
	v_cmp_gt_i32_e64 s[4:5], s41, v2
	v_add_u32_e32 v20, 16, v2
	v_mov_b32_e32 v1, s11
	v_add_co_u32_e32 v2, vcc, s10, v26
	s_movk_i32 s9, 0x100
	v_addc_co_u32_e32 v1, vcc, v1, v27, vcc
	v_add_co_u32_e32 v28, vcc, s9, v2
	s_mul_i32 s9, s27, s8
	s_mul_hi_u32 s10, s26, s8
	s_add_i32 s9, s10, s9
	s_mul_i32 s8, s26, s8
	s_lshl_b64 s[8:9], s[8:9], 4
	s_lshl_b64 s[10:11], s[22:23], 4
	s_add_u32 s8, s8, s10
	v_addc_co_u32_e32 v29, vcc, 0, v1, vcc
	s_addc_u32 s9, s9, s11
	v_mov_b32_e32 v1, 0x100
	s_add_u32 s20, s20, s8
	v_lshl_add_u32 v1, v14, 4, v1
	v_lshlrev_b32_e32 v18, 4, v16
	s_addc_u32 s21, s21, s9
	v_mad_u64_u32 v[30:31], s[8:9], s12, v1, 0
	v_lshlrev_b32_e32 v17, 9, v14
	v_or_b32_e32 v67, 0x4000, v18
	v_mov_b32_e32 v2, v31
	v_add_u32_e32 v19, v17, v18
	v_add_u32_e32 v68, v67, v17
	v_mov_b32_e32 v5, v6
	s_add_u32 s22, s20, 0x100
	v_mad_u64_u32 v[2:3], s[8:9], s13, v1, v[2:3]
	v_mov_b32_e32 v0, 0
	v_add_u32_e32 v64, 0x100, v19
	v_add_u32_e32 v65, 0x2000, v19
	;; [unrolled: 1-line block ×6, first 2 shown]
	v_cmp_gt_i32_e64 s[16:17], s41, v20
	v_ashrrev_i32_e32 v21, 31, v20
	v_add_u32_e32 v72, 0x4100, v18
	v_lshl_add_u32 v22, s7, 5, v14
	v_lshlrev_b64 v[24:25], 4, v[4:5]
	s_addc_u32 s23, s21, 0
	s_lshl_b64 s[26:27], s[24:25], 4
	v_mov_b32_e32 v15, v2
	v_mov_b32_e32 v1, 0x3ff00000
	s_branch .LBB122_4
.LBB122_3:                              ;   in Loop: Header=BB122_4 Depth=1
	s_or_b64 exec, exec, s[8:9]
	s_add_i32 s7, s52, s7
	s_cmp_le_i32 s7, s33
	v_add_u32_e32 v22, s6, v22
	s_cbranch_scc0 .LBB122_63
.LBB122_4:                              ; =>This Loop Header: Depth=1
                                        ;     Child Loop BB122_7 Depth 2
	s_lshl_b32 s55, s7, 5
	v_add_u32_e32 v32, s55, v14
	v_pk_mov_b32 v[60:61], 0, 0
	v_ashrrev_i32_e32 v33, 31, v32
	s_cmp_lt_i32 s7, 0
	v_pk_mov_b32 v[62:63], v[60:61], v[60:61] op_sel:[0,1]
	v_pk_mov_b32 v[54:55], v[60:61], v[60:61] op_sel:[0,1]
	v_pk_mov_b32 v[58:59], v[60:61], v[60:61] op_sel:[0,1]
	v_pk_mov_b32 v[52:53], v[60:61], v[60:61] op_sel:[0,1]
	v_pk_mov_b32 v[56:57], v[60:61], v[60:61] op_sel:[0,1]
	v_pk_mov_b32 v[50:51], v[60:61], v[60:61] op_sel:[0,1]
	v_pk_mov_b32 v[48:49], v[60:61], v[60:61] op_sel:[0,1]
	s_cbranch_scc1 .LBB122_55
; %bb.5:                                ;   in Loop: Header=BB122_4 Depth=1
	v_ashrrev_i32_e32 v23, 31, v22
	v_pk_mov_b32 v[2:3], s[22:23], s[22:23] op_sel:[0,1]
	v_add_co_u32_e32 v34, vcc, v73, v22
	v_mad_u64_u32 v[36:37], s[8:9], s26, v22, v[2:3]
	v_mul_lo_u32 v2, s27, v22
	v_mul_lo_u32 v3, s26, v23
	v_addc_co_u32_e32 v35, vcc, v74, v23, vcc
	v_add3_u32 v37, v2, v37, v3
	v_lshlrev_b64 v[2:3], 4, v[22:23]
	v_add_co_u32_e32 v4, vcc, 0x100, v2
	v_addc_co_u32_e32 v2, vcc, 0, v3, vcc
	v_add_co_u32_e32 v40, vcc, 16, v32
	v_addc_co_u32_e32 v41, vcc, 0, v33, vcc
	v_add_co_u32_e32 v42, vcc, 16, v34
	v_mul_lo_u32 v5, s24, v2
	v_pk_mov_b32 v[2:3], s[20:21], s[20:21] op_sel:[0,1]
	v_addc_co_u32_e32 v43, vcc, 0, v35, vcc
	v_mul_lo_u32 v6, s25, v4
	v_mad_u64_u32 v[38:39], s[8:9], s24, v4, v[2:3]
	v_add_co_u32_e32 v44, vcc, -16, v34
	v_pk_mov_b32 v[48:49], 0, 0
	v_add3_u32 v39, v6, v39, v5
	v_cmp_le_i32_e64 s[8:9], s42, v32
	v_cmp_le_i64_e64 s[10:11], s[42:43], v[40:41]
	v_addc_co_u32_e32 v45, vcc, -1, v35, vcc
	s_mov_b64 s[28:29], 0
	v_pk_mov_b32 v[46:47], v[28:29], v[28:29] op_sel:[0,1]
	v_pk_mov_b32 v[50:51], v[48:49], v[48:49] op_sel:[0,1]
	v_pk_mov_b32 v[56:57], v[48:49], v[48:49] op_sel:[0,1]
	v_pk_mov_b32 v[52:53], v[48:49], v[48:49] op_sel:[0,1]
	v_pk_mov_b32 v[58:59], v[48:49], v[48:49] op_sel:[0,1]
	v_pk_mov_b32 v[54:55], v[48:49], v[48:49] op_sel:[0,1]
	v_pk_mov_b32 v[62:63], v[48:49], v[48:49] op_sel:[0,1]
	v_pk_mov_b32 v[60:61], v[48:49], v[48:49] op_sel:[0,1]
	s_branch .LBB122_7
.LBB122_6:                              ;   in Loop: Header=BB122_7 Depth=2
	s_or_b64 exec, exec, s[12:13]
	s_waitcnt lgkmcnt(0)
	s_barrier
	ds_read_b128 v[76:79], v17
	ds_read_b128 v[10:13], v17 offset:16
	ds_read_b128 v[6:9], v17 offset:32
	ds_read_b128 v[2:5], v17 offset:48
	ds_read_b128 v[80:83], v67
	v_add_co_u32_e32 v46, vcc, s46, v46
	s_add_u32 s28, s28, 32
	s_addc_u32 s29, s29, 0
	s_waitcnt lgkmcnt(0)
	v_mul_f64 v[84:85], v[78:79], v[82:83]
	v_mul_f64 v[86:87], v[76:77], v[82:83]
	v_fma_f64 v[84:85], v[76:77], v[80:81], -v[84:85]
	v_fmac_f64_e32 v[86:87], v[78:79], v[80:81]
	v_add_f64 v[84:85], v[60:61], v[84:85]
	v_add_f64 v[86:87], v[62:63], v[86:87]
	ds_read_b128 v[60:63], v72
	s_sub_i32 s12, s28, 32
	s_cmp_ge_i32 s12, s55
	s_waitcnt lgkmcnt(0)
	v_mul_f64 v[88:89], v[78:79], v[62:63]
	v_fma_f64 v[88:89], v[76:77], v[60:61], -v[88:89]
	v_mul_f64 v[76:77], v[76:77], v[62:63]
	v_fmac_f64_e32 v[76:77], v[78:79], v[60:61]
	v_add_f64 v[90:91], v[58:59], v[76:77]
	ds_read_b128 v[76:79], v17 offset:8192
	v_add_f64 v[88:89], v[54:55], v[88:89]
	s_waitcnt lgkmcnt(0)
	v_mul_f64 v[54:55], v[78:79], v[82:83]
	v_mul_f64 v[58:59], v[76:77], v[82:83]
	v_fma_f64 v[54:55], v[76:77], v[80:81], -v[54:55]
	v_fmac_f64_e32 v[58:59], v[78:79], v[80:81]
	v_add_f64 v[52:53], v[52:53], v[54:55]
	v_add_f64 v[54:55], v[56:57], v[58:59]
	v_mul_f64 v[56:57], v[78:79], v[62:63]
	v_mul_f64 v[58:59], v[76:77], v[62:63]
	v_fma_f64 v[56:57], v[76:77], v[60:61], -v[56:57]
	v_fmac_f64_e32 v[58:59], v[78:79], v[60:61]
	v_add_f64 v[50:51], v[50:51], v[56:57]
	v_add_f64 v[48:49], v[48:49], v[58:59]
	ds_read_b128 v[56:59], v67 offset:512
	s_waitcnt lgkmcnt(0)
	v_mul_f64 v[60:61], v[12:13], v[58:59]
	v_mul_f64 v[62:63], v[10:11], v[58:59]
	v_fma_f64 v[60:61], v[10:11], v[56:57], -v[60:61]
	v_fmac_f64_e32 v[62:63], v[12:13], v[56:57]
	v_add_f64 v[76:77], v[84:85], v[60:61]
	v_add_f64 v[78:79], v[86:87], v[62:63]
	ds_read_b128 v[60:63], v72 offset:512
	s_waitcnt lgkmcnt(0)
	v_mul_f64 v[80:81], v[12:13], v[62:63]
	v_fma_f64 v[80:81], v[10:11], v[60:61], -v[80:81]
	v_mul_f64 v[10:11], v[10:11], v[62:63]
	v_fmac_f64_e32 v[10:11], v[12:13], v[60:61]
	v_add_f64 v[82:83], v[90:91], v[10:11]
	ds_read_b128 v[10:13], v17 offset:8208
	v_add_f64 v[80:81], v[88:89], v[80:81]
	s_waitcnt lgkmcnt(0)
	v_mul_f64 v[84:85], v[12:13], v[58:59]
	v_mul_f64 v[58:59], v[10:11], v[58:59]
	v_fma_f64 v[84:85], v[10:11], v[56:57], -v[84:85]
	v_fmac_f64_e32 v[58:59], v[12:13], v[56:57]
	v_mul_f64 v[56:57], v[12:13], v[62:63]
	v_fma_f64 v[56:57], v[10:11], v[60:61], -v[56:57]
	v_mul_f64 v[10:11], v[10:11], v[62:63]
	v_fmac_f64_e32 v[10:11], v[12:13], v[60:61]
	v_add_f64 v[54:55], v[54:55], v[58:59]
	v_add_f64 v[58:59], v[48:49], v[10:11]
	ds_read_b128 v[10:13], v67 offset:1024
	v_add_f64 v[56:57], v[50:51], v[56:57]
	v_add_f64 v[52:53], v[52:53], v[84:85]
	s_waitcnt lgkmcnt(0)
	v_mul_f64 v[48:49], v[8:9], v[12:13]
	v_mul_f64 v[50:51], v[6:7], v[12:13]
	v_fma_f64 v[48:49], v[6:7], v[10:11], -v[48:49]
	v_fmac_f64_e32 v[50:51], v[8:9], v[10:11]
	v_add_f64 v[60:61], v[76:77], v[48:49]
	v_add_f64 v[62:63], v[78:79], v[50:51]
	ds_read_b128 v[48:51], v72 offset:1024
	s_waitcnt lgkmcnt(0)
	v_mul_f64 v[76:77], v[8:9], v[50:51]
	v_fma_f64 v[76:77], v[6:7], v[48:49], -v[76:77]
	v_mul_f64 v[6:7], v[6:7], v[50:51]
	v_fmac_f64_e32 v[6:7], v[8:9], v[48:49]
	v_add_f64 v[78:79], v[82:83], v[6:7]
	ds_read_b128 v[6:9], v17 offset:8224
	v_add_f64 v[76:77], v[80:81], v[76:77]
	s_waitcnt lgkmcnt(0)
	v_mul_f64 v[80:81], v[8:9], v[12:13]
	v_fma_f64 v[80:81], v[6:7], v[10:11], -v[80:81]
	v_mul_f64 v[12:13], v[6:7], v[12:13]
	v_fmac_f64_e32 v[12:13], v[8:9], v[10:11]
	v_add_f64 v[10:11], v[52:53], v[80:81]
	v_mul_f64 v[52:53], v[8:9], v[50:51]
	v_mul_f64 v[50:51], v[6:7], v[50:51]
	v_fmac_f64_e32 v[50:51], v[8:9], v[48:49]
	v_fma_f64 v[52:53], v[6:7], v[48:49], -v[52:53]
	v_add_f64 v[8:9], v[58:59], v[50:51]
	ds_read_b128 v[48:51], v67 offset:1536
	v_add_f64 v[12:13], v[54:55], v[12:13]
	v_add_f64 v[6:7], v[56:57], v[52:53]
	s_waitcnt lgkmcnt(0)
	v_mul_f64 v[52:53], v[4:5], v[50:51]
	v_mul_f64 v[54:55], v[2:3], v[50:51]
	v_fma_f64 v[52:53], v[2:3], v[48:49], -v[52:53]
	v_fmac_f64_e32 v[54:55], v[4:5], v[48:49]
	v_add_f64 v[56:57], v[60:61], v[52:53]
	v_add_f64 v[58:59], v[62:63], v[54:55]
	ds_read_b128 v[52:55], v72 offset:1536
	s_waitcnt lgkmcnt(0)
	v_mul_f64 v[60:61], v[4:5], v[54:55]
	v_fma_f64 v[60:61], v[2:3], v[52:53], -v[60:61]
	v_mul_f64 v[2:3], v[2:3], v[54:55]
	v_fmac_f64_e32 v[2:3], v[4:5], v[52:53]
	v_add_f64 v[62:63], v[78:79], v[2:3]
	ds_read_b128 v[2:5], v17 offset:8240
	v_add_f64 v[60:61], v[76:77], v[60:61]
	s_waitcnt lgkmcnt(0)
	v_mul_f64 v[76:77], v[4:5], v[50:51]
	v_fma_f64 v[76:77], v[2:3], v[48:49], -v[76:77]
	v_mul_f64 v[50:51], v[2:3], v[50:51]
	v_fmac_f64_e32 v[50:51], v[4:5], v[48:49]
	v_add_f64 v[48:49], v[10:11], v[76:77]
	v_mul_f64 v[10:11], v[4:5], v[54:55]
	v_fma_f64 v[10:11], v[2:3], v[52:53], -v[10:11]
	v_mul_f64 v[2:3], v[2:3], v[54:55]
	v_fmac_f64_e32 v[2:3], v[4:5], v[52:53]
	v_add_f64 v[52:53], v[6:7], v[10:11]
	v_add_f64 v[54:55], v[8:9], v[2:3]
	ds_read_b128 v[2:5], v17 offset:64
	ds_read_b128 v[6:9], v67 offset:2048
	v_add_f64 v[50:51], v[12:13], v[50:51]
	s_waitcnt lgkmcnt(0)
	v_mul_f64 v[10:11], v[4:5], v[8:9]
	v_mul_f64 v[12:13], v[2:3], v[8:9]
	v_fma_f64 v[10:11], v[2:3], v[6:7], -v[10:11]
	v_fmac_f64_e32 v[12:13], v[4:5], v[6:7]
	v_add_f64 v[56:57], v[56:57], v[10:11]
	v_add_f64 v[58:59], v[58:59], v[12:13]
	ds_read_b128 v[10:13], v72 offset:2048
	s_waitcnt lgkmcnt(0)
	v_mul_f64 v[76:77], v[4:5], v[12:13]
	v_fma_f64 v[76:77], v[2:3], v[10:11], -v[76:77]
	v_mul_f64 v[2:3], v[2:3], v[12:13]
	v_fmac_f64_e32 v[2:3], v[4:5], v[10:11]
	v_add_f64 v[62:63], v[62:63], v[2:3]
	ds_read_b128 v[2:5], v17 offset:8256
	v_add_f64 v[60:61], v[60:61], v[76:77]
	s_waitcnt lgkmcnt(0)
	v_mul_f64 v[76:77], v[4:5], v[8:9]
	v_fma_f64 v[76:77], v[2:3], v[6:7], -v[76:77]
	v_mul_f64 v[8:9], v[2:3], v[8:9]
	v_fmac_f64_e32 v[8:9], v[4:5], v[6:7]
	v_add_f64 v[6:7], v[48:49], v[76:77]
	v_mul_f64 v[48:49], v[4:5], v[12:13]
	v_mul_f64 v[12:13], v[2:3], v[12:13]
	v_fma_f64 v[48:49], v[2:3], v[10:11], -v[48:49]
	v_fmac_f64_e32 v[12:13], v[4:5], v[10:11]
	v_add_f64 v[8:9], v[50:51], v[8:9]
	v_add_f64 v[2:3], v[52:53], v[48:49]
	v_add_f64 v[4:5], v[54:55], v[12:13]
	ds_read_b128 v[10:13], v17 offset:80
	ds_read_b128 v[48:51], v67 offset:2560
	s_waitcnt lgkmcnt(0)
	v_mul_f64 v[52:53], v[12:13], v[50:51]
	v_mul_f64 v[54:55], v[10:11], v[50:51]
	v_fma_f64 v[52:53], v[10:11], v[48:49], -v[52:53]
	v_fmac_f64_e32 v[54:55], v[12:13], v[48:49]
	v_add_f64 v[56:57], v[56:57], v[52:53]
	v_add_f64 v[58:59], v[58:59], v[54:55]
	ds_read_b128 v[52:55], v72 offset:2560
	s_waitcnt lgkmcnt(0)
	v_mul_f64 v[76:77], v[12:13], v[54:55]
	v_fma_f64 v[76:77], v[10:11], v[52:53], -v[76:77]
	v_mul_f64 v[10:11], v[10:11], v[54:55]
	v_fmac_f64_e32 v[10:11], v[12:13], v[52:53]
	v_add_f64 v[62:63], v[62:63], v[10:11]
	ds_read_b128 v[10:13], v17 offset:8272
	v_add_f64 v[60:61], v[60:61], v[76:77]
	s_waitcnt lgkmcnt(0)
	v_mul_f64 v[76:77], v[12:13], v[50:51]
	v_mul_f64 v[50:51], v[10:11], v[50:51]
	v_fma_f64 v[76:77], v[10:11], v[48:49], -v[76:77]
	v_fmac_f64_e32 v[50:51], v[12:13], v[48:49]
	v_add_f64 v[48:49], v[6:7], v[76:77]
	v_add_f64 v[50:51], v[8:9], v[50:51]
	v_mul_f64 v[6:7], v[12:13], v[54:55]
	v_mul_f64 v[8:9], v[10:11], v[54:55]
	v_fma_f64 v[6:7], v[10:11], v[52:53], -v[6:7]
	v_fmac_f64_e32 v[8:9], v[12:13], v[52:53]
	v_add_f64 v[52:53], v[2:3], v[6:7]
	v_add_f64 v[54:55], v[4:5], v[8:9]
	ds_read_b128 v[2:5], v17 offset:96
	ds_read_b128 v[6:9], v67 offset:3072
	s_waitcnt lgkmcnt(0)
	v_mul_f64 v[10:11], v[4:5], v[8:9]
	v_mul_f64 v[12:13], v[2:3], v[8:9]
	v_fma_f64 v[10:11], v[2:3], v[6:7], -v[10:11]
	v_fmac_f64_e32 v[12:13], v[4:5], v[6:7]
	v_add_f64 v[56:57], v[56:57], v[10:11]
	v_add_f64 v[58:59], v[58:59], v[12:13]
	ds_read_b128 v[10:13], v72 offset:3072
	s_waitcnt lgkmcnt(0)
	v_mul_f64 v[76:77], v[4:5], v[12:13]
	v_fma_f64 v[76:77], v[2:3], v[10:11], -v[76:77]
	v_mul_f64 v[2:3], v[2:3], v[12:13]
	v_fmac_f64_e32 v[2:3], v[4:5], v[10:11]
	v_add_f64 v[62:63], v[62:63], v[2:3]
	ds_read_b128 v[2:5], v17 offset:8288
	v_add_f64 v[60:61], v[60:61], v[76:77]
	s_waitcnt lgkmcnt(0)
	v_mul_f64 v[76:77], v[4:5], v[8:9]
	v_fma_f64 v[76:77], v[2:3], v[6:7], -v[76:77]
	v_mul_f64 v[8:9], v[2:3], v[8:9]
	v_fmac_f64_e32 v[8:9], v[4:5], v[6:7]
	v_add_f64 v[6:7], v[48:49], v[76:77]
	v_mul_f64 v[48:49], v[4:5], v[12:13]
	v_mul_f64 v[12:13], v[2:3], v[12:13]
	v_fma_f64 v[48:49], v[2:3], v[10:11], -v[48:49]
	v_fmac_f64_e32 v[12:13], v[4:5], v[10:11]
	v_add_f64 v[8:9], v[50:51], v[8:9]
	v_add_f64 v[2:3], v[52:53], v[48:49]
	v_add_f64 v[4:5], v[54:55], v[12:13]
	ds_read_b128 v[10:13], v17 offset:112
	ds_read_b128 v[48:51], v67 offset:3584
	s_waitcnt lgkmcnt(0)
	v_mul_f64 v[52:53], v[12:13], v[50:51]
	v_mul_f64 v[54:55], v[10:11], v[50:51]
	v_fma_f64 v[52:53], v[10:11], v[48:49], -v[52:53]
	v_fmac_f64_e32 v[54:55], v[12:13], v[48:49]
	v_add_f64 v[56:57], v[56:57], v[52:53]
	v_add_f64 v[58:59], v[58:59], v[54:55]
	ds_read_b128 v[52:55], v72 offset:3584
	s_waitcnt lgkmcnt(0)
	v_mul_f64 v[76:77], v[12:13], v[54:55]
	v_fma_f64 v[76:77], v[10:11], v[52:53], -v[76:77]
	v_mul_f64 v[10:11], v[10:11], v[54:55]
	v_fmac_f64_e32 v[10:11], v[12:13], v[52:53]
	v_add_f64 v[62:63], v[62:63], v[10:11]
	ds_read_b128 v[10:13], v17 offset:8304
	v_add_f64 v[60:61], v[60:61], v[76:77]
	s_waitcnt lgkmcnt(0)
	v_mul_f64 v[76:77], v[12:13], v[50:51]
	v_mul_f64 v[50:51], v[10:11], v[50:51]
	v_fma_f64 v[76:77], v[10:11], v[48:49], -v[76:77]
	v_fmac_f64_e32 v[50:51], v[12:13], v[48:49]
	v_add_f64 v[48:49], v[6:7], v[76:77]
	v_add_f64 v[50:51], v[8:9], v[50:51]
	v_mul_f64 v[6:7], v[12:13], v[54:55]
	v_mul_f64 v[8:9], v[10:11], v[54:55]
	v_fma_f64 v[6:7], v[10:11], v[52:53], -v[6:7]
	v_fmac_f64_e32 v[8:9], v[12:13], v[52:53]
	v_add_f64 v[52:53], v[2:3], v[6:7]
	v_add_f64 v[54:55], v[4:5], v[8:9]
	ds_read_b128 v[2:5], v17 offset:128
	ds_read_b128 v[6:9], v67 offset:4096
	;; [unrolled: 62-line block ×13, first 2 shown]
	s_waitcnt lgkmcnt(0)
	v_mul_f64 v[10:11], v[4:5], v[8:9]
	v_mul_f64 v[12:13], v[2:3], v[8:9]
	v_fma_f64 v[10:11], v[2:3], v[6:7], -v[10:11]
	v_fmac_f64_e32 v[12:13], v[4:5], v[6:7]
	v_add_f64 v[56:57], v[56:57], v[10:11]
	v_add_f64 v[58:59], v[58:59], v[12:13]
	ds_read_b128 v[10:13], v72 offset:15360
	s_waitcnt lgkmcnt(0)
	v_mul_f64 v[76:77], v[4:5], v[12:13]
	v_fma_f64 v[76:77], v[2:3], v[10:11], -v[76:77]
	v_mul_f64 v[2:3], v[2:3], v[12:13]
	v_fmac_f64_e32 v[2:3], v[4:5], v[10:11]
	v_add_f64 v[82:83], v[62:63], v[2:3]
	ds_read_b128 v[2:5], v17 offset:8672
	v_add_f64 v[80:81], v[60:61], v[76:77]
	s_waitcnt lgkmcnt(0)
	v_mul_f64 v[60:61], v[4:5], v[8:9]
	v_fma_f64 v[60:61], v[2:3], v[6:7], -v[60:61]
	v_mul_f64 v[8:9], v[2:3], v[8:9]
	v_fmac_f64_e32 v[8:9], v[4:5], v[6:7]
	v_add_f64 v[6:7], v[48:49], v[60:61]
	v_mul_f64 v[48:49], v[4:5], v[12:13]
	v_mul_f64 v[12:13], v[2:3], v[12:13]
	v_fma_f64 v[48:49], v[2:3], v[10:11], -v[48:49]
	v_fmac_f64_e32 v[12:13], v[4:5], v[10:11]
	v_add_f64 v[8:9], v[50:51], v[8:9]
	v_add_f64 v[2:3], v[52:53], v[48:49]
	;; [unrolled: 1-line block ×3, first 2 shown]
	ds_read_b128 v[10:13], v17 offset:496
	ds_read_b128 v[48:51], v67 offset:15872
	;; [unrolled: 1-line block ×3, first 2 shown]
	s_waitcnt lgkmcnt(1)
	v_mul_f64 v[52:53], v[12:13], v[50:51]
	v_fma_f64 v[52:53], v[10:11], v[48:49], -v[52:53]
	v_add_f64 v[60:61], v[56:57], v[52:53]
	s_waitcnt lgkmcnt(0)
	v_mul_f64 v[52:53], v[12:13], v[78:79]
	v_mul_f64 v[54:55], v[10:11], v[50:51]
	v_fma_f64 v[52:53], v[10:11], v[76:77], -v[52:53]
	v_mul_f64 v[10:11], v[10:11], v[78:79]
	v_fmac_f64_e32 v[54:55], v[12:13], v[48:49]
	v_fmac_f64_e32 v[10:11], v[12:13], v[76:77]
	v_add_f64 v[62:63], v[58:59], v[54:55]
	v_add_f64 v[58:59], v[82:83], v[10:11]
	ds_read_b128 v[10:13], v17 offset:8688
	v_add_f64 v[54:55], v[80:81], v[52:53]
	s_waitcnt lgkmcnt(0)
	s_barrier
	v_mul_f64 v[52:53], v[12:13], v[50:51]
	v_fma_f64 v[52:53], v[10:11], v[48:49], -v[52:53]
	v_mul_f64 v[50:51], v[10:11], v[50:51]
	v_add_f64 v[52:53], v[6:7], v[52:53]
	v_mul_f64 v[6:7], v[12:13], v[78:79]
	v_fmac_f64_e32 v[50:51], v[12:13], v[48:49]
	v_fma_f64 v[6:7], v[10:11], v[76:77], -v[6:7]
	v_add_f64 v[56:57], v[8:9], v[50:51]
	v_add_f64 v[50:51], v[2:3], v[6:7]
	v_mov_b32_e32 v2, s47
	v_addc_co_u32_e32 v47, vcc, v47, v2, vcc
	v_add_co_u32_e32 v36, vcc, 0x200, v36
	v_mul_f64 v[8:9], v[10:11], v[78:79]
	v_addc_co_u32_e32 v37, vcc, 0, v37, vcc
	v_fmac_f64_e32 v[8:9], v[12:13], v[76:77]
	v_add_co_u32_e32 v38, vcc, 0x200, v38
	v_add_f64 v[48:49], v[4:5], v[8:9]
	v_addc_co_u32_e32 v39, vcc, 0, v39, vcc
	s_cbranch_scc1 .LBB122_55
.LBB122_7:                              ;   Parent Loop BB122_4 Depth=1
                                        ; =>  This Inner Loop Header: Depth=2
	v_mov_b32_e32 v2, s29
	v_add_co_u32_e32 v4, vcc, s28, v16
	v_addc_co_u32_e32 v5, vcc, 0, v2, vcc
	v_add_co_u32_e32 v6, vcc, v36, v18
	v_addc_co_u32_e32 v7, vcc, 0, v37, vcc
	v_cmp_eq_u64_e32 vcc, s[28:29], v[34:35]
	s_and_b64 s[40:41], s[34:35], vcc
	v_cmp_gt_i64_e32 vcc, v[4:5], v[32:33]
	s_or_b64 s[14:15], s[8:9], vcc
	v_cmp_le_i64_e64 s[12:13], s[42:43], v[4:5]
	s_or_b64 s[14:15], s[14:15], s[40:41]
	s_or_b64 s[14:15], s[12:13], s[14:15]
	s_xor_b64 s[14:15], s[14:15], -1
	s_and_saveexec_b64 s[18:19], s[14:15]
	s_xor_b64 s[14:15], exec, s[18:19]
	s_cbranch_execz .LBB122_9
; %bb.8:                                ;   in Loop: Header=BB122_7 Depth=2
	global_load_dwordx4 v[8:11], v[6:7], off offset:-256
	s_waitcnt vmcnt(0)
	ds_write2_b64 v19, v[8:9], v[10:11] offset1:1
.LBB122_9:                              ;   in Loop: Header=BB122_7 Depth=2
	s_or_saveexec_b64 s[14:15], s[14:15]
	s_xor_b64 s[30:31], s[40:41], -1
	s_xor_b64 exec, exec, s[14:15]
	s_cbranch_execz .LBB122_15
; %bb.10:                               ;   in Loop: Header=BB122_7 Depth=2
	s_and_saveexec_b64 s[18:19], s[30:31]
	s_xor_b64 s[18:19], exec, s[18:19]
	s_cbranch_execz .LBB122_12
; %bb.11:                               ;   in Loop: Header=BB122_7 Depth=2
	v_mov_b32_e32 v8, v0
	v_mov_b32_e32 v9, v0
	;; [unrolled: 1-line block ×4, first 2 shown]
	ds_write_b128 v19, v[8:11]
.LBB122_12:                             ;   in Loop: Header=BB122_7 Depth=2
	s_andn2_saveexec_b64 s[18:19], s[18:19]
	s_cbranch_execz .LBB122_14
; %bb.13:                               ;   in Loop: Header=BB122_7 Depth=2
	v_mov_b32_e32 v2, v0
	v_mov_b32_e32 v3, v0
	ds_write_b128 v19, v[0:3]
.LBB122_14:                             ;   in Loop: Header=BB122_7 Depth=2
	s_or_b64 exec, exec, s[18:19]
.LBB122_15:                             ;   in Loop: Header=BB122_7 Depth=2
	s_or_b64 exec, exec, s[14:15]
	v_add_co_u32_e64 v2, s[14:15], 16, v4
	v_addc_co_u32_e64 v3, s[14:15], 0, v5, s[14:15]
	v_cmp_eq_u64_e64 s[14:15], s[28:29], v[44:45]
	v_cmp_gt_i64_e64 s[18:19], v[2:3], v[32:33]
	s_and_b64 s[50:51], s[34:35], s[14:15]
	s_or_b64 s[18:19], s[8:9], s[18:19]
	v_cmp_le_i64_e64 s[14:15], s[42:43], v[2:3]
	s_or_b64 s[18:19], s[18:19], s[50:51]
	s_or_b64 s[18:19], s[14:15], s[18:19]
	s_xor_b64 s[18:19], s[18:19], -1
	s_and_saveexec_b64 s[56:57], s[18:19]
	s_xor_b64 s[18:19], exec, s[56:57]
	s_cbranch_execz .LBB122_17
; %bb.16:                               ;   in Loop: Header=BB122_7 Depth=2
	global_load_dwordx4 v[6:9], v[6:7], off
	s_waitcnt vmcnt(0)
	ds_write2_b64 v64, v[6:7], v[8:9] offset1:1
.LBB122_17:                             ;   in Loop: Header=BB122_7 Depth=2
	s_andn2_saveexec_b64 s[18:19], s[18:19]
	s_cbranch_execz .LBB122_23
; %bb.18:                               ;   in Loop: Header=BB122_7 Depth=2
	s_xor_b64 s[50:51], s[50:51], -1
	s_and_saveexec_b64 s[56:57], s[50:51]
	s_xor_b64 s[50:51], exec, s[56:57]
	s_cbranch_execz .LBB122_20
; %bb.19:                               ;   in Loop: Header=BB122_7 Depth=2
	v_mov_b32_e32 v6, v0
	v_mov_b32_e32 v7, v0
	;; [unrolled: 1-line block ×4, first 2 shown]
	ds_write_b128 v64, v[6:9]
.LBB122_20:                             ;   in Loop: Header=BB122_7 Depth=2
	s_andn2_saveexec_b64 s[50:51], s[50:51]
	s_cbranch_execz .LBB122_22
; %bb.21:                               ;   in Loop: Header=BB122_7 Depth=2
	v_mov_b32_e32 v2, v0
	v_mov_b32_e32 v3, v0
	ds_write_b128 v64, v[0:3]
.LBB122_22:                             ;   in Loop: Header=BB122_7 Depth=2
	s_or_b64 exec, exec, s[50:51]
.LBB122_23:                             ;   in Loop: Header=BB122_7 Depth=2
	s_or_b64 exec, exec, s[18:19]
	v_cmp_eq_u64_e64 s[18:19], s[28:29], v[42:43]
	s_and_b64 s[50:51], s[34:35], s[18:19]
	v_cmp_gt_i64_e64 s[18:19], v[4:5], v[40:41]
	s_or_b64 s[18:19], s[10:11], s[18:19]
	s_or_b64 s[18:19], s[18:19], s[50:51]
	s_or_b64 s[12:13], s[12:13], s[18:19]
	s_xor_b64 s[12:13], s[12:13], -1
	s_and_saveexec_b64 s[18:19], s[12:13]
	s_xor_b64 s[18:19], exec, s[18:19]
	s_cbranch_execz .LBB122_25
; %bb.24:                               ;   in Loop: Header=BB122_7 Depth=2
	v_add_co_u32_e64 v2, s[12:13], v38, v18
	v_addc_co_u32_e64 v3, s[12:13], 0, v39, s[12:13]
	global_load_dwordx4 v[2:5], v[2:3], off
	s_waitcnt vmcnt(0)
	ds_write2_b64 v65, v[2:3], v[4:5] offset1:1
.LBB122_25:                             ;   in Loop: Header=BB122_7 Depth=2
	s_andn2_saveexec_b64 s[12:13], s[18:19]
	s_cbranch_execz .LBB122_31
; %bb.26:                               ;   in Loop: Header=BB122_7 Depth=2
	s_xor_b64 s[18:19], s[50:51], -1
	s_and_saveexec_b64 s[50:51], s[18:19]
	s_xor_b64 s[18:19], exec, s[50:51]
	s_cbranch_execz .LBB122_28
; %bb.27:                               ;   in Loop: Header=BB122_7 Depth=2
	v_mov_b32_e32 v2, v0
	v_mov_b32_e32 v3, v0
	;; [unrolled: 1-line block ×4, first 2 shown]
	ds_write_b128 v65, v[2:5]
.LBB122_28:                             ;   in Loop: Header=BB122_7 Depth=2
	s_andn2_saveexec_b64 s[18:19], s[18:19]
	s_cbranch_execz .LBB122_30
; %bb.29:                               ;   in Loop: Header=BB122_7 Depth=2
	v_mov_b32_e32 v2, v0
	v_mov_b32_e32 v3, v0
	ds_write_b128 v65, v[0:3]
.LBB122_30:                             ;   in Loop: Header=BB122_7 Depth=2
	s_or_b64 exec, exec, s[18:19]
.LBB122_31:                             ;   in Loop: Header=BB122_7 Depth=2
	s_or_b64 exec, exec, s[12:13]
	s_or_b64 s[12:13], s[10:11], vcc
	s_or_b64 s[12:13], s[12:13], s[40:41]
	s_or_b64 s[12:13], s[14:15], s[12:13]
	s_xor_b64 s[12:13], s[12:13], -1
	s_and_saveexec_b64 s[14:15], s[12:13]
	s_xor_b64 s[12:13], exec, s[14:15]
	s_cbranch_execz .LBB122_33
; %bb.32:                               ;   in Loop: Header=BB122_7 Depth=2
	v_add_co_u32_e32 v2, vcc, v38, v18
	v_addc_co_u32_e32 v3, vcc, 0, v39, vcc
	global_load_dwordx4 v[2:5], v[2:3], off offset:256
	s_waitcnt vmcnt(0)
	ds_write2_b64 v66, v[2:3], v[4:5] offset1:1
.LBB122_33:                             ;   in Loop: Header=BB122_7 Depth=2
	s_andn2_saveexec_b64 s[12:13], s[12:13]
	s_cbranch_execz .LBB122_39
; %bb.34:                               ;   in Loop: Header=BB122_7 Depth=2
	s_and_saveexec_b64 s[14:15], s[30:31]
	s_xor_b64 s[14:15], exec, s[14:15]
	s_cbranch_execz .LBB122_36
; %bb.35:                               ;   in Loop: Header=BB122_7 Depth=2
	v_mov_b32_e32 v2, v0
	v_mov_b32_e32 v3, v0
	;; [unrolled: 1-line block ×4, first 2 shown]
	ds_write_b128 v66, v[2:5]
.LBB122_36:                             ;   in Loop: Header=BB122_7 Depth=2
	s_andn2_saveexec_b64 s[14:15], s[14:15]
	s_cbranch_execz .LBB122_38
; %bb.37:                               ;   in Loop: Header=BB122_7 Depth=2
	v_mov_b32_e32 v2, v0
	v_mov_b32_e32 v3, v0
	ds_write_b128 v66, v[0:3]
.LBB122_38:                             ;   in Loop: Header=BB122_7 Depth=2
	s_or_b64 exec, exec, s[14:15]
.LBB122_39:                             ;   in Loop: Header=BB122_7 Depth=2
	s_or_b64 exec, exec, s[12:13]
	v_mov_b32_e32 v3, s29
	v_add_co_u32_e32 v2, vcc, s28, v14
	v_addc_co_u32_e32 v3, vcc, 0, v3, vcc
	v_add_co_u32_e32 v4, vcc, v46, v24
	v_addc_co_u32_e32 v5, vcc, v47, v25, vcc
	v_cmp_le_i64_e32 vcc, s[42:43], v[2:3]
	s_or_b64 s[12:13], vcc, s[0:1]
	s_xor_b64 s[12:13], s[12:13], -1
	s_and_saveexec_b64 s[14:15], s[12:13]
	s_xor_b64 s[12:13], exec, s[14:15]
	s_cbranch_execz .LBB122_41
; %bb.40:                               ;   in Loop: Header=BB122_7 Depth=2
	global_load_dwordx4 v[6:9], v[4:5], off offset:-256
	s_waitcnt vmcnt(0)
	ds_write2_b64 v68, v[6:7], v[8:9] offset1:1
.LBB122_41:                             ;   in Loop: Header=BB122_7 Depth=2
	s_andn2_saveexec_b64 s[12:13], s[12:13]
	s_cbranch_execz .LBB122_43
; %bb.42:                               ;   in Loop: Header=BB122_7 Depth=2
	v_mov_b32_e32 v6, v0
	v_mov_b32_e32 v7, v0
	;; [unrolled: 1-line block ×4, first 2 shown]
	ds_write_b128 v68, v[6:9]
.LBB122_43:                             ;   in Loop: Header=BB122_7 Depth=2
	s_or_b64 exec, exec, s[12:13]
	s_or_b64 s[12:13], vcc, s[2:3]
	s_xor_b64 s[12:13], s[12:13], -1
	s_and_saveexec_b64 s[14:15], s[12:13]
	s_xor_b64 s[12:13], exec, s[14:15]
	s_cbranch_execz .LBB122_45
; %bb.44:                               ;   in Loop: Header=BB122_7 Depth=2
	global_load_dwordx4 v[4:7], v[4:5], off
	s_waitcnt vmcnt(0)
	ds_write2_b64 v69, v[4:5], v[6:7] offset1:1
.LBB122_45:                             ;   in Loop: Header=BB122_7 Depth=2
	s_andn2_saveexec_b64 s[12:13], s[12:13]
	s_cbranch_execz .LBB122_47
; %bb.46:                               ;   in Loop: Header=BB122_7 Depth=2
	v_mov_b32_e32 v4, v0
	v_mov_b32_e32 v5, v0
	;; [unrolled: 1-line block ×4, first 2 shown]
	ds_write_b128 v69, v[4:7]
.LBB122_47:                             ;   in Loop: Header=BB122_7 Depth=2
	s_or_b64 exec, exec, s[12:13]
	v_cmp_le_i64_e32 vcc, s[48:49], v[2:3]
	s_or_b64 s[12:13], vcc, s[0:1]
	s_xor_b64 s[12:13], s[12:13], -1
	s_and_saveexec_b64 s[14:15], s[12:13]
	s_xor_b64 s[14:15], exec, s[14:15]
	s_cbranch_execz .LBB122_49
; %bb.48:                               ;   in Loop: Header=BB122_7 Depth=2
	v_add_co_u32_e64 v2, s[12:13], v46, v30
	v_addc_co_u32_e64 v3, s[12:13], v47, v15, s[12:13]
	global_load_dwordx4 v[2:5], v[2:3], off offset:-256
	s_waitcnt vmcnt(0)
	ds_write2_b64 v70, v[2:3], v[4:5] offset1:1
.LBB122_49:                             ;   in Loop: Header=BB122_7 Depth=2
	s_andn2_saveexec_b64 s[12:13], s[14:15]
	s_cbranch_execz .LBB122_51
; %bb.50:                               ;   in Loop: Header=BB122_7 Depth=2
	v_mov_b32_e32 v2, v0
	v_mov_b32_e32 v3, v0
	;; [unrolled: 1-line block ×4, first 2 shown]
	ds_write_b128 v70, v[2:5]
.LBB122_51:                             ;   in Loop: Header=BB122_7 Depth=2
	s_or_b64 exec, exec, s[12:13]
	s_or_b64 s[12:13], vcc, s[2:3]
	s_xor_b64 s[12:13], s[12:13], -1
	s_and_saveexec_b64 s[14:15], s[12:13]
	s_xor_b64 s[12:13], exec, s[14:15]
	s_cbranch_execz .LBB122_53
; %bb.52:                               ;   in Loop: Header=BB122_7 Depth=2
	v_add_co_u32_e32 v2, vcc, v46, v30
	v_addc_co_u32_e32 v3, vcc, v47, v15, vcc
	global_load_dwordx4 v[2:5], v[2:3], off
	s_waitcnt vmcnt(0)
	ds_write2_b64 v71, v[2:3], v[4:5] offset1:1
.LBB122_53:                             ;   in Loop: Header=BB122_7 Depth=2
	s_andn2_saveexec_b64 s[12:13], s[12:13]
	s_cbranch_execz .LBB122_6
; %bb.54:                               ;   in Loop: Header=BB122_7 Depth=2
	v_mov_b32_e32 v2, v0
	v_mov_b32_e32 v3, v0
	;; [unrolled: 1-line block ×4, first 2 shown]
	ds_write_b128 v71, v[2:5]
	s_branch .LBB122_6
.LBB122_55:                             ;   in Loop: Header=BB122_4 Depth=1
	v_mul_lo_u32 v4, v33, s44
	v_mul_lo_u32 v5, v32, s45
	v_mad_u64_u32 v[2:3], s[8:9], v32, s44, 0
	v_add3_u32 v3, v3, v5, v4
	v_lshlrev_b64 v[2:3], 4, v[2:3]
	v_mov_b32_e32 v4, s54
	v_add_co_u32_e64 v2, s[8:9], s53, v2
	v_cmp_gt_i32_e32 vcc, s42, v32
	v_addc_co_u32_e64 v3, s[8:9], v4, v3, s[8:9]
	s_and_b64 s[8:9], s[4:5], vcc
	s_and_saveexec_b64 s[10:11], s[8:9]
	s_cbranch_execz .LBB122_57
; %bb.56:                               ;   in Loop: Header=BB122_4 Depth=1
	v_add_co_u32_e64 v8, s[8:9], v2, v26
	v_addc_co_u32_e64 v9, s[8:9], v3, v27, s[8:9]
	global_load_dwordx4 v[4:7], v[8:9], off
	v_mul_f64 v[10:11], s[38:39], v[62:63]
	v_mul_f64 v[12:13], s[36:37], v[62:63]
	v_fma_f64 v[10:11], s[36:37], v[60:61], -v[10:11]
	v_fmac_f64_e32 v[12:13], s[38:39], v[60:61]
	s_waitcnt vmcnt(0)
	v_add_f64 v[4:5], v[4:5], v[10:11]
	v_add_f64 v[6:7], v[6:7], v[12:13]
	global_store_dwordx4 v[8:9], v[4:7], off
.LBB122_57:                             ;   in Loop: Header=BB122_4 Depth=1
	s_or_b64 exec, exec, s[10:11]
	s_and_b64 s[10:11], s[16:17], vcc
	s_and_saveexec_b64 s[8:9], s[10:11]
	s_cbranch_execz .LBB122_59
; %bb.58:                               ;   in Loop: Header=BB122_4 Depth=1
	v_lshlrev_b64 v[4:5], 4, v[20:21]
	v_add_co_u32_e32 v6, vcc, v2, v4
	v_addc_co_u32_e32 v7, vcc, v3, v5, vcc
	global_load_dwordx4 v[2:5], v[6:7], off
	v_mul_f64 v[8:9], s[38:39], v[58:59]
	v_mul_f64 v[10:11], s[36:37], v[58:59]
	v_fma_f64 v[8:9], s[36:37], v[54:55], -v[8:9]
	v_fmac_f64_e32 v[10:11], s[38:39], v[54:55]
	s_waitcnt vmcnt(0)
	v_add_f64 v[2:3], v[2:3], v[8:9]
	v_add_f64 v[4:5], v[4:5], v[10:11]
	global_store_dwordx4 v[6:7], v[2:5], off
.LBB122_59:                             ;   in Loop: Header=BB122_4 Depth=1
	s_or_b64 exec, exec, s[8:9]
	v_add_u32_e32 v2, 16, v32
	v_ashrrev_i32_e32 v3, 31, v2
	v_cmp_gt_i32_e32 vcc, s42, v2
	v_mul_lo_u32 v4, v3, s44
	v_mul_lo_u32 v5, v2, s45
	v_mad_u64_u32 v[2:3], s[8:9], v2, s44, 0
	v_add3_u32 v3, v3, v5, v4
	v_lshlrev_b64 v[2:3], 4, v[2:3]
	v_mov_b32_e32 v4, s54
	v_add_co_u32_e64 v2, s[8:9], s53, v2
	v_addc_co_u32_e64 v3, s[8:9], v4, v3, s[8:9]
	s_and_b64 s[8:9], s[4:5], vcc
	s_and_saveexec_b64 s[10:11], s[8:9]
	s_cbranch_execz .LBB122_61
; %bb.60:                               ;   in Loop: Header=BB122_4 Depth=1
	v_add_co_u32_e64 v8, s[8:9], v2, v26
	v_addc_co_u32_e64 v9, s[8:9], v3, v27, s[8:9]
	global_load_dwordx4 v[4:7], v[8:9], off
	v_mul_f64 v[10:11], s[38:39], v[56:57]
	v_mul_f64 v[12:13], s[36:37], v[56:57]
	v_fma_f64 v[10:11], s[36:37], v[52:53], -v[10:11]
	v_fmac_f64_e32 v[12:13], s[38:39], v[52:53]
	s_waitcnt vmcnt(0)
	v_add_f64 v[4:5], v[4:5], v[10:11]
	v_add_f64 v[6:7], v[6:7], v[12:13]
	global_store_dwordx4 v[8:9], v[4:7], off
.LBB122_61:                             ;   in Loop: Header=BB122_4 Depth=1
	s_or_b64 exec, exec, s[10:11]
	s_and_b64 s[10:11], s[16:17], vcc
	s_and_saveexec_b64 s[8:9], s[10:11]
	s_cbranch_execz .LBB122_3
; %bb.62:                               ;   in Loop: Header=BB122_4 Depth=1
	v_lshlrev_b64 v[4:5], 4, v[20:21]
	v_add_co_u32_e32 v6, vcc, v2, v4
	v_addc_co_u32_e32 v7, vcc, v3, v5, vcc
	global_load_dwordx4 v[2:5], v[6:7], off
	v_mul_f64 v[8:9], s[38:39], v[48:49]
	v_mul_f64 v[10:11], s[36:37], v[48:49]
	v_fma_f64 v[8:9], s[36:37], v[50:51], -v[8:9]
	v_fmac_f64_e32 v[10:11], s[38:39], v[50:51]
	s_waitcnt vmcnt(0)
	v_add_f64 v[2:3], v[2:3], v[8:9]
	v_add_f64 v[4:5], v[4:5], v[10:11]
	global_store_dwordx4 v[6:7], v[2:5], off
	s_branch .LBB122_3
.LBB122_63:
	s_endpgm
	.section	.rodata,"a",@progbits
	.p2align	6, 0x0
	.amdhsa_kernel _ZL30rocblas_trmm_outofplace_kernelI19rocblas_complex_numIdELi32ELi2ELb0ELb1ELb0ELb0EPKS1_S2_S1_Ev17rocblas_diagonal_iiT6_lPT7_lllS7_lllPT8_llli
		.amdhsa_group_segment_fixed_size 32768
		.amdhsa_private_segment_fixed_size 0
		.amdhsa_kernarg_size 392
		.amdhsa_user_sgpr_count 6
		.amdhsa_user_sgpr_private_segment_buffer 1
		.amdhsa_user_sgpr_dispatch_ptr 0
		.amdhsa_user_sgpr_queue_ptr 0
		.amdhsa_user_sgpr_kernarg_segment_ptr 1
		.amdhsa_user_sgpr_dispatch_id 0
		.amdhsa_user_sgpr_flat_scratch_init 0
		.amdhsa_user_sgpr_kernarg_preload_length 0
		.amdhsa_user_sgpr_kernarg_preload_offset 0
		.amdhsa_user_sgpr_private_segment_size 0
		.amdhsa_uses_dynamic_stack 0
		.amdhsa_system_sgpr_private_segment_wavefront_offset 0
		.amdhsa_system_sgpr_workgroup_id_x 1
		.amdhsa_system_sgpr_workgroup_id_y 1
		.amdhsa_system_sgpr_workgroup_id_z 1
		.amdhsa_system_sgpr_workgroup_info 0
		.amdhsa_system_vgpr_workitem_id 1
		.amdhsa_next_free_vgpr 92
		.amdhsa_next_free_sgpr 58
		.amdhsa_accum_offset 92
		.amdhsa_reserve_vcc 1
		.amdhsa_reserve_flat_scratch 0
		.amdhsa_float_round_mode_32 0
		.amdhsa_float_round_mode_16_64 0
		.amdhsa_float_denorm_mode_32 3
		.amdhsa_float_denorm_mode_16_64 3
		.amdhsa_dx10_clamp 1
		.amdhsa_ieee_mode 1
		.amdhsa_fp16_overflow 0
		.amdhsa_tg_split 0
		.amdhsa_exception_fp_ieee_invalid_op 0
		.amdhsa_exception_fp_denorm_src 0
		.amdhsa_exception_fp_ieee_div_zero 0
		.amdhsa_exception_fp_ieee_overflow 0
		.amdhsa_exception_fp_ieee_underflow 0
		.amdhsa_exception_fp_ieee_inexact 0
		.amdhsa_exception_int_div_zero 0
	.end_amdhsa_kernel
	.section	.text._ZL30rocblas_trmm_outofplace_kernelI19rocblas_complex_numIdELi32ELi2ELb0ELb1ELb0ELb0EPKS1_S2_S1_Ev17rocblas_diagonal_iiT6_lPT7_lllS7_lllPT8_llli,"axG",@progbits,_ZL30rocblas_trmm_outofplace_kernelI19rocblas_complex_numIdELi32ELi2ELb0ELb1ELb0ELb0EPKS1_S2_S1_Ev17rocblas_diagonal_iiT6_lPT7_lllS7_lllPT8_llli,comdat
.Lfunc_end122:
	.size	_ZL30rocblas_trmm_outofplace_kernelI19rocblas_complex_numIdELi32ELi2ELb0ELb1ELb0ELb0EPKS1_S2_S1_Ev17rocblas_diagonal_iiT6_lPT7_lllS7_lllPT8_llli, .Lfunc_end122-_ZL30rocblas_trmm_outofplace_kernelI19rocblas_complex_numIdELi32ELi2ELb0ELb1ELb0ELb0EPKS1_S2_S1_Ev17rocblas_diagonal_iiT6_lPT7_lllS7_lllPT8_llli
                                        ; -- End function
	.section	.AMDGPU.csdata,"",@progbits
; Kernel info:
; codeLenInByte = 9584
; NumSgprs: 62
; NumVgprs: 92
; NumAgprs: 0
; TotalNumVgprs: 92
; ScratchSize: 0
; MemoryBound: 0
; FloatMode: 240
; IeeeMode: 1
; LDSByteSize: 32768 bytes/workgroup (compile time only)
; SGPRBlocks: 7
; VGPRBlocks: 11
; NumSGPRsForWavesPerEU: 62
; NumVGPRsForWavesPerEU: 92
; AccumOffset: 92
; Occupancy: 5
; WaveLimiterHint : 0
; COMPUTE_PGM_RSRC2:SCRATCH_EN: 0
; COMPUTE_PGM_RSRC2:USER_SGPR: 6
; COMPUTE_PGM_RSRC2:TRAP_HANDLER: 0
; COMPUTE_PGM_RSRC2:TGID_X_EN: 1
; COMPUTE_PGM_RSRC2:TGID_Y_EN: 1
; COMPUTE_PGM_RSRC2:TGID_Z_EN: 1
; COMPUTE_PGM_RSRC2:TIDIG_COMP_CNT: 1
; COMPUTE_PGM_RSRC3_GFX90A:ACCUM_OFFSET: 22
; COMPUTE_PGM_RSRC3_GFX90A:TG_SPLIT: 0
	.section	.text._ZL30rocblas_trmm_outofplace_kernelI19rocblas_complex_numIdELi32ELi2ELb0ELb1ELb0ELb0ES1_KS1_S1_Ev17rocblas_diagonal_iiT6_lPT7_lllS6_lllPT8_llli,"axG",@progbits,_ZL30rocblas_trmm_outofplace_kernelI19rocblas_complex_numIdELi32ELi2ELb0ELb1ELb0ELb0ES1_KS1_S1_Ev17rocblas_diagonal_iiT6_lPT7_lllS6_lllPT8_llli,comdat
	.globl	_ZL30rocblas_trmm_outofplace_kernelI19rocblas_complex_numIdELi32ELi2ELb0ELb1ELb0ELb0ES1_KS1_S1_Ev17rocblas_diagonal_iiT6_lPT7_lllS6_lllPT8_llli ; -- Begin function _ZL30rocblas_trmm_outofplace_kernelI19rocblas_complex_numIdELi32ELi2ELb0ELb1ELb0ELb0ES1_KS1_S1_Ev17rocblas_diagonal_iiT6_lPT7_lllS6_lllPT8_llli
	.p2align	8
	.type	_ZL30rocblas_trmm_outofplace_kernelI19rocblas_complex_numIdELi32ELi2ELb0ELb1ELb0ELb0ES1_KS1_S1_Ev17rocblas_diagonal_iiT6_lPT7_lllS6_lllPT8_llli,@function
_ZL30rocblas_trmm_outofplace_kernelI19rocblas_complex_numIdELi32ELi2ELb0ELb1ELb0ELb0ES1_KS1_S1_Ev17rocblas_diagonal_iiT6_lPT7_lllS6_lllPT8_llli: ; @_ZL30rocblas_trmm_outofplace_kernelI19rocblas_complex_numIdELi32ELi2ELb0ELb1ELb0ELb0ES1_KS1_S1_Ev17rocblas_diagonal_iiT6_lPT7_lllS6_lllPT8_llli
; %bb.0:
	s_load_dwordx4 s[24:27], s[4:5], 0x10
	s_waitcnt lgkmcnt(0)
	v_cmp_eq_f64_e64 s[0:1], s[24:25], 0
	v_cmp_eq_f64_e64 s[2:3], s[26:27], 0
	s_and_b64 s[0:1], s[0:1], s[2:3]
	s_and_b64 vcc, exec, s[0:1]
	s_cbranch_vccnz .LBB123_63
; %bb.1:
	s_load_dwordx4 s[28:31], s[4:5], 0x0
	s_waitcnt lgkmcnt(0)
	s_add_i32 s0, s30, -1
	s_ashr_i32 s1, s0, 31
	s_lshr_b32 s1, s1, 27
	s_add_i32 s0, s0, s1
	s_ashr_i32 s33, s0, 5
	s_cmp_gt_i32 s7, s33
	s_cbranch_scc1 .LBB123_63
; %bb.2:
	s_load_dwordx8 s[16:23], s[4:5], 0x68
	s_load_dwordx16 s[36:51], s[4:5], 0x28
	v_and_b32_e32 v16, 0x3ff, v0
	v_lshl_add_u32 v2, s6, 5, v16
	v_ashrrev_i32_e32 v3, 31, v2
	s_waitcnt lgkmcnt(0)
	s_mul_i32 s1, s8, s23
	s_mul_hi_u32 s2, s8, s22
	s_mul_i32 s0, s8, s22
	s_add_i32 s1, s2, s1
	s_lshl_b64 s[0:1], s[0:1], 4
	s_add_u32 s2, s16, s0
	s_addc_u32 s3, s17, s1
	s_lshl_b64 s[0:1], s[18:19], 4
	s_add_u32 s54, s2, s0
	s_addc_u32 s55, s3, s1
	s_cmpk_eq_i32 s28, 0x84
	s_cselect_b64 s[22:23], -1, 0
	s_ashr_i32 s0, s29, 31
	v_mov_b32_e32 v1, s0
	v_sub_co_u32_e32 v4, vcc, s29, v2
	v_bfe_u32 v14, v0, 10, 10
	v_subb_co_u32_e32 v5, vcc, v1, v3, vcc
	s_load_dword s6, s[4:5], 0x94
	v_cmp_gt_i64_e64 s[0:1], 1, v[4:5]
	v_cmp_gt_i64_e64 s[2:3], 17, v[4:5]
	v_mad_u64_u32 v[4:5], s[10:11], s48, v14, 0
	v_sub_co_u32_e32 v73, vcc, 0, v16
	v_mov_b32_e32 v6, v5
	s_ashr_i32 s31, s30, 31
	s_lshl_b64 s[34:35], s[48:49], 9
	v_subb_co_u32_e64 v74, s[10:11], 0, 0, vcc
	v_mad_u64_u32 v[6:7], s[10:11], s49, v14, v[6:7]
	s_add_u32 s52, s30, -16
	s_mul_i32 s10, s51, s8
	s_mul_hi_u32 s11, s50, s8
	s_addc_u32 s53, s31, -1
	s_add_i32 s11, s11, s10
	s_mul_i32 s10, s50, s8
	s_waitcnt lgkmcnt(0)
	s_lshl_b32 s56, s6, 5
	s_lshl_b64 s[10:11], s[10:11], 4
	s_lshl_b64 s[12:13], s[46:47], 4
	s_add_u32 s10, s10, s12
	s_addc_u32 s11, s11, s13
	s_add_u32 s10, s44, s10
	v_lshlrev_b64 v[26:27], 4, v[2:3]
	s_addc_u32 s11, s45, s11
	v_cmp_gt_i32_e64 s[4:5], s29, v2
	v_add_u32_e32 v20, 16, v2
	v_mov_b32_e32 v1, s11
	v_add_co_u32_e32 v2, vcc, s10, v26
	s_movk_i32 s9, 0x100
	v_addc_co_u32_e32 v1, vcc, v1, v27, vcc
	v_add_co_u32_e32 v28, vcc, s9, v2
	s_mul_i32 s9, s43, s8
	s_mul_hi_u32 s10, s42, s8
	s_add_i32 s9, s10, s9
	s_mul_i32 s8, s42, s8
	s_lshl_b64 s[8:9], s[8:9], 4
	s_lshl_b64 s[10:11], s[38:39], 4
	s_add_u32 s8, s8, s10
	v_addc_co_u32_e32 v29, vcc, 0, v1, vcc
	s_addc_u32 s9, s9, s11
	v_mov_b32_e32 v1, 0x100
	s_add_u32 s28, s36, s8
	v_lshl_add_u32 v1, v14, 4, v1
	v_lshlrev_b32_e32 v18, 4, v16
	v_cmp_gt_i32_e64 s[16:17], s29, v20
	s_addc_u32 s29, s37, s9
	v_mad_u64_u32 v[30:31], s[8:9], s48, v1, 0
	v_lshlrev_b32_e32 v17, 9, v14
	v_or_b32_e32 v67, 0x4000, v18
	v_mov_b32_e32 v2, v31
	v_add_u32_e32 v19, v17, v18
	v_add_u32_e32 v68, v67, v17
	v_mov_b32_e32 v5, v6
	s_add_u32 s36, s28, 0x100
	v_mad_u64_u32 v[2:3], s[8:9], s49, v1, v[2:3]
	v_mov_b32_e32 v0, 0
	v_add_u32_e32 v64, 0x100, v19
	v_add_u32_e32 v65, 0x2000, v19
	;; [unrolled: 1-line block ×6, first 2 shown]
	v_ashrrev_i32_e32 v21, 31, v20
	v_add_u32_e32 v72, 0x4100, v18
	v_lshl_add_u32 v22, s7, 5, v14
	v_lshlrev_b64 v[24:25], 4, v[4:5]
	s_addc_u32 s37, s29, 0
	s_lshl_b64 s[38:39], s[40:41], 4
	v_mov_b32_e32 v15, v2
	v_mov_b32_e32 v1, 0x3ff00000
	s_branch .LBB123_4
.LBB123_3:                              ;   in Loop: Header=BB123_4 Depth=1
	s_or_b64 exec, exec, s[8:9]
	s_add_i32 s7, s6, s7
	s_cmp_le_i32 s7, s33
	v_add_u32_e32 v22, s56, v22
	s_cbranch_scc0 .LBB123_63
.LBB123_4:                              ; =>This Loop Header: Depth=1
                                        ;     Child Loop BB123_7 Depth 2
	s_lshl_b32 s50, s7, 5
	v_add_u32_e32 v32, s50, v14
	v_pk_mov_b32 v[60:61], 0, 0
	v_ashrrev_i32_e32 v33, 31, v32
	s_cmp_lt_i32 s7, 0
	v_pk_mov_b32 v[62:63], v[60:61], v[60:61] op_sel:[0,1]
	v_pk_mov_b32 v[54:55], v[60:61], v[60:61] op_sel:[0,1]
	;; [unrolled: 1-line block ×7, first 2 shown]
	s_cbranch_scc1 .LBB123_55
; %bb.5:                                ;   in Loop: Header=BB123_4 Depth=1
	v_ashrrev_i32_e32 v23, 31, v22
	v_pk_mov_b32 v[2:3], s[36:37], s[36:37] op_sel:[0,1]
	v_add_co_u32_e32 v34, vcc, v73, v22
	v_mad_u64_u32 v[36:37], s[8:9], s38, v22, v[2:3]
	v_mul_lo_u32 v2, s39, v22
	v_mul_lo_u32 v3, s38, v23
	v_addc_co_u32_e32 v35, vcc, v74, v23, vcc
	v_add3_u32 v37, v2, v37, v3
	v_lshlrev_b64 v[2:3], 4, v[22:23]
	v_add_co_u32_e32 v4, vcc, 0x100, v2
	v_addc_co_u32_e32 v2, vcc, 0, v3, vcc
	v_add_co_u32_e32 v40, vcc, 16, v32
	v_addc_co_u32_e32 v41, vcc, 0, v33, vcc
	v_add_co_u32_e32 v42, vcc, 16, v34
	v_mul_lo_u32 v5, s40, v2
	v_pk_mov_b32 v[2:3], s[28:29], s[28:29] op_sel:[0,1]
	v_addc_co_u32_e32 v43, vcc, 0, v35, vcc
	v_mul_lo_u32 v6, s41, v4
	v_mad_u64_u32 v[38:39], s[8:9], s40, v4, v[2:3]
	v_add_co_u32_e32 v44, vcc, -16, v34
	v_pk_mov_b32 v[48:49], 0, 0
	v_add3_u32 v39, v6, v39, v5
	v_cmp_le_i32_e64 s[8:9], s30, v32
	v_cmp_le_i64_e64 s[10:11], s[30:31], v[40:41]
	v_addc_co_u32_e32 v45, vcc, -1, v35, vcc
	s_mov_b64 s[42:43], 0
	v_pk_mov_b32 v[46:47], v[28:29], v[28:29] op_sel:[0,1]
	v_pk_mov_b32 v[50:51], v[48:49], v[48:49] op_sel:[0,1]
	;; [unrolled: 1-line block ×8, first 2 shown]
	s_branch .LBB123_7
.LBB123_6:                              ;   in Loop: Header=BB123_7 Depth=2
	s_or_b64 exec, exec, s[12:13]
	s_waitcnt lgkmcnt(0)
	s_barrier
	ds_read_b128 v[76:79], v17
	ds_read_b128 v[10:13], v17 offset:16
	ds_read_b128 v[6:9], v17 offset:32
	;; [unrolled: 1-line block ×3, first 2 shown]
	ds_read_b128 v[80:83], v67
	v_add_co_u32_e32 v46, vcc, s34, v46
	s_add_u32 s42, s42, 32
	s_addc_u32 s43, s43, 0
	s_waitcnt lgkmcnt(0)
	v_mul_f64 v[84:85], v[78:79], v[82:83]
	v_mul_f64 v[86:87], v[76:77], v[82:83]
	v_fma_f64 v[84:85], v[76:77], v[80:81], -v[84:85]
	v_fmac_f64_e32 v[86:87], v[78:79], v[80:81]
	v_add_f64 v[84:85], v[60:61], v[84:85]
	v_add_f64 v[86:87], v[62:63], v[86:87]
	ds_read_b128 v[60:63], v72
	s_sub_i32 s12, s42, 32
	s_cmp_ge_i32 s12, s50
	s_waitcnt lgkmcnt(0)
	v_mul_f64 v[88:89], v[78:79], v[62:63]
	v_fma_f64 v[88:89], v[76:77], v[60:61], -v[88:89]
	v_mul_f64 v[76:77], v[76:77], v[62:63]
	v_fmac_f64_e32 v[76:77], v[78:79], v[60:61]
	v_add_f64 v[90:91], v[58:59], v[76:77]
	ds_read_b128 v[76:79], v17 offset:8192
	v_add_f64 v[88:89], v[54:55], v[88:89]
	s_waitcnt lgkmcnt(0)
	v_mul_f64 v[54:55], v[78:79], v[82:83]
	v_mul_f64 v[58:59], v[76:77], v[82:83]
	v_fma_f64 v[54:55], v[76:77], v[80:81], -v[54:55]
	v_fmac_f64_e32 v[58:59], v[78:79], v[80:81]
	v_add_f64 v[52:53], v[52:53], v[54:55]
	v_add_f64 v[54:55], v[56:57], v[58:59]
	v_mul_f64 v[56:57], v[78:79], v[62:63]
	v_mul_f64 v[58:59], v[76:77], v[62:63]
	v_fma_f64 v[56:57], v[76:77], v[60:61], -v[56:57]
	v_fmac_f64_e32 v[58:59], v[78:79], v[60:61]
	v_add_f64 v[50:51], v[50:51], v[56:57]
	v_add_f64 v[48:49], v[48:49], v[58:59]
	ds_read_b128 v[56:59], v67 offset:512
	s_waitcnt lgkmcnt(0)
	v_mul_f64 v[60:61], v[12:13], v[58:59]
	v_mul_f64 v[62:63], v[10:11], v[58:59]
	v_fma_f64 v[60:61], v[10:11], v[56:57], -v[60:61]
	v_fmac_f64_e32 v[62:63], v[12:13], v[56:57]
	v_add_f64 v[76:77], v[84:85], v[60:61]
	v_add_f64 v[78:79], v[86:87], v[62:63]
	ds_read_b128 v[60:63], v72 offset:512
	s_waitcnt lgkmcnt(0)
	v_mul_f64 v[80:81], v[12:13], v[62:63]
	v_fma_f64 v[80:81], v[10:11], v[60:61], -v[80:81]
	v_mul_f64 v[10:11], v[10:11], v[62:63]
	v_fmac_f64_e32 v[10:11], v[12:13], v[60:61]
	v_add_f64 v[82:83], v[90:91], v[10:11]
	ds_read_b128 v[10:13], v17 offset:8208
	v_add_f64 v[80:81], v[88:89], v[80:81]
	s_waitcnt lgkmcnt(0)
	v_mul_f64 v[84:85], v[12:13], v[58:59]
	v_mul_f64 v[58:59], v[10:11], v[58:59]
	v_fma_f64 v[84:85], v[10:11], v[56:57], -v[84:85]
	v_fmac_f64_e32 v[58:59], v[12:13], v[56:57]
	v_mul_f64 v[56:57], v[12:13], v[62:63]
	v_fma_f64 v[56:57], v[10:11], v[60:61], -v[56:57]
	v_mul_f64 v[10:11], v[10:11], v[62:63]
	v_fmac_f64_e32 v[10:11], v[12:13], v[60:61]
	v_add_f64 v[54:55], v[54:55], v[58:59]
	v_add_f64 v[58:59], v[48:49], v[10:11]
	ds_read_b128 v[10:13], v67 offset:1024
	v_add_f64 v[56:57], v[50:51], v[56:57]
	v_add_f64 v[52:53], v[52:53], v[84:85]
	s_waitcnt lgkmcnt(0)
	v_mul_f64 v[48:49], v[8:9], v[12:13]
	v_mul_f64 v[50:51], v[6:7], v[12:13]
	v_fma_f64 v[48:49], v[6:7], v[10:11], -v[48:49]
	v_fmac_f64_e32 v[50:51], v[8:9], v[10:11]
	v_add_f64 v[60:61], v[76:77], v[48:49]
	v_add_f64 v[62:63], v[78:79], v[50:51]
	ds_read_b128 v[48:51], v72 offset:1024
	s_waitcnt lgkmcnt(0)
	v_mul_f64 v[76:77], v[8:9], v[50:51]
	v_fma_f64 v[76:77], v[6:7], v[48:49], -v[76:77]
	v_mul_f64 v[6:7], v[6:7], v[50:51]
	v_fmac_f64_e32 v[6:7], v[8:9], v[48:49]
	v_add_f64 v[78:79], v[82:83], v[6:7]
	ds_read_b128 v[6:9], v17 offset:8224
	v_add_f64 v[76:77], v[80:81], v[76:77]
	s_waitcnt lgkmcnt(0)
	v_mul_f64 v[80:81], v[8:9], v[12:13]
	v_fma_f64 v[80:81], v[6:7], v[10:11], -v[80:81]
	v_mul_f64 v[12:13], v[6:7], v[12:13]
	v_fmac_f64_e32 v[12:13], v[8:9], v[10:11]
	v_add_f64 v[10:11], v[52:53], v[80:81]
	v_mul_f64 v[52:53], v[8:9], v[50:51]
	v_mul_f64 v[50:51], v[6:7], v[50:51]
	v_fmac_f64_e32 v[50:51], v[8:9], v[48:49]
	v_fma_f64 v[52:53], v[6:7], v[48:49], -v[52:53]
	v_add_f64 v[8:9], v[58:59], v[50:51]
	ds_read_b128 v[48:51], v67 offset:1536
	v_add_f64 v[12:13], v[54:55], v[12:13]
	v_add_f64 v[6:7], v[56:57], v[52:53]
	s_waitcnt lgkmcnt(0)
	v_mul_f64 v[52:53], v[4:5], v[50:51]
	v_mul_f64 v[54:55], v[2:3], v[50:51]
	v_fma_f64 v[52:53], v[2:3], v[48:49], -v[52:53]
	v_fmac_f64_e32 v[54:55], v[4:5], v[48:49]
	v_add_f64 v[56:57], v[60:61], v[52:53]
	v_add_f64 v[58:59], v[62:63], v[54:55]
	ds_read_b128 v[52:55], v72 offset:1536
	s_waitcnt lgkmcnt(0)
	v_mul_f64 v[60:61], v[4:5], v[54:55]
	v_fma_f64 v[60:61], v[2:3], v[52:53], -v[60:61]
	v_mul_f64 v[2:3], v[2:3], v[54:55]
	v_fmac_f64_e32 v[2:3], v[4:5], v[52:53]
	v_add_f64 v[62:63], v[78:79], v[2:3]
	ds_read_b128 v[2:5], v17 offset:8240
	v_add_f64 v[60:61], v[76:77], v[60:61]
	s_waitcnt lgkmcnt(0)
	v_mul_f64 v[76:77], v[4:5], v[50:51]
	v_fma_f64 v[76:77], v[2:3], v[48:49], -v[76:77]
	v_mul_f64 v[50:51], v[2:3], v[50:51]
	v_fmac_f64_e32 v[50:51], v[4:5], v[48:49]
	v_add_f64 v[48:49], v[10:11], v[76:77]
	v_mul_f64 v[10:11], v[4:5], v[54:55]
	v_fma_f64 v[10:11], v[2:3], v[52:53], -v[10:11]
	v_mul_f64 v[2:3], v[2:3], v[54:55]
	v_fmac_f64_e32 v[2:3], v[4:5], v[52:53]
	v_add_f64 v[52:53], v[6:7], v[10:11]
	v_add_f64 v[54:55], v[8:9], v[2:3]
	ds_read_b128 v[2:5], v17 offset:64
	ds_read_b128 v[6:9], v67 offset:2048
	v_add_f64 v[50:51], v[12:13], v[50:51]
	s_waitcnt lgkmcnt(0)
	v_mul_f64 v[10:11], v[4:5], v[8:9]
	v_mul_f64 v[12:13], v[2:3], v[8:9]
	v_fma_f64 v[10:11], v[2:3], v[6:7], -v[10:11]
	v_fmac_f64_e32 v[12:13], v[4:5], v[6:7]
	v_add_f64 v[56:57], v[56:57], v[10:11]
	v_add_f64 v[58:59], v[58:59], v[12:13]
	ds_read_b128 v[10:13], v72 offset:2048
	s_waitcnt lgkmcnt(0)
	v_mul_f64 v[76:77], v[4:5], v[12:13]
	v_fma_f64 v[76:77], v[2:3], v[10:11], -v[76:77]
	v_mul_f64 v[2:3], v[2:3], v[12:13]
	v_fmac_f64_e32 v[2:3], v[4:5], v[10:11]
	v_add_f64 v[62:63], v[62:63], v[2:3]
	ds_read_b128 v[2:5], v17 offset:8256
	v_add_f64 v[60:61], v[60:61], v[76:77]
	s_waitcnt lgkmcnt(0)
	v_mul_f64 v[76:77], v[4:5], v[8:9]
	v_fma_f64 v[76:77], v[2:3], v[6:7], -v[76:77]
	v_mul_f64 v[8:9], v[2:3], v[8:9]
	v_fmac_f64_e32 v[8:9], v[4:5], v[6:7]
	v_add_f64 v[6:7], v[48:49], v[76:77]
	v_mul_f64 v[48:49], v[4:5], v[12:13]
	v_mul_f64 v[12:13], v[2:3], v[12:13]
	v_fma_f64 v[48:49], v[2:3], v[10:11], -v[48:49]
	v_fmac_f64_e32 v[12:13], v[4:5], v[10:11]
	v_add_f64 v[8:9], v[50:51], v[8:9]
	v_add_f64 v[2:3], v[52:53], v[48:49]
	v_add_f64 v[4:5], v[54:55], v[12:13]
	ds_read_b128 v[10:13], v17 offset:80
	ds_read_b128 v[48:51], v67 offset:2560
	s_waitcnt lgkmcnt(0)
	v_mul_f64 v[52:53], v[12:13], v[50:51]
	v_mul_f64 v[54:55], v[10:11], v[50:51]
	v_fma_f64 v[52:53], v[10:11], v[48:49], -v[52:53]
	v_fmac_f64_e32 v[54:55], v[12:13], v[48:49]
	v_add_f64 v[56:57], v[56:57], v[52:53]
	v_add_f64 v[58:59], v[58:59], v[54:55]
	ds_read_b128 v[52:55], v72 offset:2560
	s_waitcnt lgkmcnt(0)
	v_mul_f64 v[76:77], v[12:13], v[54:55]
	v_fma_f64 v[76:77], v[10:11], v[52:53], -v[76:77]
	v_mul_f64 v[10:11], v[10:11], v[54:55]
	v_fmac_f64_e32 v[10:11], v[12:13], v[52:53]
	v_add_f64 v[62:63], v[62:63], v[10:11]
	ds_read_b128 v[10:13], v17 offset:8272
	v_add_f64 v[60:61], v[60:61], v[76:77]
	s_waitcnt lgkmcnt(0)
	v_mul_f64 v[76:77], v[12:13], v[50:51]
	v_mul_f64 v[50:51], v[10:11], v[50:51]
	v_fma_f64 v[76:77], v[10:11], v[48:49], -v[76:77]
	v_fmac_f64_e32 v[50:51], v[12:13], v[48:49]
	v_add_f64 v[48:49], v[6:7], v[76:77]
	v_add_f64 v[50:51], v[8:9], v[50:51]
	v_mul_f64 v[6:7], v[12:13], v[54:55]
	v_mul_f64 v[8:9], v[10:11], v[54:55]
	v_fma_f64 v[6:7], v[10:11], v[52:53], -v[6:7]
	v_fmac_f64_e32 v[8:9], v[12:13], v[52:53]
	v_add_f64 v[52:53], v[2:3], v[6:7]
	v_add_f64 v[54:55], v[4:5], v[8:9]
	ds_read_b128 v[2:5], v17 offset:96
	ds_read_b128 v[6:9], v67 offset:3072
	s_waitcnt lgkmcnt(0)
	v_mul_f64 v[10:11], v[4:5], v[8:9]
	v_mul_f64 v[12:13], v[2:3], v[8:9]
	v_fma_f64 v[10:11], v[2:3], v[6:7], -v[10:11]
	v_fmac_f64_e32 v[12:13], v[4:5], v[6:7]
	v_add_f64 v[56:57], v[56:57], v[10:11]
	v_add_f64 v[58:59], v[58:59], v[12:13]
	ds_read_b128 v[10:13], v72 offset:3072
	s_waitcnt lgkmcnt(0)
	v_mul_f64 v[76:77], v[4:5], v[12:13]
	v_fma_f64 v[76:77], v[2:3], v[10:11], -v[76:77]
	v_mul_f64 v[2:3], v[2:3], v[12:13]
	v_fmac_f64_e32 v[2:3], v[4:5], v[10:11]
	v_add_f64 v[62:63], v[62:63], v[2:3]
	ds_read_b128 v[2:5], v17 offset:8288
	v_add_f64 v[60:61], v[60:61], v[76:77]
	s_waitcnt lgkmcnt(0)
	v_mul_f64 v[76:77], v[4:5], v[8:9]
	v_fma_f64 v[76:77], v[2:3], v[6:7], -v[76:77]
	v_mul_f64 v[8:9], v[2:3], v[8:9]
	v_fmac_f64_e32 v[8:9], v[4:5], v[6:7]
	v_add_f64 v[6:7], v[48:49], v[76:77]
	v_mul_f64 v[48:49], v[4:5], v[12:13]
	v_mul_f64 v[12:13], v[2:3], v[12:13]
	v_fma_f64 v[48:49], v[2:3], v[10:11], -v[48:49]
	v_fmac_f64_e32 v[12:13], v[4:5], v[10:11]
	v_add_f64 v[8:9], v[50:51], v[8:9]
	v_add_f64 v[2:3], v[52:53], v[48:49]
	v_add_f64 v[4:5], v[54:55], v[12:13]
	ds_read_b128 v[10:13], v17 offset:112
	ds_read_b128 v[48:51], v67 offset:3584
	s_waitcnt lgkmcnt(0)
	v_mul_f64 v[52:53], v[12:13], v[50:51]
	v_mul_f64 v[54:55], v[10:11], v[50:51]
	v_fma_f64 v[52:53], v[10:11], v[48:49], -v[52:53]
	v_fmac_f64_e32 v[54:55], v[12:13], v[48:49]
	v_add_f64 v[56:57], v[56:57], v[52:53]
	v_add_f64 v[58:59], v[58:59], v[54:55]
	ds_read_b128 v[52:55], v72 offset:3584
	s_waitcnt lgkmcnt(0)
	v_mul_f64 v[76:77], v[12:13], v[54:55]
	v_fma_f64 v[76:77], v[10:11], v[52:53], -v[76:77]
	v_mul_f64 v[10:11], v[10:11], v[54:55]
	v_fmac_f64_e32 v[10:11], v[12:13], v[52:53]
	v_add_f64 v[62:63], v[62:63], v[10:11]
	ds_read_b128 v[10:13], v17 offset:8304
	v_add_f64 v[60:61], v[60:61], v[76:77]
	s_waitcnt lgkmcnt(0)
	v_mul_f64 v[76:77], v[12:13], v[50:51]
	v_mul_f64 v[50:51], v[10:11], v[50:51]
	v_fma_f64 v[76:77], v[10:11], v[48:49], -v[76:77]
	v_fmac_f64_e32 v[50:51], v[12:13], v[48:49]
	v_add_f64 v[48:49], v[6:7], v[76:77]
	v_add_f64 v[50:51], v[8:9], v[50:51]
	v_mul_f64 v[6:7], v[12:13], v[54:55]
	v_mul_f64 v[8:9], v[10:11], v[54:55]
	v_fma_f64 v[6:7], v[10:11], v[52:53], -v[6:7]
	v_fmac_f64_e32 v[8:9], v[12:13], v[52:53]
	v_add_f64 v[52:53], v[2:3], v[6:7]
	v_add_f64 v[54:55], v[4:5], v[8:9]
	ds_read_b128 v[2:5], v17 offset:128
	ds_read_b128 v[6:9], v67 offset:4096
	s_waitcnt lgkmcnt(0)
	v_mul_f64 v[10:11], v[4:5], v[8:9]
	v_mul_f64 v[12:13], v[2:3], v[8:9]
	v_fma_f64 v[10:11], v[2:3], v[6:7], -v[10:11]
	v_fmac_f64_e32 v[12:13], v[4:5], v[6:7]
	v_add_f64 v[56:57], v[56:57], v[10:11]
	v_add_f64 v[58:59], v[58:59], v[12:13]
	ds_read_b128 v[10:13], v72 offset:4096
	s_waitcnt lgkmcnt(0)
	v_mul_f64 v[76:77], v[4:5], v[12:13]
	v_fma_f64 v[76:77], v[2:3], v[10:11], -v[76:77]
	v_mul_f64 v[2:3], v[2:3], v[12:13]
	v_fmac_f64_e32 v[2:3], v[4:5], v[10:11]
	v_add_f64 v[62:63], v[62:63], v[2:3]
	ds_read_b128 v[2:5], v17 offset:8320
	v_add_f64 v[60:61], v[60:61], v[76:77]
	s_waitcnt lgkmcnt(0)
	v_mul_f64 v[76:77], v[4:5], v[8:9]
	v_fma_f64 v[76:77], v[2:3], v[6:7], -v[76:77]
	v_mul_f64 v[8:9], v[2:3], v[8:9]
	v_fmac_f64_e32 v[8:9], v[4:5], v[6:7]
	v_add_f64 v[6:7], v[48:49], v[76:77]
	v_mul_f64 v[48:49], v[4:5], v[12:13]
	v_mul_f64 v[12:13], v[2:3], v[12:13]
	v_fma_f64 v[48:49], v[2:3], v[10:11], -v[48:49]
	v_fmac_f64_e32 v[12:13], v[4:5], v[10:11]
	v_add_f64 v[8:9], v[50:51], v[8:9]
	v_add_f64 v[2:3], v[52:53], v[48:49]
	v_add_f64 v[4:5], v[54:55], v[12:13]
	ds_read_b128 v[10:13], v17 offset:144
	ds_read_b128 v[48:51], v67 offset:4608
	s_waitcnt lgkmcnt(0)
	v_mul_f64 v[52:53], v[12:13], v[50:51]
	v_mul_f64 v[54:55], v[10:11], v[50:51]
	v_fma_f64 v[52:53], v[10:11], v[48:49], -v[52:53]
	v_fmac_f64_e32 v[54:55], v[12:13], v[48:49]
	v_add_f64 v[56:57], v[56:57], v[52:53]
	v_add_f64 v[58:59], v[58:59], v[54:55]
	ds_read_b128 v[52:55], v72 offset:4608
	s_waitcnt lgkmcnt(0)
	v_mul_f64 v[76:77], v[12:13], v[54:55]
	v_fma_f64 v[76:77], v[10:11], v[52:53], -v[76:77]
	v_mul_f64 v[10:11], v[10:11], v[54:55]
	v_fmac_f64_e32 v[10:11], v[12:13], v[52:53]
	v_add_f64 v[62:63], v[62:63], v[10:11]
	ds_read_b128 v[10:13], v17 offset:8336
	v_add_f64 v[60:61], v[60:61], v[76:77]
	s_waitcnt lgkmcnt(0)
	v_mul_f64 v[76:77], v[12:13], v[50:51]
	v_mul_f64 v[50:51], v[10:11], v[50:51]
	v_fma_f64 v[76:77], v[10:11], v[48:49], -v[76:77]
	v_fmac_f64_e32 v[50:51], v[12:13], v[48:49]
	v_add_f64 v[48:49], v[6:7], v[76:77]
	v_add_f64 v[50:51], v[8:9], v[50:51]
	v_mul_f64 v[6:7], v[12:13], v[54:55]
	v_mul_f64 v[8:9], v[10:11], v[54:55]
	v_fma_f64 v[6:7], v[10:11], v[52:53], -v[6:7]
	v_fmac_f64_e32 v[8:9], v[12:13], v[52:53]
	v_add_f64 v[52:53], v[2:3], v[6:7]
	v_add_f64 v[54:55], v[4:5], v[8:9]
	ds_read_b128 v[2:5], v17 offset:160
	ds_read_b128 v[6:9], v67 offset:5120
	s_waitcnt lgkmcnt(0)
	v_mul_f64 v[10:11], v[4:5], v[8:9]
	v_mul_f64 v[12:13], v[2:3], v[8:9]
	v_fma_f64 v[10:11], v[2:3], v[6:7], -v[10:11]
	v_fmac_f64_e32 v[12:13], v[4:5], v[6:7]
	v_add_f64 v[56:57], v[56:57], v[10:11]
	v_add_f64 v[58:59], v[58:59], v[12:13]
	ds_read_b128 v[10:13], v72 offset:5120
	s_waitcnt lgkmcnt(0)
	v_mul_f64 v[76:77], v[4:5], v[12:13]
	v_fma_f64 v[76:77], v[2:3], v[10:11], -v[76:77]
	v_mul_f64 v[2:3], v[2:3], v[12:13]
	v_fmac_f64_e32 v[2:3], v[4:5], v[10:11]
	v_add_f64 v[62:63], v[62:63], v[2:3]
	ds_read_b128 v[2:5], v17 offset:8352
	v_add_f64 v[60:61], v[60:61], v[76:77]
	s_waitcnt lgkmcnt(0)
	v_mul_f64 v[76:77], v[4:5], v[8:9]
	v_fma_f64 v[76:77], v[2:3], v[6:7], -v[76:77]
	v_mul_f64 v[8:9], v[2:3], v[8:9]
	v_fmac_f64_e32 v[8:9], v[4:5], v[6:7]
	v_add_f64 v[6:7], v[48:49], v[76:77]
	v_mul_f64 v[48:49], v[4:5], v[12:13]
	v_mul_f64 v[12:13], v[2:3], v[12:13]
	v_fma_f64 v[48:49], v[2:3], v[10:11], -v[48:49]
	v_fmac_f64_e32 v[12:13], v[4:5], v[10:11]
	v_add_f64 v[8:9], v[50:51], v[8:9]
	v_add_f64 v[2:3], v[52:53], v[48:49]
	v_add_f64 v[4:5], v[54:55], v[12:13]
	ds_read_b128 v[10:13], v17 offset:176
	ds_read_b128 v[48:51], v67 offset:5632
	s_waitcnt lgkmcnt(0)
	v_mul_f64 v[52:53], v[12:13], v[50:51]
	v_mul_f64 v[54:55], v[10:11], v[50:51]
	v_fma_f64 v[52:53], v[10:11], v[48:49], -v[52:53]
	v_fmac_f64_e32 v[54:55], v[12:13], v[48:49]
	v_add_f64 v[56:57], v[56:57], v[52:53]
	v_add_f64 v[58:59], v[58:59], v[54:55]
	ds_read_b128 v[52:55], v72 offset:5632
	s_waitcnt lgkmcnt(0)
	v_mul_f64 v[76:77], v[12:13], v[54:55]
	v_fma_f64 v[76:77], v[10:11], v[52:53], -v[76:77]
	v_mul_f64 v[10:11], v[10:11], v[54:55]
	v_fmac_f64_e32 v[10:11], v[12:13], v[52:53]
	v_add_f64 v[62:63], v[62:63], v[10:11]
	ds_read_b128 v[10:13], v17 offset:8368
	v_add_f64 v[60:61], v[60:61], v[76:77]
	s_waitcnt lgkmcnt(0)
	v_mul_f64 v[76:77], v[12:13], v[50:51]
	v_mul_f64 v[50:51], v[10:11], v[50:51]
	v_fma_f64 v[76:77], v[10:11], v[48:49], -v[76:77]
	v_fmac_f64_e32 v[50:51], v[12:13], v[48:49]
	v_add_f64 v[48:49], v[6:7], v[76:77]
	v_add_f64 v[50:51], v[8:9], v[50:51]
	v_mul_f64 v[6:7], v[12:13], v[54:55]
	v_mul_f64 v[8:9], v[10:11], v[54:55]
	v_fma_f64 v[6:7], v[10:11], v[52:53], -v[6:7]
	v_fmac_f64_e32 v[8:9], v[12:13], v[52:53]
	v_add_f64 v[52:53], v[2:3], v[6:7]
	v_add_f64 v[54:55], v[4:5], v[8:9]
	ds_read_b128 v[2:5], v17 offset:192
	ds_read_b128 v[6:9], v67 offset:6144
	s_waitcnt lgkmcnt(0)
	v_mul_f64 v[10:11], v[4:5], v[8:9]
	v_mul_f64 v[12:13], v[2:3], v[8:9]
	v_fma_f64 v[10:11], v[2:3], v[6:7], -v[10:11]
	v_fmac_f64_e32 v[12:13], v[4:5], v[6:7]
	v_add_f64 v[56:57], v[56:57], v[10:11]
	v_add_f64 v[58:59], v[58:59], v[12:13]
	ds_read_b128 v[10:13], v72 offset:6144
	s_waitcnt lgkmcnt(0)
	v_mul_f64 v[76:77], v[4:5], v[12:13]
	v_fma_f64 v[76:77], v[2:3], v[10:11], -v[76:77]
	v_mul_f64 v[2:3], v[2:3], v[12:13]
	v_fmac_f64_e32 v[2:3], v[4:5], v[10:11]
	v_add_f64 v[62:63], v[62:63], v[2:3]
	ds_read_b128 v[2:5], v17 offset:8384
	v_add_f64 v[60:61], v[60:61], v[76:77]
	s_waitcnt lgkmcnt(0)
	v_mul_f64 v[76:77], v[4:5], v[8:9]
	v_fma_f64 v[76:77], v[2:3], v[6:7], -v[76:77]
	v_mul_f64 v[8:9], v[2:3], v[8:9]
	v_fmac_f64_e32 v[8:9], v[4:5], v[6:7]
	v_add_f64 v[6:7], v[48:49], v[76:77]
	v_mul_f64 v[48:49], v[4:5], v[12:13]
	v_mul_f64 v[12:13], v[2:3], v[12:13]
	v_fma_f64 v[48:49], v[2:3], v[10:11], -v[48:49]
	v_fmac_f64_e32 v[12:13], v[4:5], v[10:11]
	v_add_f64 v[8:9], v[50:51], v[8:9]
	v_add_f64 v[2:3], v[52:53], v[48:49]
	v_add_f64 v[4:5], v[54:55], v[12:13]
	ds_read_b128 v[10:13], v17 offset:208
	ds_read_b128 v[48:51], v67 offset:6656
	s_waitcnt lgkmcnt(0)
	v_mul_f64 v[52:53], v[12:13], v[50:51]
	v_mul_f64 v[54:55], v[10:11], v[50:51]
	v_fma_f64 v[52:53], v[10:11], v[48:49], -v[52:53]
	v_fmac_f64_e32 v[54:55], v[12:13], v[48:49]
	v_add_f64 v[56:57], v[56:57], v[52:53]
	v_add_f64 v[58:59], v[58:59], v[54:55]
	ds_read_b128 v[52:55], v72 offset:6656
	s_waitcnt lgkmcnt(0)
	v_mul_f64 v[76:77], v[12:13], v[54:55]
	v_fma_f64 v[76:77], v[10:11], v[52:53], -v[76:77]
	v_mul_f64 v[10:11], v[10:11], v[54:55]
	v_fmac_f64_e32 v[10:11], v[12:13], v[52:53]
	v_add_f64 v[62:63], v[62:63], v[10:11]
	ds_read_b128 v[10:13], v17 offset:8400
	v_add_f64 v[60:61], v[60:61], v[76:77]
	s_waitcnt lgkmcnt(0)
	v_mul_f64 v[76:77], v[12:13], v[50:51]
	v_mul_f64 v[50:51], v[10:11], v[50:51]
	v_fma_f64 v[76:77], v[10:11], v[48:49], -v[76:77]
	v_fmac_f64_e32 v[50:51], v[12:13], v[48:49]
	v_add_f64 v[48:49], v[6:7], v[76:77]
	v_add_f64 v[50:51], v[8:9], v[50:51]
	v_mul_f64 v[6:7], v[12:13], v[54:55]
	v_mul_f64 v[8:9], v[10:11], v[54:55]
	v_fma_f64 v[6:7], v[10:11], v[52:53], -v[6:7]
	v_fmac_f64_e32 v[8:9], v[12:13], v[52:53]
	v_add_f64 v[52:53], v[2:3], v[6:7]
	v_add_f64 v[54:55], v[4:5], v[8:9]
	ds_read_b128 v[2:5], v17 offset:224
	ds_read_b128 v[6:9], v67 offset:7168
	s_waitcnt lgkmcnt(0)
	v_mul_f64 v[10:11], v[4:5], v[8:9]
	v_mul_f64 v[12:13], v[2:3], v[8:9]
	v_fma_f64 v[10:11], v[2:3], v[6:7], -v[10:11]
	v_fmac_f64_e32 v[12:13], v[4:5], v[6:7]
	v_add_f64 v[56:57], v[56:57], v[10:11]
	v_add_f64 v[58:59], v[58:59], v[12:13]
	ds_read_b128 v[10:13], v72 offset:7168
	s_waitcnt lgkmcnt(0)
	v_mul_f64 v[76:77], v[4:5], v[12:13]
	v_fma_f64 v[76:77], v[2:3], v[10:11], -v[76:77]
	v_mul_f64 v[2:3], v[2:3], v[12:13]
	v_fmac_f64_e32 v[2:3], v[4:5], v[10:11]
	v_add_f64 v[62:63], v[62:63], v[2:3]
	ds_read_b128 v[2:5], v17 offset:8416
	v_add_f64 v[60:61], v[60:61], v[76:77]
	s_waitcnt lgkmcnt(0)
	v_mul_f64 v[76:77], v[4:5], v[8:9]
	v_fma_f64 v[76:77], v[2:3], v[6:7], -v[76:77]
	v_mul_f64 v[8:9], v[2:3], v[8:9]
	v_fmac_f64_e32 v[8:9], v[4:5], v[6:7]
	v_add_f64 v[6:7], v[48:49], v[76:77]
	v_mul_f64 v[48:49], v[4:5], v[12:13]
	v_mul_f64 v[12:13], v[2:3], v[12:13]
	v_fma_f64 v[48:49], v[2:3], v[10:11], -v[48:49]
	v_fmac_f64_e32 v[12:13], v[4:5], v[10:11]
	v_add_f64 v[8:9], v[50:51], v[8:9]
	v_add_f64 v[2:3], v[52:53], v[48:49]
	v_add_f64 v[4:5], v[54:55], v[12:13]
	ds_read_b128 v[10:13], v17 offset:240
	ds_read_b128 v[48:51], v67 offset:7680
	s_waitcnt lgkmcnt(0)
	v_mul_f64 v[52:53], v[12:13], v[50:51]
	v_mul_f64 v[54:55], v[10:11], v[50:51]
	v_fma_f64 v[52:53], v[10:11], v[48:49], -v[52:53]
	v_fmac_f64_e32 v[54:55], v[12:13], v[48:49]
	v_add_f64 v[56:57], v[56:57], v[52:53]
	v_add_f64 v[58:59], v[58:59], v[54:55]
	ds_read_b128 v[52:55], v72 offset:7680
	s_waitcnt lgkmcnt(0)
	v_mul_f64 v[76:77], v[12:13], v[54:55]
	v_fma_f64 v[76:77], v[10:11], v[52:53], -v[76:77]
	v_mul_f64 v[10:11], v[10:11], v[54:55]
	v_fmac_f64_e32 v[10:11], v[12:13], v[52:53]
	v_add_f64 v[62:63], v[62:63], v[10:11]
	ds_read_b128 v[10:13], v17 offset:8432
	v_add_f64 v[60:61], v[60:61], v[76:77]
	s_waitcnt lgkmcnt(0)
	v_mul_f64 v[76:77], v[12:13], v[50:51]
	v_mul_f64 v[50:51], v[10:11], v[50:51]
	v_fma_f64 v[76:77], v[10:11], v[48:49], -v[76:77]
	v_fmac_f64_e32 v[50:51], v[12:13], v[48:49]
	v_add_f64 v[48:49], v[6:7], v[76:77]
	v_add_f64 v[50:51], v[8:9], v[50:51]
	v_mul_f64 v[6:7], v[12:13], v[54:55]
	v_mul_f64 v[8:9], v[10:11], v[54:55]
	v_fma_f64 v[6:7], v[10:11], v[52:53], -v[6:7]
	v_fmac_f64_e32 v[8:9], v[12:13], v[52:53]
	v_add_f64 v[52:53], v[2:3], v[6:7]
	v_add_f64 v[54:55], v[4:5], v[8:9]
	ds_read_b128 v[2:5], v17 offset:256
	ds_read_b128 v[6:9], v67 offset:8192
	s_waitcnt lgkmcnt(0)
	v_mul_f64 v[10:11], v[4:5], v[8:9]
	v_mul_f64 v[12:13], v[2:3], v[8:9]
	v_fma_f64 v[10:11], v[2:3], v[6:7], -v[10:11]
	v_fmac_f64_e32 v[12:13], v[4:5], v[6:7]
	v_add_f64 v[56:57], v[56:57], v[10:11]
	v_add_f64 v[58:59], v[58:59], v[12:13]
	ds_read_b128 v[10:13], v72 offset:8192
	s_waitcnt lgkmcnt(0)
	v_mul_f64 v[76:77], v[4:5], v[12:13]
	v_fma_f64 v[76:77], v[2:3], v[10:11], -v[76:77]
	v_mul_f64 v[2:3], v[2:3], v[12:13]
	v_fmac_f64_e32 v[2:3], v[4:5], v[10:11]
	v_add_f64 v[62:63], v[62:63], v[2:3]
	ds_read_b128 v[2:5], v17 offset:8448
	v_add_f64 v[60:61], v[60:61], v[76:77]
	s_waitcnt lgkmcnt(0)
	v_mul_f64 v[76:77], v[4:5], v[8:9]
	v_fma_f64 v[76:77], v[2:3], v[6:7], -v[76:77]
	v_mul_f64 v[8:9], v[2:3], v[8:9]
	v_fmac_f64_e32 v[8:9], v[4:5], v[6:7]
	v_add_f64 v[6:7], v[48:49], v[76:77]
	v_mul_f64 v[48:49], v[4:5], v[12:13]
	v_mul_f64 v[12:13], v[2:3], v[12:13]
	v_fma_f64 v[48:49], v[2:3], v[10:11], -v[48:49]
	v_fmac_f64_e32 v[12:13], v[4:5], v[10:11]
	v_add_f64 v[8:9], v[50:51], v[8:9]
	v_add_f64 v[2:3], v[52:53], v[48:49]
	v_add_f64 v[4:5], v[54:55], v[12:13]
	ds_read_b128 v[10:13], v17 offset:272
	ds_read_b128 v[48:51], v67 offset:8704
	s_waitcnt lgkmcnt(0)
	v_mul_f64 v[52:53], v[12:13], v[50:51]
	v_mul_f64 v[54:55], v[10:11], v[50:51]
	v_fma_f64 v[52:53], v[10:11], v[48:49], -v[52:53]
	v_fmac_f64_e32 v[54:55], v[12:13], v[48:49]
	v_add_f64 v[56:57], v[56:57], v[52:53]
	v_add_f64 v[58:59], v[58:59], v[54:55]
	ds_read_b128 v[52:55], v72 offset:8704
	s_waitcnt lgkmcnt(0)
	v_mul_f64 v[76:77], v[12:13], v[54:55]
	v_fma_f64 v[76:77], v[10:11], v[52:53], -v[76:77]
	v_mul_f64 v[10:11], v[10:11], v[54:55]
	v_fmac_f64_e32 v[10:11], v[12:13], v[52:53]
	v_add_f64 v[62:63], v[62:63], v[10:11]
	ds_read_b128 v[10:13], v17 offset:8464
	v_add_f64 v[60:61], v[60:61], v[76:77]
	s_waitcnt lgkmcnt(0)
	v_mul_f64 v[76:77], v[12:13], v[50:51]
	v_mul_f64 v[50:51], v[10:11], v[50:51]
	v_fma_f64 v[76:77], v[10:11], v[48:49], -v[76:77]
	v_fmac_f64_e32 v[50:51], v[12:13], v[48:49]
	v_add_f64 v[48:49], v[6:7], v[76:77]
	v_add_f64 v[50:51], v[8:9], v[50:51]
	v_mul_f64 v[6:7], v[12:13], v[54:55]
	v_mul_f64 v[8:9], v[10:11], v[54:55]
	v_fma_f64 v[6:7], v[10:11], v[52:53], -v[6:7]
	v_fmac_f64_e32 v[8:9], v[12:13], v[52:53]
	v_add_f64 v[52:53], v[2:3], v[6:7]
	v_add_f64 v[54:55], v[4:5], v[8:9]
	ds_read_b128 v[2:5], v17 offset:288
	ds_read_b128 v[6:9], v67 offset:9216
	s_waitcnt lgkmcnt(0)
	v_mul_f64 v[10:11], v[4:5], v[8:9]
	v_mul_f64 v[12:13], v[2:3], v[8:9]
	v_fma_f64 v[10:11], v[2:3], v[6:7], -v[10:11]
	v_fmac_f64_e32 v[12:13], v[4:5], v[6:7]
	v_add_f64 v[56:57], v[56:57], v[10:11]
	v_add_f64 v[58:59], v[58:59], v[12:13]
	ds_read_b128 v[10:13], v72 offset:9216
	s_waitcnt lgkmcnt(0)
	v_mul_f64 v[76:77], v[4:5], v[12:13]
	v_fma_f64 v[76:77], v[2:3], v[10:11], -v[76:77]
	v_mul_f64 v[2:3], v[2:3], v[12:13]
	v_fmac_f64_e32 v[2:3], v[4:5], v[10:11]
	v_add_f64 v[62:63], v[62:63], v[2:3]
	ds_read_b128 v[2:5], v17 offset:8480
	v_add_f64 v[60:61], v[60:61], v[76:77]
	s_waitcnt lgkmcnt(0)
	v_mul_f64 v[76:77], v[4:5], v[8:9]
	v_fma_f64 v[76:77], v[2:3], v[6:7], -v[76:77]
	v_mul_f64 v[8:9], v[2:3], v[8:9]
	v_fmac_f64_e32 v[8:9], v[4:5], v[6:7]
	v_add_f64 v[6:7], v[48:49], v[76:77]
	v_mul_f64 v[48:49], v[4:5], v[12:13]
	v_mul_f64 v[12:13], v[2:3], v[12:13]
	v_fma_f64 v[48:49], v[2:3], v[10:11], -v[48:49]
	v_fmac_f64_e32 v[12:13], v[4:5], v[10:11]
	v_add_f64 v[8:9], v[50:51], v[8:9]
	v_add_f64 v[2:3], v[52:53], v[48:49]
	v_add_f64 v[4:5], v[54:55], v[12:13]
	ds_read_b128 v[10:13], v17 offset:304
	ds_read_b128 v[48:51], v67 offset:9728
	s_waitcnt lgkmcnt(0)
	v_mul_f64 v[52:53], v[12:13], v[50:51]
	v_mul_f64 v[54:55], v[10:11], v[50:51]
	v_fma_f64 v[52:53], v[10:11], v[48:49], -v[52:53]
	v_fmac_f64_e32 v[54:55], v[12:13], v[48:49]
	v_add_f64 v[56:57], v[56:57], v[52:53]
	v_add_f64 v[58:59], v[58:59], v[54:55]
	ds_read_b128 v[52:55], v72 offset:9728
	s_waitcnt lgkmcnt(0)
	v_mul_f64 v[76:77], v[12:13], v[54:55]
	v_fma_f64 v[76:77], v[10:11], v[52:53], -v[76:77]
	v_mul_f64 v[10:11], v[10:11], v[54:55]
	v_fmac_f64_e32 v[10:11], v[12:13], v[52:53]
	v_add_f64 v[62:63], v[62:63], v[10:11]
	ds_read_b128 v[10:13], v17 offset:8496
	v_add_f64 v[60:61], v[60:61], v[76:77]
	s_waitcnt lgkmcnt(0)
	v_mul_f64 v[76:77], v[12:13], v[50:51]
	v_mul_f64 v[50:51], v[10:11], v[50:51]
	v_fma_f64 v[76:77], v[10:11], v[48:49], -v[76:77]
	v_fmac_f64_e32 v[50:51], v[12:13], v[48:49]
	v_add_f64 v[48:49], v[6:7], v[76:77]
	v_add_f64 v[50:51], v[8:9], v[50:51]
	v_mul_f64 v[6:7], v[12:13], v[54:55]
	v_mul_f64 v[8:9], v[10:11], v[54:55]
	v_fma_f64 v[6:7], v[10:11], v[52:53], -v[6:7]
	v_fmac_f64_e32 v[8:9], v[12:13], v[52:53]
	v_add_f64 v[52:53], v[2:3], v[6:7]
	v_add_f64 v[54:55], v[4:5], v[8:9]
	ds_read_b128 v[2:5], v17 offset:320
	ds_read_b128 v[6:9], v67 offset:10240
	s_waitcnt lgkmcnt(0)
	v_mul_f64 v[10:11], v[4:5], v[8:9]
	v_mul_f64 v[12:13], v[2:3], v[8:9]
	v_fma_f64 v[10:11], v[2:3], v[6:7], -v[10:11]
	v_fmac_f64_e32 v[12:13], v[4:5], v[6:7]
	v_add_f64 v[56:57], v[56:57], v[10:11]
	v_add_f64 v[58:59], v[58:59], v[12:13]
	ds_read_b128 v[10:13], v72 offset:10240
	s_waitcnt lgkmcnt(0)
	v_mul_f64 v[76:77], v[4:5], v[12:13]
	v_fma_f64 v[76:77], v[2:3], v[10:11], -v[76:77]
	v_mul_f64 v[2:3], v[2:3], v[12:13]
	v_fmac_f64_e32 v[2:3], v[4:5], v[10:11]
	v_add_f64 v[62:63], v[62:63], v[2:3]
	ds_read_b128 v[2:5], v17 offset:8512
	v_add_f64 v[60:61], v[60:61], v[76:77]
	s_waitcnt lgkmcnt(0)
	v_mul_f64 v[76:77], v[4:5], v[8:9]
	v_fma_f64 v[76:77], v[2:3], v[6:7], -v[76:77]
	v_mul_f64 v[8:9], v[2:3], v[8:9]
	v_fmac_f64_e32 v[8:9], v[4:5], v[6:7]
	v_add_f64 v[6:7], v[48:49], v[76:77]
	v_mul_f64 v[48:49], v[4:5], v[12:13]
	v_mul_f64 v[12:13], v[2:3], v[12:13]
	v_fma_f64 v[48:49], v[2:3], v[10:11], -v[48:49]
	v_fmac_f64_e32 v[12:13], v[4:5], v[10:11]
	v_add_f64 v[8:9], v[50:51], v[8:9]
	v_add_f64 v[2:3], v[52:53], v[48:49]
	v_add_f64 v[4:5], v[54:55], v[12:13]
	ds_read_b128 v[10:13], v17 offset:336
	ds_read_b128 v[48:51], v67 offset:10752
	s_waitcnt lgkmcnt(0)
	v_mul_f64 v[52:53], v[12:13], v[50:51]
	v_mul_f64 v[54:55], v[10:11], v[50:51]
	v_fma_f64 v[52:53], v[10:11], v[48:49], -v[52:53]
	v_fmac_f64_e32 v[54:55], v[12:13], v[48:49]
	v_add_f64 v[56:57], v[56:57], v[52:53]
	v_add_f64 v[58:59], v[58:59], v[54:55]
	ds_read_b128 v[52:55], v72 offset:10752
	s_waitcnt lgkmcnt(0)
	v_mul_f64 v[76:77], v[12:13], v[54:55]
	v_fma_f64 v[76:77], v[10:11], v[52:53], -v[76:77]
	v_mul_f64 v[10:11], v[10:11], v[54:55]
	v_fmac_f64_e32 v[10:11], v[12:13], v[52:53]
	v_add_f64 v[62:63], v[62:63], v[10:11]
	ds_read_b128 v[10:13], v17 offset:8528
	v_add_f64 v[60:61], v[60:61], v[76:77]
	s_waitcnt lgkmcnt(0)
	v_mul_f64 v[76:77], v[12:13], v[50:51]
	v_mul_f64 v[50:51], v[10:11], v[50:51]
	v_fma_f64 v[76:77], v[10:11], v[48:49], -v[76:77]
	v_fmac_f64_e32 v[50:51], v[12:13], v[48:49]
	v_add_f64 v[48:49], v[6:7], v[76:77]
	v_add_f64 v[50:51], v[8:9], v[50:51]
	v_mul_f64 v[6:7], v[12:13], v[54:55]
	v_mul_f64 v[8:9], v[10:11], v[54:55]
	v_fma_f64 v[6:7], v[10:11], v[52:53], -v[6:7]
	v_fmac_f64_e32 v[8:9], v[12:13], v[52:53]
	v_add_f64 v[52:53], v[2:3], v[6:7]
	v_add_f64 v[54:55], v[4:5], v[8:9]
	ds_read_b128 v[2:5], v17 offset:352
	ds_read_b128 v[6:9], v67 offset:11264
	s_waitcnt lgkmcnt(0)
	v_mul_f64 v[10:11], v[4:5], v[8:9]
	v_mul_f64 v[12:13], v[2:3], v[8:9]
	v_fma_f64 v[10:11], v[2:3], v[6:7], -v[10:11]
	v_fmac_f64_e32 v[12:13], v[4:5], v[6:7]
	v_add_f64 v[56:57], v[56:57], v[10:11]
	v_add_f64 v[58:59], v[58:59], v[12:13]
	ds_read_b128 v[10:13], v72 offset:11264
	s_waitcnt lgkmcnt(0)
	v_mul_f64 v[76:77], v[4:5], v[12:13]
	v_fma_f64 v[76:77], v[2:3], v[10:11], -v[76:77]
	v_mul_f64 v[2:3], v[2:3], v[12:13]
	v_fmac_f64_e32 v[2:3], v[4:5], v[10:11]
	v_add_f64 v[62:63], v[62:63], v[2:3]
	ds_read_b128 v[2:5], v17 offset:8544
	v_add_f64 v[60:61], v[60:61], v[76:77]
	s_waitcnt lgkmcnt(0)
	v_mul_f64 v[76:77], v[4:5], v[8:9]
	v_fma_f64 v[76:77], v[2:3], v[6:7], -v[76:77]
	v_mul_f64 v[8:9], v[2:3], v[8:9]
	v_fmac_f64_e32 v[8:9], v[4:5], v[6:7]
	v_add_f64 v[6:7], v[48:49], v[76:77]
	v_mul_f64 v[48:49], v[4:5], v[12:13]
	v_mul_f64 v[12:13], v[2:3], v[12:13]
	v_fma_f64 v[48:49], v[2:3], v[10:11], -v[48:49]
	v_fmac_f64_e32 v[12:13], v[4:5], v[10:11]
	v_add_f64 v[8:9], v[50:51], v[8:9]
	v_add_f64 v[2:3], v[52:53], v[48:49]
	v_add_f64 v[4:5], v[54:55], v[12:13]
	ds_read_b128 v[10:13], v17 offset:368
	ds_read_b128 v[48:51], v67 offset:11776
	s_waitcnt lgkmcnt(0)
	v_mul_f64 v[52:53], v[12:13], v[50:51]
	v_mul_f64 v[54:55], v[10:11], v[50:51]
	v_fma_f64 v[52:53], v[10:11], v[48:49], -v[52:53]
	v_fmac_f64_e32 v[54:55], v[12:13], v[48:49]
	v_add_f64 v[56:57], v[56:57], v[52:53]
	v_add_f64 v[58:59], v[58:59], v[54:55]
	ds_read_b128 v[52:55], v72 offset:11776
	s_waitcnt lgkmcnt(0)
	v_mul_f64 v[76:77], v[12:13], v[54:55]
	v_fma_f64 v[76:77], v[10:11], v[52:53], -v[76:77]
	v_mul_f64 v[10:11], v[10:11], v[54:55]
	v_fmac_f64_e32 v[10:11], v[12:13], v[52:53]
	v_add_f64 v[62:63], v[62:63], v[10:11]
	ds_read_b128 v[10:13], v17 offset:8560
	v_add_f64 v[60:61], v[60:61], v[76:77]
	s_waitcnt lgkmcnt(0)
	v_mul_f64 v[76:77], v[12:13], v[50:51]
	v_mul_f64 v[50:51], v[10:11], v[50:51]
	v_fma_f64 v[76:77], v[10:11], v[48:49], -v[76:77]
	v_fmac_f64_e32 v[50:51], v[12:13], v[48:49]
	v_add_f64 v[48:49], v[6:7], v[76:77]
	v_add_f64 v[50:51], v[8:9], v[50:51]
	v_mul_f64 v[6:7], v[12:13], v[54:55]
	v_mul_f64 v[8:9], v[10:11], v[54:55]
	v_fma_f64 v[6:7], v[10:11], v[52:53], -v[6:7]
	v_fmac_f64_e32 v[8:9], v[12:13], v[52:53]
	v_add_f64 v[52:53], v[2:3], v[6:7]
	v_add_f64 v[54:55], v[4:5], v[8:9]
	ds_read_b128 v[2:5], v17 offset:384
	ds_read_b128 v[6:9], v67 offset:12288
	s_waitcnt lgkmcnt(0)
	v_mul_f64 v[10:11], v[4:5], v[8:9]
	v_mul_f64 v[12:13], v[2:3], v[8:9]
	v_fma_f64 v[10:11], v[2:3], v[6:7], -v[10:11]
	v_fmac_f64_e32 v[12:13], v[4:5], v[6:7]
	v_add_f64 v[56:57], v[56:57], v[10:11]
	v_add_f64 v[58:59], v[58:59], v[12:13]
	ds_read_b128 v[10:13], v72 offset:12288
	s_waitcnt lgkmcnt(0)
	v_mul_f64 v[76:77], v[4:5], v[12:13]
	v_fma_f64 v[76:77], v[2:3], v[10:11], -v[76:77]
	v_mul_f64 v[2:3], v[2:3], v[12:13]
	v_fmac_f64_e32 v[2:3], v[4:5], v[10:11]
	v_add_f64 v[62:63], v[62:63], v[2:3]
	ds_read_b128 v[2:5], v17 offset:8576
	v_add_f64 v[60:61], v[60:61], v[76:77]
	s_waitcnt lgkmcnt(0)
	v_mul_f64 v[76:77], v[4:5], v[8:9]
	v_fma_f64 v[76:77], v[2:3], v[6:7], -v[76:77]
	v_mul_f64 v[8:9], v[2:3], v[8:9]
	v_fmac_f64_e32 v[8:9], v[4:5], v[6:7]
	v_add_f64 v[6:7], v[48:49], v[76:77]
	v_mul_f64 v[48:49], v[4:5], v[12:13]
	v_mul_f64 v[12:13], v[2:3], v[12:13]
	v_fma_f64 v[48:49], v[2:3], v[10:11], -v[48:49]
	v_fmac_f64_e32 v[12:13], v[4:5], v[10:11]
	v_add_f64 v[8:9], v[50:51], v[8:9]
	v_add_f64 v[2:3], v[52:53], v[48:49]
	v_add_f64 v[4:5], v[54:55], v[12:13]
	ds_read_b128 v[10:13], v17 offset:400
	ds_read_b128 v[48:51], v67 offset:12800
	s_waitcnt lgkmcnt(0)
	v_mul_f64 v[52:53], v[12:13], v[50:51]
	v_mul_f64 v[54:55], v[10:11], v[50:51]
	v_fma_f64 v[52:53], v[10:11], v[48:49], -v[52:53]
	v_fmac_f64_e32 v[54:55], v[12:13], v[48:49]
	v_add_f64 v[56:57], v[56:57], v[52:53]
	v_add_f64 v[58:59], v[58:59], v[54:55]
	ds_read_b128 v[52:55], v72 offset:12800
	s_waitcnt lgkmcnt(0)
	v_mul_f64 v[76:77], v[12:13], v[54:55]
	v_fma_f64 v[76:77], v[10:11], v[52:53], -v[76:77]
	v_mul_f64 v[10:11], v[10:11], v[54:55]
	v_fmac_f64_e32 v[10:11], v[12:13], v[52:53]
	v_add_f64 v[62:63], v[62:63], v[10:11]
	ds_read_b128 v[10:13], v17 offset:8592
	v_add_f64 v[60:61], v[60:61], v[76:77]
	s_waitcnt lgkmcnt(0)
	v_mul_f64 v[76:77], v[12:13], v[50:51]
	v_mul_f64 v[50:51], v[10:11], v[50:51]
	v_fma_f64 v[76:77], v[10:11], v[48:49], -v[76:77]
	v_fmac_f64_e32 v[50:51], v[12:13], v[48:49]
	v_add_f64 v[48:49], v[6:7], v[76:77]
	v_add_f64 v[50:51], v[8:9], v[50:51]
	v_mul_f64 v[6:7], v[12:13], v[54:55]
	v_mul_f64 v[8:9], v[10:11], v[54:55]
	v_fma_f64 v[6:7], v[10:11], v[52:53], -v[6:7]
	v_fmac_f64_e32 v[8:9], v[12:13], v[52:53]
	v_add_f64 v[52:53], v[2:3], v[6:7]
	v_add_f64 v[54:55], v[4:5], v[8:9]
	ds_read_b128 v[2:5], v17 offset:416
	ds_read_b128 v[6:9], v67 offset:13312
	s_waitcnt lgkmcnt(0)
	v_mul_f64 v[10:11], v[4:5], v[8:9]
	v_mul_f64 v[12:13], v[2:3], v[8:9]
	v_fma_f64 v[10:11], v[2:3], v[6:7], -v[10:11]
	v_fmac_f64_e32 v[12:13], v[4:5], v[6:7]
	v_add_f64 v[56:57], v[56:57], v[10:11]
	v_add_f64 v[58:59], v[58:59], v[12:13]
	ds_read_b128 v[10:13], v72 offset:13312
	s_waitcnt lgkmcnt(0)
	v_mul_f64 v[76:77], v[4:5], v[12:13]
	v_fma_f64 v[76:77], v[2:3], v[10:11], -v[76:77]
	v_mul_f64 v[2:3], v[2:3], v[12:13]
	v_fmac_f64_e32 v[2:3], v[4:5], v[10:11]
	v_add_f64 v[62:63], v[62:63], v[2:3]
	ds_read_b128 v[2:5], v17 offset:8608
	v_add_f64 v[60:61], v[60:61], v[76:77]
	s_waitcnt lgkmcnt(0)
	v_mul_f64 v[76:77], v[4:5], v[8:9]
	v_fma_f64 v[76:77], v[2:3], v[6:7], -v[76:77]
	v_mul_f64 v[8:9], v[2:3], v[8:9]
	v_fmac_f64_e32 v[8:9], v[4:5], v[6:7]
	v_add_f64 v[6:7], v[48:49], v[76:77]
	v_mul_f64 v[48:49], v[4:5], v[12:13]
	v_mul_f64 v[12:13], v[2:3], v[12:13]
	v_fma_f64 v[48:49], v[2:3], v[10:11], -v[48:49]
	v_fmac_f64_e32 v[12:13], v[4:5], v[10:11]
	v_add_f64 v[8:9], v[50:51], v[8:9]
	v_add_f64 v[2:3], v[52:53], v[48:49]
	v_add_f64 v[4:5], v[54:55], v[12:13]
	ds_read_b128 v[10:13], v17 offset:432
	ds_read_b128 v[48:51], v67 offset:13824
	s_waitcnt lgkmcnt(0)
	v_mul_f64 v[52:53], v[12:13], v[50:51]
	v_mul_f64 v[54:55], v[10:11], v[50:51]
	v_fma_f64 v[52:53], v[10:11], v[48:49], -v[52:53]
	v_fmac_f64_e32 v[54:55], v[12:13], v[48:49]
	v_add_f64 v[56:57], v[56:57], v[52:53]
	v_add_f64 v[58:59], v[58:59], v[54:55]
	ds_read_b128 v[52:55], v72 offset:13824
	s_waitcnt lgkmcnt(0)
	v_mul_f64 v[76:77], v[12:13], v[54:55]
	v_fma_f64 v[76:77], v[10:11], v[52:53], -v[76:77]
	v_mul_f64 v[10:11], v[10:11], v[54:55]
	v_fmac_f64_e32 v[10:11], v[12:13], v[52:53]
	v_add_f64 v[62:63], v[62:63], v[10:11]
	ds_read_b128 v[10:13], v17 offset:8624
	v_add_f64 v[60:61], v[60:61], v[76:77]
	s_waitcnt lgkmcnt(0)
	v_mul_f64 v[76:77], v[12:13], v[50:51]
	v_mul_f64 v[50:51], v[10:11], v[50:51]
	v_fma_f64 v[76:77], v[10:11], v[48:49], -v[76:77]
	v_fmac_f64_e32 v[50:51], v[12:13], v[48:49]
	v_add_f64 v[48:49], v[6:7], v[76:77]
	v_add_f64 v[50:51], v[8:9], v[50:51]
	v_mul_f64 v[6:7], v[12:13], v[54:55]
	v_mul_f64 v[8:9], v[10:11], v[54:55]
	v_fma_f64 v[6:7], v[10:11], v[52:53], -v[6:7]
	v_fmac_f64_e32 v[8:9], v[12:13], v[52:53]
	v_add_f64 v[52:53], v[2:3], v[6:7]
	v_add_f64 v[54:55], v[4:5], v[8:9]
	ds_read_b128 v[2:5], v17 offset:448
	ds_read_b128 v[6:9], v67 offset:14336
	s_waitcnt lgkmcnt(0)
	v_mul_f64 v[10:11], v[4:5], v[8:9]
	v_mul_f64 v[12:13], v[2:3], v[8:9]
	v_fma_f64 v[10:11], v[2:3], v[6:7], -v[10:11]
	v_fmac_f64_e32 v[12:13], v[4:5], v[6:7]
	v_add_f64 v[56:57], v[56:57], v[10:11]
	v_add_f64 v[58:59], v[58:59], v[12:13]
	ds_read_b128 v[10:13], v72 offset:14336
	s_waitcnt lgkmcnt(0)
	v_mul_f64 v[76:77], v[4:5], v[12:13]
	v_fma_f64 v[76:77], v[2:3], v[10:11], -v[76:77]
	v_mul_f64 v[2:3], v[2:3], v[12:13]
	v_fmac_f64_e32 v[2:3], v[4:5], v[10:11]
	v_add_f64 v[62:63], v[62:63], v[2:3]
	ds_read_b128 v[2:5], v17 offset:8640
	v_add_f64 v[60:61], v[60:61], v[76:77]
	s_waitcnt lgkmcnt(0)
	v_mul_f64 v[76:77], v[4:5], v[8:9]
	v_fma_f64 v[76:77], v[2:3], v[6:7], -v[76:77]
	v_mul_f64 v[8:9], v[2:3], v[8:9]
	v_fmac_f64_e32 v[8:9], v[4:5], v[6:7]
	v_add_f64 v[6:7], v[48:49], v[76:77]
	v_mul_f64 v[48:49], v[4:5], v[12:13]
	v_mul_f64 v[12:13], v[2:3], v[12:13]
	v_fma_f64 v[48:49], v[2:3], v[10:11], -v[48:49]
	v_fmac_f64_e32 v[12:13], v[4:5], v[10:11]
	v_add_f64 v[8:9], v[50:51], v[8:9]
	v_add_f64 v[2:3], v[52:53], v[48:49]
	v_add_f64 v[4:5], v[54:55], v[12:13]
	ds_read_b128 v[10:13], v17 offset:464
	ds_read_b128 v[48:51], v67 offset:14848
	s_waitcnt lgkmcnt(0)
	v_mul_f64 v[52:53], v[12:13], v[50:51]
	v_mul_f64 v[54:55], v[10:11], v[50:51]
	v_fma_f64 v[52:53], v[10:11], v[48:49], -v[52:53]
	v_fmac_f64_e32 v[54:55], v[12:13], v[48:49]
	v_add_f64 v[56:57], v[56:57], v[52:53]
	v_add_f64 v[58:59], v[58:59], v[54:55]
	ds_read_b128 v[52:55], v72 offset:14848
	s_waitcnt lgkmcnt(0)
	v_mul_f64 v[76:77], v[12:13], v[54:55]
	v_fma_f64 v[76:77], v[10:11], v[52:53], -v[76:77]
	v_mul_f64 v[10:11], v[10:11], v[54:55]
	v_fmac_f64_e32 v[10:11], v[12:13], v[52:53]
	v_add_f64 v[62:63], v[62:63], v[10:11]
	ds_read_b128 v[10:13], v17 offset:8656
	v_add_f64 v[60:61], v[60:61], v[76:77]
	s_waitcnt lgkmcnt(0)
	v_mul_f64 v[76:77], v[12:13], v[50:51]
	v_mul_f64 v[50:51], v[10:11], v[50:51]
	v_fma_f64 v[76:77], v[10:11], v[48:49], -v[76:77]
	v_fmac_f64_e32 v[50:51], v[12:13], v[48:49]
	v_add_f64 v[48:49], v[6:7], v[76:77]
	v_add_f64 v[50:51], v[8:9], v[50:51]
	v_mul_f64 v[6:7], v[12:13], v[54:55]
	v_mul_f64 v[8:9], v[10:11], v[54:55]
	v_fma_f64 v[6:7], v[10:11], v[52:53], -v[6:7]
	v_fmac_f64_e32 v[8:9], v[12:13], v[52:53]
	v_add_f64 v[52:53], v[2:3], v[6:7]
	v_add_f64 v[54:55], v[4:5], v[8:9]
	ds_read_b128 v[2:5], v17 offset:480
	ds_read_b128 v[6:9], v67 offset:15360
	s_waitcnt lgkmcnt(0)
	v_mul_f64 v[10:11], v[4:5], v[8:9]
	v_mul_f64 v[12:13], v[2:3], v[8:9]
	v_fma_f64 v[10:11], v[2:3], v[6:7], -v[10:11]
	v_fmac_f64_e32 v[12:13], v[4:5], v[6:7]
	v_add_f64 v[56:57], v[56:57], v[10:11]
	v_add_f64 v[58:59], v[58:59], v[12:13]
	ds_read_b128 v[10:13], v72 offset:15360
	s_waitcnt lgkmcnt(0)
	v_mul_f64 v[76:77], v[4:5], v[12:13]
	v_fma_f64 v[76:77], v[2:3], v[10:11], -v[76:77]
	v_mul_f64 v[2:3], v[2:3], v[12:13]
	v_fmac_f64_e32 v[2:3], v[4:5], v[10:11]
	v_add_f64 v[82:83], v[62:63], v[2:3]
	ds_read_b128 v[2:5], v17 offset:8672
	v_add_f64 v[80:81], v[60:61], v[76:77]
	s_waitcnt lgkmcnt(0)
	v_mul_f64 v[60:61], v[4:5], v[8:9]
	v_fma_f64 v[60:61], v[2:3], v[6:7], -v[60:61]
	v_mul_f64 v[8:9], v[2:3], v[8:9]
	v_fmac_f64_e32 v[8:9], v[4:5], v[6:7]
	v_add_f64 v[6:7], v[48:49], v[60:61]
	v_mul_f64 v[48:49], v[4:5], v[12:13]
	v_mul_f64 v[12:13], v[2:3], v[12:13]
	v_fma_f64 v[48:49], v[2:3], v[10:11], -v[48:49]
	v_fmac_f64_e32 v[12:13], v[4:5], v[10:11]
	v_add_f64 v[8:9], v[50:51], v[8:9]
	v_add_f64 v[2:3], v[52:53], v[48:49]
	;; [unrolled: 1-line block ×3, first 2 shown]
	ds_read_b128 v[10:13], v17 offset:496
	ds_read_b128 v[48:51], v67 offset:15872
	;; [unrolled: 1-line block ×3, first 2 shown]
	s_waitcnt lgkmcnt(1)
	v_mul_f64 v[52:53], v[12:13], v[50:51]
	v_fma_f64 v[52:53], v[10:11], v[48:49], -v[52:53]
	v_add_f64 v[60:61], v[56:57], v[52:53]
	s_waitcnt lgkmcnt(0)
	v_mul_f64 v[52:53], v[12:13], v[78:79]
	v_mul_f64 v[54:55], v[10:11], v[50:51]
	v_fma_f64 v[52:53], v[10:11], v[76:77], -v[52:53]
	v_mul_f64 v[10:11], v[10:11], v[78:79]
	v_fmac_f64_e32 v[54:55], v[12:13], v[48:49]
	v_fmac_f64_e32 v[10:11], v[12:13], v[76:77]
	v_add_f64 v[62:63], v[58:59], v[54:55]
	v_add_f64 v[58:59], v[82:83], v[10:11]
	ds_read_b128 v[10:13], v17 offset:8688
	v_add_f64 v[54:55], v[80:81], v[52:53]
	s_waitcnt lgkmcnt(0)
	s_barrier
	v_mul_f64 v[52:53], v[12:13], v[50:51]
	v_fma_f64 v[52:53], v[10:11], v[48:49], -v[52:53]
	v_mul_f64 v[50:51], v[10:11], v[50:51]
	v_add_f64 v[52:53], v[6:7], v[52:53]
	v_mul_f64 v[6:7], v[12:13], v[78:79]
	v_fmac_f64_e32 v[50:51], v[12:13], v[48:49]
	v_fma_f64 v[6:7], v[10:11], v[76:77], -v[6:7]
	v_add_f64 v[56:57], v[8:9], v[50:51]
	v_add_f64 v[50:51], v[2:3], v[6:7]
	v_mov_b32_e32 v2, s35
	v_addc_co_u32_e32 v47, vcc, v47, v2, vcc
	v_add_co_u32_e32 v36, vcc, 0x200, v36
	v_mul_f64 v[8:9], v[10:11], v[78:79]
	v_addc_co_u32_e32 v37, vcc, 0, v37, vcc
	v_fmac_f64_e32 v[8:9], v[12:13], v[76:77]
	v_add_co_u32_e32 v38, vcc, 0x200, v38
	v_add_f64 v[48:49], v[4:5], v[8:9]
	v_addc_co_u32_e32 v39, vcc, 0, v39, vcc
	s_cbranch_scc1 .LBB123_55
.LBB123_7:                              ;   Parent Loop BB123_4 Depth=1
                                        ; =>  This Inner Loop Header: Depth=2
	v_mov_b32_e32 v2, s43
	v_add_co_u32_e32 v4, vcc, s42, v16
	v_addc_co_u32_e32 v5, vcc, 0, v2, vcc
	v_add_co_u32_e32 v6, vcc, v36, v18
	v_addc_co_u32_e32 v7, vcc, 0, v37, vcc
	v_cmp_eq_u64_e32 vcc, s[42:43], v[34:35]
	s_and_b64 s[46:47], s[22:23], vcc
	v_cmp_gt_i64_e32 vcc, v[4:5], v[32:33]
	s_or_b64 s[14:15], s[8:9], vcc
	v_cmp_le_i64_e64 s[12:13], s[30:31], v[4:5]
	s_or_b64 s[14:15], s[14:15], s[46:47]
	s_or_b64 s[14:15], s[12:13], s[14:15]
	s_xor_b64 s[14:15], s[14:15], -1
	s_and_saveexec_b64 s[18:19], s[14:15]
	s_xor_b64 s[14:15], exec, s[18:19]
	s_cbranch_execz .LBB123_9
; %bb.8:                                ;   in Loop: Header=BB123_7 Depth=2
	global_load_dwordx4 v[8:11], v[6:7], off offset:-256
	s_waitcnt vmcnt(0)
	ds_write2_b64 v19, v[8:9], v[10:11] offset1:1
.LBB123_9:                              ;   in Loop: Header=BB123_7 Depth=2
	s_or_saveexec_b64 s[14:15], s[14:15]
	s_xor_b64 s[44:45], s[46:47], -1
	s_xor_b64 exec, exec, s[14:15]
	s_cbranch_execz .LBB123_15
; %bb.10:                               ;   in Loop: Header=BB123_7 Depth=2
	s_and_saveexec_b64 s[18:19], s[44:45]
	s_xor_b64 s[18:19], exec, s[18:19]
	s_cbranch_execz .LBB123_12
; %bb.11:                               ;   in Loop: Header=BB123_7 Depth=2
	v_mov_b32_e32 v8, v0
	v_mov_b32_e32 v9, v0
	;; [unrolled: 1-line block ×4, first 2 shown]
	ds_write_b128 v19, v[8:11]
.LBB123_12:                             ;   in Loop: Header=BB123_7 Depth=2
	s_andn2_saveexec_b64 s[18:19], s[18:19]
	s_cbranch_execz .LBB123_14
; %bb.13:                               ;   in Loop: Header=BB123_7 Depth=2
	v_mov_b32_e32 v2, v0
	v_mov_b32_e32 v3, v0
	ds_write_b128 v19, v[0:3]
.LBB123_14:                             ;   in Loop: Header=BB123_7 Depth=2
	s_or_b64 exec, exec, s[18:19]
.LBB123_15:                             ;   in Loop: Header=BB123_7 Depth=2
	s_or_b64 exec, exec, s[14:15]
	v_add_co_u32_e64 v2, s[14:15], 16, v4
	v_addc_co_u32_e64 v3, s[14:15], 0, v5, s[14:15]
	v_cmp_eq_u64_e64 s[14:15], s[42:43], v[44:45]
	v_cmp_gt_i64_e64 s[18:19], v[2:3], v[32:33]
	s_and_b64 s[48:49], s[22:23], s[14:15]
	s_or_b64 s[18:19], s[8:9], s[18:19]
	v_cmp_le_i64_e64 s[14:15], s[30:31], v[2:3]
	s_or_b64 s[18:19], s[18:19], s[48:49]
	s_or_b64 s[18:19], s[14:15], s[18:19]
	s_xor_b64 s[18:19], s[18:19], -1
	s_and_saveexec_b64 s[58:59], s[18:19]
	s_xor_b64 s[18:19], exec, s[58:59]
	s_cbranch_execz .LBB123_17
; %bb.16:                               ;   in Loop: Header=BB123_7 Depth=2
	global_load_dwordx4 v[6:9], v[6:7], off
	s_waitcnt vmcnt(0)
	ds_write2_b64 v64, v[6:7], v[8:9] offset1:1
.LBB123_17:                             ;   in Loop: Header=BB123_7 Depth=2
	s_andn2_saveexec_b64 s[18:19], s[18:19]
	s_cbranch_execz .LBB123_23
; %bb.18:                               ;   in Loop: Header=BB123_7 Depth=2
	s_xor_b64 s[48:49], s[48:49], -1
	s_and_saveexec_b64 s[58:59], s[48:49]
	s_xor_b64 s[48:49], exec, s[58:59]
	s_cbranch_execz .LBB123_20
; %bb.19:                               ;   in Loop: Header=BB123_7 Depth=2
	v_mov_b32_e32 v6, v0
	v_mov_b32_e32 v7, v0
	;; [unrolled: 1-line block ×4, first 2 shown]
	ds_write_b128 v64, v[6:9]
.LBB123_20:                             ;   in Loop: Header=BB123_7 Depth=2
	s_andn2_saveexec_b64 s[48:49], s[48:49]
	s_cbranch_execz .LBB123_22
; %bb.21:                               ;   in Loop: Header=BB123_7 Depth=2
	v_mov_b32_e32 v2, v0
	v_mov_b32_e32 v3, v0
	ds_write_b128 v64, v[0:3]
.LBB123_22:                             ;   in Loop: Header=BB123_7 Depth=2
	s_or_b64 exec, exec, s[48:49]
.LBB123_23:                             ;   in Loop: Header=BB123_7 Depth=2
	s_or_b64 exec, exec, s[18:19]
	v_cmp_eq_u64_e64 s[18:19], s[42:43], v[42:43]
	s_and_b64 s[48:49], s[22:23], s[18:19]
	v_cmp_gt_i64_e64 s[18:19], v[4:5], v[40:41]
	s_or_b64 s[18:19], s[10:11], s[18:19]
	s_or_b64 s[18:19], s[18:19], s[48:49]
	;; [unrolled: 1-line block ×3, first 2 shown]
	s_xor_b64 s[12:13], s[12:13], -1
	s_and_saveexec_b64 s[18:19], s[12:13]
	s_xor_b64 s[18:19], exec, s[18:19]
	s_cbranch_execz .LBB123_25
; %bb.24:                               ;   in Loop: Header=BB123_7 Depth=2
	v_add_co_u32_e64 v2, s[12:13], v38, v18
	v_addc_co_u32_e64 v3, s[12:13], 0, v39, s[12:13]
	global_load_dwordx4 v[2:5], v[2:3], off
	s_waitcnt vmcnt(0)
	ds_write2_b64 v65, v[2:3], v[4:5] offset1:1
.LBB123_25:                             ;   in Loop: Header=BB123_7 Depth=2
	s_andn2_saveexec_b64 s[12:13], s[18:19]
	s_cbranch_execz .LBB123_31
; %bb.26:                               ;   in Loop: Header=BB123_7 Depth=2
	s_xor_b64 s[18:19], s[48:49], -1
	s_and_saveexec_b64 s[48:49], s[18:19]
	s_xor_b64 s[18:19], exec, s[48:49]
	s_cbranch_execz .LBB123_28
; %bb.27:                               ;   in Loop: Header=BB123_7 Depth=2
	v_mov_b32_e32 v2, v0
	v_mov_b32_e32 v3, v0
	;; [unrolled: 1-line block ×4, first 2 shown]
	ds_write_b128 v65, v[2:5]
.LBB123_28:                             ;   in Loop: Header=BB123_7 Depth=2
	s_andn2_saveexec_b64 s[18:19], s[18:19]
	s_cbranch_execz .LBB123_30
; %bb.29:                               ;   in Loop: Header=BB123_7 Depth=2
	v_mov_b32_e32 v2, v0
	v_mov_b32_e32 v3, v0
	ds_write_b128 v65, v[0:3]
.LBB123_30:                             ;   in Loop: Header=BB123_7 Depth=2
	s_or_b64 exec, exec, s[18:19]
.LBB123_31:                             ;   in Loop: Header=BB123_7 Depth=2
	s_or_b64 exec, exec, s[12:13]
	s_or_b64 s[12:13], s[10:11], vcc
	s_or_b64 s[12:13], s[12:13], s[46:47]
	s_or_b64 s[12:13], s[14:15], s[12:13]
	s_xor_b64 s[12:13], s[12:13], -1
	s_and_saveexec_b64 s[14:15], s[12:13]
	s_xor_b64 s[12:13], exec, s[14:15]
	s_cbranch_execz .LBB123_33
; %bb.32:                               ;   in Loop: Header=BB123_7 Depth=2
	v_add_co_u32_e32 v2, vcc, v38, v18
	v_addc_co_u32_e32 v3, vcc, 0, v39, vcc
	global_load_dwordx4 v[2:5], v[2:3], off offset:256
	s_waitcnt vmcnt(0)
	ds_write2_b64 v66, v[2:3], v[4:5] offset1:1
.LBB123_33:                             ;   in Loop: Header=BB123_7 Depth=2
	s_andn2_saveexec_b64 s[12:13], s[12:13]
	s_cbranch_execz .LBB123_39
; %bb.34:                               ;   in Loop: Header=BB123_7 Depth=2
	s_and_saveexec_b64 s[14:15], s[44:45]
	s_xor_b64 s[14:15], exec, s[14:15]
	s_cbranch_execz .LBB123_36
; %bb.35:                               ;   in Loop: Header=BB123_7 Depth=2
	v_mov_b32_e32 v2, v0
	v_mov_b32_e32 v3, v0
	;; [unrolled: 1-line block ×4, first 2 shown]
	ds_write_b128 v66, v[2:5]
.LBB123_36:                             ;   in Loop: Header=BB123_7 Depth=2
	s_andn2_saveexec_b64 s[14:15], s[14:15]
	s_cbranch_execz .LBB123_38
; %bb.37:                               ;   in Loop: Header=BB123_7 Depth=2
	v_mov_b32_e32 v2, v0
	v_mov_b32_e32 v3, v0
	ds_write_b128 v66, v[0:3]
.LBB123_38:                             ;   in Loop: Header=BB123_7 Depth=2
	s_or_b64 exec, exec, s[14:15]
.LBB123_39:                             ;   in Loop: Header=BB123_7 Depth=2
	s_or_b64 exec, exec, s[12:13]
	v_mov_b32_e32 v3, s43
	v_add_co_u32_e32 v2, vcc, s42, v14
	v_addc_co_u32_e32 v3, vcc, 0, v3, vcc
	v_add_co_u32_e32 v4, vcc, v46, v24
	v_addc_co_u32_e32 v5, vcc, v47, v25, vcc
	v_cmp_le_i64_e32 vcc, s[30:31], v[2:3]
	s_or_b64 s[12:13], vcc, s[0:1]
	s_xor_b64 s[12:13], s[12:13], -1
	s_and_saveexec_b64 s[14:15], s[12:13]
	s_xor_b64 s[12:13], exec, s[14:15]
	s_cbranch_execz .LBB123_41
; %bb.40:                               ;   in Loop: Header=BB123_7 Depth=2
	global_load_dwordx4 v[6:9], v[4:5], off offset:-256
	s_waitcnt vmcnt(0)
	ds_write2_b64 v68, v[6:7], v[8:9] offset1:1
.LBB123_41:                             ;   in Loop: Header=BB123_7 Depth=2
	s_andn2_saveexec_b64 s[12:13], s[12:13]
	s_cbranch_execz .LBB123_43
; %bb.42:                               ;   in Loop: Header=BB123_7 Depth=2
	v_mov_b32_e32 v6, v0
	v_mov_b32_e32 v7, v0
	;; [unrolled: 1-line block ×4, first 2 shown]
	ds_write_b128 v68, v[6:9]
.LBB123_43:                             ;   in Loop: Header=BB123_7 Depth=2
	s_or_b64 exec, exec, s[12:13]
	s_or_b64 s[12:13], vcc, s[2:3]
	s_xor_b64 s[12:13], s[12:13], -1
	s_and_saveexec_b64 s[14:15], s[12:13]
	s_xor_b64 s[12:13], exec, s[14:15]
	s_cbranch_execz .LBB123_45
; %bb.44:                               ;   in Loop: Header=BB123_7 Depth=2
	global_load_dwordx4 v[4:7], v[4:5], off
	s_waitcnt vmcnt(0)
	ds_write2_b64 v69, v[4:5], v[6:7] offset1:1
.LBB123_45:                             ;   in Loop: Header=BB123_7 Depth=2
	s_andn2_saveexec_b64 s[12:13], s[12:13]
	s_cbranch_execz .LBB123_47
; %bb.46:                               ;   in Loop: Header=BB123_7 Depth=2
	v_mov_b32_e32 v4, v0
	v_mov_b32_e32 v5, v0
	;; [unrolled: 1-line block ×4, first 2 shown]
	ds_write_b128 v69, v[4:7]
.LBB123_47:                             ;   in Loop: Header=BB123_7 Depth=2
	s_or_b64 exec, exec, s[12:13]
	v_cmp_le_i64_e32 vcc, s[52:53], v[2:3]
	s_or_b64 s[12:13], vcc, s[0:1]
	s_xor_b64 s[12:13], s[12:13], -1
	s_and_saveexec_b64 s[14:15], s[12:13]
	s_xor_b64 s[14:15], exec, s[14:15]
	s_cbranch_execz .LBB123_49
; %bb.48:                               ;   in Loop: Header=BB123_7 Depth=2
	v_add_co_u32_e64 v2, s[12:13], v46, v30
	v_addc_co_u32_e64 v3, s[12:13], v47, v15, s[12:13]
	global_load_dwordx4 v[2:5], v[2:3], off offset:-256
	s_waitcnt vmcnt(0)
	ds_write2_b64 v70, v[2:3], v[4:5] offset1:1
.LBB123_49:                             ;   in Loop: Header=BB123_7 Depth=2
	s_andn2_saveexec_b64 s[12:13], s[14:15]
	s_cbranch_execz .LBB123_51
; %bb.50:                               ;   in Loop: Header=BB123_7 Depth=2
	v_mov_b32_e32 v2, v0
	v_mov_b32_e32 v3, v0
	;; [unrolled: 1-line block ×4, first 2 shown]
	ds_write_b128 v70, v[2:5]
.LBB123_51:                             ;   in Loop: Header=BB123_7 Depth=2
	s_or_b64 exec, exec, s[12:13]
	s_or_b64 s[12:13], vcc, s[2:3]
	s_xor_b64 s[12:13], s[12:13], -1
	s_and_saveexec_b64 s[14:15], s[12:13]
	s_xor_b64 s[12:13], exec, s[14:15]
	s_cbranch_execz .LBB123_53
; %bb.52:                               ;   in Loop: Header=BB123_7 Depth=2
	v_add_co_u32_e32 v2, vcc, v46, v30
	v_addc_co_u32_e32 v3, vcc, v47, v15, vcc
	global_load_dwordx4 v[2:5], v[2:3], off
	s_waitcnt vmcnt(0)
	ds_write2_b64 v71, v[2:3], v[4:5] offset1:1
.LBB123_53:                             ;   in Loop: Header=BB123_7 Depth=2
	s_andn2_saveexec_b64 s[12:13], s[12:13]
	s_cbranch_execz .LBB123_6
; %bb.54:                               ;   in Loop: Header=BB123_7 Depth=2
	v_mov_b32_e32 v2, v0
	v_mov_b32_e32 v3, v0
	;; [unrolled: 1-line block ×4, first 2 shown]
	ds_write_b128 v71, v[2:5]
	s_branch .LBB123_6
.LBB123_55:                             ;   in Loop: Header=BB123_4 Depth=1
	v_mul_lo_u32 v4, v33, s20
	v_mul_lo_u32 v5, v32, s21
	v_mad_u64_u32 v[2:3], s[8:9], v32, s20, 0
	v_add3_u32 v3, v3, v5, v4
	v_lshlrev_b64 v[2:3], 4, v[2:3]
	v_mov_b32_e32 v4, s55
	v_add_co_u32_e64 v2, s[8:9], s54, v2
	v_cmp_gt_i32_e32 vcc, s30, v32
	v_addc_co_u32_e64 v3, s[8:9], v4, v3, s[8:9]
	s_and_b64 s[8:9], s[4:5], vcc
	s_and_saveexec_b64 s[10:11], s[8:9]
	s_cbranch_execz .LBB123_57
; %bb.56:                               ;   in Loop: Header=BB123_4 Depth=1
	v_add_co_u32_e64 v8, s[8:9], v2, v26
	v_addc_co_u32_e64 v9, s[8:9], v3, v27, s[8:9]
	global_load_dwordx4 v[4:7], v[8:9], off
	v_mul_f64 v[10:11], s[26:27], v[62:63]
	v_mul_f64 v[12:13], s[24:25], v[62:63]
	v_fma_f64 v[10:11], s[24:25], v[60:61], -v[10:11]
	v_fmac_f64_e32 v[12:13], s[26:27], v[60:61]
	s_waitcnt vmcnt(0)
	v_add_f64 v[4:5], v[4:5], v[10:11]
	v_add_f64 v[6:7], v[6:7], v[12:13]
	global_store_dwordx4 v[8:9], v[4:7], off
.LBB123_57:                             ;   in Loop: Header=BB123_4 Depth=1
	s_or_b64 exec, exec, s[10:11]
	s_and_b64 s[10:11], s[16:17], vcc
	s_and_saveexec_b64 s[8:9], s[10:11]
	s_cbranch_execz .LBB123_59
; %bb.58:                               ;   in Loop: Header=BB123_4 Depth=1
	v_lshlrev_b64 v[4:5], 4, v[20:21]
	v_add_co_u32_e32 v6, vcc, v2, v4
	v_addc_co_u32_e32 v7, vcc, v3, v5, vcc
	global_load_dwordx4 v[2:5], v[6:7], off
	v_mul_f64 v[8:9], s[26:27], v[58:59]
	v_mul_f64 v[10:11], s[24:25], v[58:59]
	v_fma_f64 v[8:9], s[24:25], v[54:55], -v[8:9]
	v_fmac_f64_e32 v[10:11], s[26:27], v[54:55]
	s_waitcnt vmcnt(0)
	v_add_f64 v[2:3], v[2:3], v[8:9]
	v_add_f64 v[4:5], v[4:5], v[10:11]
	global_store_dwordx4 v[6:7], v[2:5], off
.LBB123_59:                             ;   in Loop: Header=BB123_4 Depth=1
	s_or_b64 exec, exec, s[8:9]
	v_add_u32_e32 v2, 16, v32
	v_ashrrev_i32_e32 v3, 31, v2
	v_cmp_gt_i32_e32 vcc, s30, v2
	v_mul_lo_u32 v4, v3, s20
	v_mul_lo_u32 v5, v2, s21
	v_mad_u64_u32 v[2:3], s[8:9], v2, s20, 0
	v_add3_u32 v3, v3, v5, v4
	v_lshlrev_b64 v[2:3], 4, v[2:3]
	v_mov_b32_e32 v4, s55
	v_add_co_u32_e64 v2, s[8:9], s54, v2
	v_addc_co_u32_e64 v3, s[8:9], v4, v3, s[8:9]
	s_and_b64 s[8:9], s[4:5], vcc
	s_and_saveexec_b64 s[10:11], s[8:9]
	s_cbranch_execz .LBB123_61
; %bb.60:                               ;   in Loop: Header=BB123_4 Depth=1
	v_add_co_u32_e64 v8, s[8:9], v2, v26
	v_addc_co_u32_e64 v9, s[8:9], v3, v27, s[8:9]
	global_load_dwordx4 v[4:7], v[8:9], off
	v_mul_f64 v[10:11], s[26:27], v[56:57]
	v_mul_f64 v[12:13], s[24:25], v[56:57]
	v_fma_f64 v[10:11], s[24:25], v[52:53], -v[10:11]
	v_fmac_f64_e32 v[12:13], s[26:27], v[52:53]
	s_waitcnt vmcnt(0)
	v_add_f64 v[4:5], v[4:5], v[10:11]
	v_add_f64 v[6:7], v[6:7], v[12:13]
	global_store_dwordx4 v[8:9], v[4:7], off
.LBB123_61:                             ;   in Loop: Header=BB123_4 Depth=1
	s_or_b64 exec, exec, s[10:11]
	s_and_b64 s[10:11], s[16:17], vcc
	s_and_saveexec_b64 s[8:9], s[10:11]
	s_cbranch_execz .LBB123_3
; %bb.62:                               ;   in Loop: Header=BB123_4 Depth=1
	v_lshlrev_b64 v[4:5], 4, v[20:21]
	v_add_co_u32_e32 v6, vcc, v2, v4
	v_addc_co_u32_e32 v7, vcc, v3, v5, vcc
	global_load_dwordx4 v[2:5], v[6:7], off
	v_mul_f64 v[8:9], s[26:27], v[48:49]
	v_mul_f64 v[10:11], s[24:25], v[48:49]
	v_fma_f64 v[8:9], s[24:25], v[50:51], -v[8:9]
	v_fmac_f64_e32 v[10:11], s[26:27], v[50:51]
	s_waitcnt vmcnt(0)
	v_add_f64 v[2:3], v[2:3], v[8:9]
	v_add_f64 v[4:5], v[4:5], v[10:11]
	global_store_dwordx4 v[6:7], v[2:5], off
	s_branch .LBB123_3
.LBB123_63:
	s_endpgm
	.section	.rodata,"a",@progbits
	.p2align	6, 0x0
	.amdhsa_kernel _ZL30rocblas_trmm_outofplace_kernelI19rocblas_complex_numIdELi32ELi2ELb0ELb1ELb0ELb0ES1_KS1_S1_Ev17rocblas_diagonal_iiT6_lPT7_lllS6_lllPT8_llli
		.amdhsa_group_segment_fixed_size 32768
		.amdhsa_private_segment_fixed_size 0
		.amdhsa_kernarg_size 400
		.amdhsa_user_sgpr_count 6
		.amdhsa_user_sgpr_private_segment_buffer 1
		.amdhsa_user_sgpr_dispatch_ptr 0
		.amdhsa_user_sgpr_queue_ptr 0
		.amdhsa_user_sgpr_kernarg_segment_ptr 1
		.amdhsa_user_sgpr_dispatch_id 0
		.amdhsa_user_sgpr_flat_scratch_init 0
		.amdhsa_user_sgpr_kernarg_preload_length 0
		.amdhsa_user_sgpr_kernarg_preload_offset 0
		.amdhsa_user_sgpr_private_segment_size 0
		.amdhsa_uses_dynamic_stack 0
		.amdhsa_system_sgpr_private_segment_wavefront_offset 0
		.amdhsa_system_sgpr_workgroup_id_x 1
		.amdhsa_system_sgpr_workgroup_id_y 1
		.amdhsa_system_sgpr_workgroup_id_z 1
		.amdhsa_system_sgpr_workgroup_info 0
		.amdhsa_system_vgpr_workitem_id 1
		.amdhsa_next_free_vgpr 92
		.amdhsa_next_free_sgpr 60
		.amdhsa_accum_offset 92
		.amdhsa_reserve_vcc 1
		.amdhsa_reserve_flat_scratch 0
		.amdhsa_float_round_mode_32 0
		.amdhsa_float_round_mode_16_64 0
		.amdhsa_float_denorm_mode_32 3
		.amdhsa_float_denorm_mode_16_64 3
		.amdhsa_dx10_clamp 1
		.amdhsa_ieee_mode 1
		.amdhsa_fp16_overflow 0
		.amdhsa_tg_split 0
		.amdhsa_exception_fp_ieee_invalid_op 0
		.amdhsa_exception_fp_denorm_src 0
		.amdhsa_exception_fp_ieee_div_zero 0
		.amdhsa_exception_fp_ieee_overflow 0
		.amdhsa_exception_fp_ieee_underflow 0
		.amdhsa_exception_fp_ieee_inexact 0
		.amdhsa_exception_int_div_zero 0
	.end_amdhsa_kernel
	.section	.text._ZL30rocblas_trmm_outofplace_kernelI19rocblas_complex_numIdELi32ELi2ELb0ELb1ELb0ELb0ES1_KS1_S1_Ev17rocblas_diagonal_iiT6_lPT7_lllS6_lllPT8_llli,"axG",@progbits,_ZL30rocblas_trmm_outofplace_kernelI19rocblas_complex_numIdELi32ELi2ELb0ELb1ELb0ELb0ES1_KS1_S1_Ev17rocblas_diagonal_iiT6_lPT7_lllS6_lllPT8_llli,comdat
.Lfunc_end123:
	.size	_ZL30rocblas_trmm_outofplace_kernelI19rocblas_complex_numIdELi32ELi2ELb0ELb1ELb0ELb0ES1_KS1_S1_Ev17rocblas_diagonal_iiT6_lPT7_lllS6_lllPT8_llli, .Lfunc_end123-_ZL30rocblas_trmm_outofplace_kernelI19rocblas_complex_numIdELi32ELi2ELb0ELb1ELb0ELb0ES1_KS1_S1_Ev17rocblas_diagonal_iiT6_lPT7_lllS6_lllPT8_llli
                                        ; -- End function
	.section	.AMDGPU.csdata,"",@progbits
; Kernel info:
; codeLenInByte = 9548
; NumSgprs: 64
; NumVgprs: 92
; NumAgprs: 0
; TotalNumVgprs: 92
; ScratchSize: 0
; MemoryBound: 0
; FloatMode: 240
; IeeeMode: 1
; LDSByteSize: 32768 bytes/workgroup (compile time only)
; SGPRBlocks: 7
; VGPRBlocks: 11
; NumSGPRsForWavesPerEU: 64
; NumVGPRsForWavesPerEU: 92
; AccumOffset: 92
; Occupancy: 5
; WaveLimiterHint : 0
; COMPUTE_PGM_RSRC2:SCRATCH_EN: 0
; COMPUTE_PGM_RSRC2:USER_SGPR: 6
; COMPUTE_PGM_RSRC2:TRAP_HANDLER: 0
; COMPUTE_PGM_RSRC2:TGID_X_EN: 1
; COMPUTE_PGM_RSRC2:TGID_Y_EN: 1
; COMPUTE_PGM_RSRC2:TGID_Z_EN: 1
; COMPUTE_PGM_RSRC2:TIDIG_COMP_CNT: 1
; COMPUTE_PGM_RSRC3_GFX90A:ACCUM_OFFSET: 22
; COMPUTE_PGM_RSRC3_GFX90A:TG_SPLIT: 0
	.section	.text._ZL30rocblas_trmm_outofplace_kernelI19rocblas_complex_numIdELi32ELi2ELb0ELb0ELb1ELb0EPKS1_S2_S1_Ev17rocblas_diagonal_iiT6_lPT7_lllS7_lllPT8_llli,"axG",@progbits,_ZL30rocblas_trmm_outofplace_kernelI19rocblas_complex_numIdELi32ELi2ELb0ELb0ELb1ELb0EPKS1_S2_S1_Ev17rocblas_diagonal_iiT6_lPT7_lllS7_lllPT8_llli,comdat
	.globl	_ZL30rocblas_trmm_outofplace_kernelI19rocblas_complex_numIdELi32ELi2ELb0ELb0ELb1ELb0EPKS1_S2_S1_Ev17rocblas_diagonal_iiT6_lPT7_lllS7_lllPT8_llli ; -- Begin function _ZL30rocblas_trmm_outofplace_kernelI19rocblas_complex_numIdELi32ELi2ELb0ELb0ELb1ELb0EPKS1_S2_S1_Ev17rocblas_diagonal_iiT6_lPT7_lllS7_lllPT8_llli
	.p2align	8
	.type	_ZL30rocblas_trmm_outofplace_kernelI19rocblas_complex_numIdELi32ELi2ELb0ELb0ELb1ELb0EPKS1_S2_S1_Ev17rocblas_diagonal_iiT6_lPT7_lllS7_lllPT8_llli,@function
_ZL30rocblas_trmm_outofplace_kernelI19rocblas_complex_numIdELi32ELi2ELb0ELb0ELb1ELb0EPKS1_S2_S1_Ev17rocblas_diagonal_iiT6_lPT7_lllS7_lllPT8_llli: ; @_ZL30rocblas_trmm_outofplace_kernelI19rocblas_complex_numIdELi32ELi2ELb0ELb0ELb1ELb0EPKS1_S2_S1_Ev17rocblas_diagonal_iiT6_lPT7_lllS7_lllPT8_llli
; %bb.0:
	s_load_dwordx16 s[12:27], s[4:5], 0x10
	s_waitcnt lgkmcnt(0)
	s_mul_i32 s0, s8, s15
	s_mul_hi_u32 s1, s8, s14
	s_add_i32 s1, s1, s0
	s_mul_i32 s0, s8, s14
	s_lshl_b64 s[0:1], s[0:1], 4
	s_add_u32 s0, s12, s0
	s_addc_u32 s1, s13, s1
	s_load_dwordx4 s[28:31], s[0:1], 0x0
	s_waitcnt lgkmcnt(0)
	v_cmp_eq_f64_e64 s[0:1], s[28:29], 0
	v_cmp_eq_f64_e64 s[2:3], s[30:31], 0
	s_and_b64 s[0:1], s[0:1], s[2:3]
	s_and_b64 vcc, exec, s[0:1]
	s_cbranch_vccnz .LBB124_63
; %bb.1:
	s_load_dwordx4 s[44:47], s[4:5], 0x0
	s_waitcnt lgkmcnt(0)
	s_add_i32 s0, s46, -1
	s_ashr_i32 s1, s0, 31
	s_lshr_b32 s1, s1, 27
	s_add_i32 s0, s0, s1
	s_ashr_i32 s33, s0, 5
	s_cmp_gt_i32 s7, s33
	s_cbranch_scc1 .LBB124_63
; %bb.2:
	s_load_dwordx4 s[48:51], s[4:5], 0x70
	s_load_dwordx8 s[36:43], s[4:5], 0x50
	s_load_dword s52, s[4:5], 0x8c
	v_and_b32_e32 v16, 0x3ff, v0
	v_lshl_add_u32 v2, s6, 5, v16
	v_ashrrev_i32_e32 v3, 31, v2
	s_waitcnt lgkmcnt(0)
	s_mul_i32 s0, s8, s51
	s_mul_hi_u32 s1, s8, s50
	s_add_i32 s1, s1, s0
	s_mul_i32 s0, s8, s50
	s_lshl_b64 s[0:1], s[0:1], 4
	s_add_u32 s2, s40, s0
	s_addc_u32 s3, s41, s1
	s_lshl_b64 s[0:1], s[42:43], 4
	s_add_u32 s53, s2, s0
	s_addc_u32 s54, s3, s1
	s_cmpk_eq_i32 s44, 0x84
	s_cselect_b64 s[34:35], -1, 0
	s_ashr_i32 s0, s45, 31
	v_mov_b32_e32 v1, s0
	v_sub_co_u32_e32 v4, vcc, s45, v2
	v_bfe_u32 v14, v0, 10, 10
	v_subb_co_u32_e32 v5, vcc, v1, v3, vcc
	v_sub_co_u32_e64 v78, s[10:11], 0, v16
	v_cmp_gt_i64_e32 vcc, 1, v[4:5]
	v_cmp_gt_i64_e64 s[0:1], 17, v[4:5]
	v_subb_co_u32_e64 v79, s[10:11], 0, 0, s[10:11]
	v_mad_u64_u32 v[4:5], s[10:11], s36, v14, 0
	v_mov_b32_e32 v6, v5
	s_ashr_i32 s47, s46, 31
	s_lshl_b64 s[40:41], s[20:21], 9
	s_lshl_b64 s[42:43], s[36:37], 9
	v_mad_u64_u32 v[6:7], s[10:11], s37, v14, v[6:7]
	s_add_u32 s50, s46, -16
	s_mul_i32 s9, s39, s8
	s_mul_hi_u32 s10, s38, s8
	s_addc_u32 s51, s47, -1
	s_add_i32 s11, s10, s9
	s_mul_i32 s10, s38, s8
	s_lshl_b32 s6, s52, 5
	s_lshl_b64 s[10:11], s[10:11], 4
	s_lshl_b64 s[12:13], s[26:27], 4
	s_add_u32 s9, s10, s12
	s_addc_u32 s10, s11, s13
	s_add_u32 s9, s24, s9
	v_lshlrev_b64 v[24:25], 4, v[2:3]
	s_addc_u32 s10, s25, s10
	v_cmp_gt_i32_e64 s[2:3], s45, v2
	v_add_u32_e32 v18, 16, v2
	v_mov_b32_e32 v2, s10
	v_add_co_u32_e64 v3, s[10:11], s9, v24
	s_movk_i32 s14, 0x100
	v_addc_co_u32_e64 v2, s[10:11], v2, v25, s[10:11]
	v_add_co_u32_e64 v26, s[10:11], s14, v3
	v_addc_co_u32_e64 v27, s[10:11], 0, v2, s[10:11]
	s_mul_i32 s9, s23, s8
	s_mul_hi_u32 s10, s22, s8
	v_mov_b32_e32 v5, v6
	s_add_i32 s9, s10, s9
	v_mad_u64_u32 v[2:3], s[10:11], s20, v16, 0
	v_lshlrev_b64 v[22:23], 4, v[4:5]
	v_mov_b32_e32 v4, v3
	s_mul_i32 s8, s22, s8
	v_mad_u64_u32 v[4:5], s[10:11], s21, v16, v[4:5]
	s_lshl_b64 s[8:9], s[8:9], 4
	s_lshl_b64 s[10:11], s[18:19], 4
	s_add_u32 s10, s16, s10
	s_addc_u32 s11, s17, s11
	v_mov_b32_e32 v3, v4
	s_add_u32 s10, s10, s8
	v_lshlrev_b64 v[2:3], 4, v[2:3]
	s_addc_u32 s11, s11, s9
	v_mov_b32_e32 v4, s11
	v_add_co_u32_e64 v2, s[8:9], s10, v2
	v_addc_co_u32_e64 v3, s[8:9], v4, v3, s[8:9]
	v_lshlrev_b32_e32 v1, 4, v16
	v_lshlrev_b32_e32 v17, 9, v14
	v_add_co_u32_e64 v28, s[8:9], s14, v2
	v_add_u32_e32 v68, v17, v1
	v_or_b32_e32 v72, 0x4000, v1
	v_add_u32_e32 v77, 0x4100, v1
	v_addc_co_u32_e64 v29, s[8:9], 0, v3, s[8:9]
	v_add_u32_e32 v1, 0x100, v1
	v_pk_mov_b32 v[2:3], s[10:11], s[10:11] op_sel:[0,1]
	v_mad_u64_u32 v[30:31], s[8:9], s20, v1, v[2:3]
	v_mov_b32_e32 v2, v31
	v_mad_u64_u32 v[2:3], s[8:9], s21, v1, v[2:3]
	v_mov_b32_e32 v1, 0x100
	v_lshl_add_u32 v1, v14, 4, v1
	v_mad_u64_u32 v[32:33], s[8:9], s36, v1, 0
	v_mov_b32_e32 v31, v2
	v_mov_b32_e32 v2, v33
	v_add_u32_e32 v73, v72, v17
	v_mad_u64_u32 v[2:3], s[8:9], s37, v1, v[2:3]
	v_mov_b32_e32 v0, 0
	v_add_u32_e32 v69, 0x100, v68
	v_add_u32_e32 v70, 0x2000, v68
	;; [unrolled: 1-line block ×6, first 2 shown]
	v_cmp_gt_i32_e64 s[4:5], s45, v18
	v_ashrrev_i32_e32 v19, 31, v18
	v_lshl_add_u32 v20, s7, 5, v14
	v_mov_b32_e32 v15, v2
	v_mov_b32_e32 v1, 0x3ff00000
	s_branch .LBB124_4
.LBB124_3:                              ;   in Loop: Header=BB124_4 Depth=1
	s_or_b64 exec, exec, s[10:11]
	s_add_i32 s7, s52, s7
	s_cmp_le_i32 s7, s33
	v_add_u32_e32 v20, s6, v20
	s_cbranch_scc0 .LBB124_63
.LBB124_4:                              ; =>This Loop Header: Depth=1
                                        ;     Child Loop BB124_7 Depth 2
	s_lshl_b32 s38, s7, 5
	v_add_u32_e32 v34, s38, v14
	v_pk_mov_b32 v[64:65], 0, 0
	v_ashrrev_i32_e32 v35, 31, v34
	s_cmp_lt_i32 s7, 0
	v_pk_mov_b32 v[66:67], v[64:65], v[64:65] op_sel:[0,1]
	v_pk_mov_b32 v[58:59], v[64:65], v[64:65] op_sel:[0,1]
	;; [unrolled: 1-line block ×7, first 2 shown]
	s_cbranch_scc1 .LBB124_55
; %bb.5:                                ;   in Loop: Header=BB124_4 Depth=1
	v_ashrrev_i32_e32 v21, 31, v20
	v_add_co_u32_e64 v36, s[8:9], v78, v20
	v_addc_co_u32_e64 v37, s[8:9], v79, v21, s[8:9]
	v_add_co_u32_e64 v42, s[10:11], 16, v36
	v_add_co_u32_e64 v40, s[8:9], 16, v34
	v_addc_co_u32_e64 v43, s[10:11], 0, v37, s[10:11]
	v_addc_co_u32_e64 v41, s[8:9], 0, v35, s[8:9]
	v_add_co_u32_e64 v44, s[10:11], -16, v36
	v_pk_mov_b32 v[52:53], 0, 0
	v_lshlrev_b64 v[38:39], 4, v[20:21]
	v_cmp_le_i32_e64 s[16:17], s46, v34
	v_cmp_le_i64_e64 s[8:9], s[46:47], v[40:41]
	v_addc_co_u32_e64 v45, s[10:11], -1, v37, s[10:11]
	s_mov_b64 s[20:21], 0
	v_pk_mov_b32 v[46:47], v[30:31], v[30:31] op_sel:[0,1]
	v_pk_mov_b32 v[48:49], v[28:29], v[28:29] op_sel:[0,1]
	;; [unrolled: 1-line block ×10, first 2 shown]
	s_branch .LBB124_7
.LBB124_6:                              ;   in Loop: Header=BB124_7 Depth=2
	s_or_b64 exec, exec, s[10:11]
	s_waitcnt lgkmcnt(0)
	s_barrier
	ds_read_b128 v[80:83], v17
	ds_read_b128 v[10:13], v17 offset:16
	ds_read_b128 v[6:9], v17 offset:32
	;; [unrolled: 1-line block ×3, first 2 shown]
	ds_read_b128 v[84:87], v72
	v_add_co_u32_e64 v50, s[10:11], s42, v50
	s_add_u32 s20, s20, 32
	s_addc_u32 s21, s21, 0
	s_waitcnt lgkmcnt(0)
	v_mul_f64 v[88:89], v[82:83], v[86:87]
	v_mul_f64 v[90:91], v[80:81], v[86:87]
	v_fma_f64 v[88:89], v[80:81], v[84:85], -v[88:89]
	v_fmac_f64_e32 v[90:91], v[82:83], v[84:85]
	v_add_f64 v[88:89], v[64:65], v[88:89]
	v_add_f64 v[90:91], v[66:67], v[90:91]
	ds_read_b128 v[64:67], v77
	s_sub_i32 s12, s20, 32
	s_cmp_ge_i32 s12, s38
	s_waitcnt lgkmcnt(0)
	v_mul_f64 v[92:93], v[82:83], v[66:67]
	v_fma_f64 v[92:93], v[80:81], v[64:65], -v[92:93]
	v_mul_f64 v[80:81], v[80:81], v[66:67]
	v_fmac_f64_e32 v[80:81], v[82:83], v[64:65]
	v_add_f64 v[94:95], v[62:63], v[80:81]
	ds_read_b128 v[80:83], v17 offset:8192
	v_add_f64 v[92:93], v[58:59], v[92:93]
	s_waitcnt lgkmcnt(0)
	v_mul_f64 v[58:59], v[82:83], v[86:87]
	v_mul_f64 v[62:63], v[80:81], v[86:87]
	v_fma_f64 v[58:59], v[80:81], v[84:85], -v[58:59]
	v_fmac_f64_e32 v[62:63], v[82:83], v[84:85]
	v_add_f64 v[56:57], v[56:57], v[58:59]
	v_add_f64 v[58:59], v[60:61], v[62:63]
	v_mul_f64 v[60:61], v[82:83], v[66:67]
	v_mul_f64 v[62:63], v[80:81], v[66:67]
	v_fma_f64 v[60:61], v[80:81], v[64:65], -v[60:61]
	v_fmac_f64_e32 v[62:63], v[82:83], v[64:65]
	v_add_f64 v[54:55], v[54:55], v[60:61]
	v_add_f64 v[52:53], v[52:53], v[62:63]
	ds_read_b128 v[60:63], v72 offset:512
	s_waitcnt lgkmcnt(0)
	v_mul_f64 v[64:65], v[12:13], v[62:63]
	v_mul_f64 v[66:67], v[10:11], v[62:63]
	v_fma_f64 v[64:65], v[10:11], v[60:61], -v[64:65]
	v_fmac_f64_e32 v[66:67], v[12:13], v[60:61]
	v_add_f64 v[80:81], v[88:89], v[64:65]
	v_add_f64 v[82:83], v[90:91], v[66:67]
	ds_read_b128 v[64:67], v77 offset:512
	s_waitcnt lgkmcnt(0)
	v_mul_f64 v[84:85], v[12:13], v[66:67]
	v_fma_f64 v[84:85], v[10:11], v[64:65], -v[84:85]
	v_mul_f64 v[10:11], v[10:11], v[66:67]
	v_fmac_f64_e32 v[10:11], v[12:13], v[64:65]
	v_add_f64 v[86:87], v[94:95], v[10:11]
	ds_read_b128 v[10:13], v17 offset:8208
	v_add_f64 v[84:85], v[92:93], v[84:85]
	s_waitcnt lgkmcnt(0)
	v_mul_f64 v[88:89], v[12:13], v[62:63]
	v_mul_f64 v[62:63], v[10:11], v[62:63]
	v_fma_f64 v[88:89], v[10:11], v[60:61], -v[88:89]
	v_fmac_f64_e32 v[62:63], v[12:13], v[60:61]
	v_mul_f64 v[60:61], v[12:13], v[66:67]
	v_fma_f64 v[60:61], v[10:11], v[64:65], -v[60:61]
	v_mul_f64 v[10:11], v[10:11], v[66:67]
	v_fmac_f64_e32 v[10:11], v[12:13], v[64:65]
	v_add_f64 v[58:59], v[58:59], v[62:63]
	v_add_f64 v[62:63], v[52:53], v[10:11]
	ds_read_b128 v[10:13], v72 offset:1024
	v_add_f64 v[60:61], v[54:55], v[60:61]
	v_add_f64 v[56:57], v[56:57], v[88:89]
	s_waitcnt lgkmcnt(0)
	v_mul_f64 v[52:53], v[8:9], v[12:13]
	v_mul_f64 v[54:55], v[6:7], v[12:13]
	v_fma_f64 v[52:53], v[6:7], v[10:11], -v[52:53]
	v_fmac_f64_e32 v[54:55], v[8:9], v[10:11]
	v_add_f64 v[64:65], v[80:81], v[52:53]
	v_add_f64 v[66:67], v[82:83], v[54:55]
	ds_read_b128 v[52:55], v77 offset:1024
	s_waitcnt lgkmcnt(0)
	v_mul_f64 v[80:81], v[8:9], v[54:55]
	v_fma_f64 v[80:81], v[6:7], v[52:53], -v[80:81]
	v_mul_f64 v[6:7], v[6:7], v[54:55]
	v_fmac_f64_e32 v[6:7], v[8:9], v[52:53]
	v_add_f64 v[82:83], v[86:87], v[6:7]
	ds_read_b128 v[6:9], v17 offset:8224
	v_add_f64 v[80:81], v[84:85], v[80:81]
	s_waitcnt lgkmcnt(0)
	v_mul_f64 v[84:85], v[8:9], v[12:13]
	v_fma_f64 v[84:85], v[6:7], v[10:11], -v[84:85]
	v_mul_f64 v[12:13], v[6:7], v[12:13]
	v_fmac_f64_e32 v[12:13], v[8:9], v[10:11]
	v_add_f64 v[10:11], v[56:57], v[84:85]
	v_mul_f64 v[56:57], v[8:9], v[54:55]
	v_mul_f64 v[54:55], v[6:7], v[54:55]
	v_fmac_f64_e32 v[54:55], v[8:9], v[52:53]
	v_fma_f64 v[56:57], v[6:7], v[52:53], -v[56:57]
	v_add_f64 v[8:9], v[62:63], v[54:55]
	ds_read_b128 v[52:55], v72 offset:1536
	v_add_f64 v[12:13], v[58:59], v[12:13]
	v_add_f64 v[6:7], v[60:61], v[56:57]
	s_waitcnt lgkmcnt(0)
	v_mul_f64 v[56:57], v[4:5], v[54:55]
	v_mul_f64 v[58:59], v[2:3], v[54:55]
	v_fma_f64 v[56:57], v[2:3], v[52:53], -v[56:57]
	v_fmac_f64_e32 v[58:59], v[4:5], v[52:53]
	v_add_f64 v[60:61], v[64:65], v[56:57]
	v_add_f64 v[62:63], v[66:67], v[58:59]
	ds_read_b128 v[56:59], v77 offset:1536
	s_waitcnt lgkmcnt(0)
	v_mul_f64 v[64:65], v[4:5], v[58:59]
	v_fma_f64 v[64:65], v[2:3], v[56:57], -v[64:65]
	v_mul_f64 v[2:3], v[2:3], v[58:59]
	v_fmac_f64_e32 v[2:3], v[4:5], v[56:57]
	v_add_f64 v[66:67], v[82:83], v[2:3]
	ds_read_b128 v[2:5], v17 offset:8240
	v_add_f64 v[64:65], v[80:81], v[64:65]
	s_waitcnt lgkmcnt(0)
	v_mul_f64 v[80:81], v[4:5], v[54:55]
	v_fma_f64 v[80:81], v[2:3], v[52:53], -v[80:81]
	v_mul_f64 v[54:55], v[2:3], v[54:55]
	v_fmac_f64_e32 v[54:55], v[4:5], v[52:53]
	v_add_f64 v[52:53], v[10:11], v[80:81]
	v_mul_f64 v[10:11], v[4:5], v[58:59]
	v_fma_f64 v[10:11], v[2:3], v[56:57], -v[10:11]
	v_mul_f64 v[2:3], v[2:3], v[58:59]
	v_fmac_f64_e32 v[2:3], v[4:5], v[56:57]
	v_add_f64 v[56:57], v[6:7], v[10:11]
	v_add_f64 v[58:59], v[8:9], v[2:3]
	ds_read_b128 v[2:5], v17 offset:64
	ds_read_b128 v[6:9], v72 offset:2048
	v_add_f64 v[54:55], v[12:13], v[54:55]
	s_waitcnt lgkmcnt(0)
	v_mul_f64 v[10:11], v[4:5], v[8:9]
	v_mul_f64 v[12:13], v[2:3], v[8:9]
	v_fma_f64 v[10:11], v[2:3], v[6:7], -v[10:11]
	v_fmac_f64_e32 v[12:13], v[4:5], v[6:7]
	v_add_f64 v[60:61], v[60:61], v[10:11]
	v_add_f64 v[62:63], v[62:63], v[12:13]
	ds_read_b128 v[10:13], v77 offset:2048
	s_waitcnt lgkmcnt(0)
	v_mul_f64 v[80:81], v[4:5], v[12:13]
	v_fma_f64 v[80:81], v[2:3], v[10:11], -v[80:81]
	v_mul_f64 v[2:3], v[2:3], v[12:13]
	v_fmac_f64_e32 v[2:3], v[4:5], v[10:11]
	v_add_f64 v[66:67], v[66:67], v[2:3]
	ds_read_b128 v[2:5], v17 offset:8256
	v_add_f64 v[64:65], v[64:65], v[80:81]
	s_waitcnt lgkmcnt(0)
	v_mul_f64 v[80:81], v[4:5], v[8:9]
	v_fma_f64 v[80:81], v[2:3], v[6:7], -v[80:81]
	v_mul_f64 v[8:9], v[2:3], v[8:9]
	v_fmac_f64_e32 v[8:9], v[4:5], v[6:7]
	v_add_f64 v[6:7], v[52:53], v[80:81]
	v_mul_f64 v[52:53], v[4:5], v[12:13]
	v_mul_f64 v[12:13], v[2:3], v[12:13]
	v_fma_f64 v[52:53], v[2:3], v[10:11], -v[52:53]
	v_fmac_f64_e32 v[12:13], v[4:5], v[10:11]
	v_add_f64 v[8:9], v[54:55], v[8:9]
	v_add_f64 v[2:3], v[56:57], v[52:53]
	v_add_f64 v[4:5], v[58:59], v[12:13]
	ds_read_b128 v[10:13], v17 offset:80
	ds_read_b128 v[52:55], v72 offset:2560
	s_waitcnt lgkmcnt(0)
	v_mul_f64 v[56:57], v[12:13], v[54:55]
	v_mul_f64 v[58:59], v[10:11], v[54:55]
	v_fma_f64 v[56:57], v[10:11], v[52:53], -v[56:57]
	v_fmac_f64_e32 v[58:59], v[12:13], v[52:53]
	v_add_f64 v[60:61], v[60:61], v[56:57]
	v_add_f64 v[62:63], v[62:63], v[58:59]
	ds_read_b128 v[56:59], v77 offset:2560
	s_waitcnt lgkmcnt(0)
	v_mul_f64 v[80:81], v[12:13], v[58:59]
	v_fma_f64 v[80:81], v[10:11], v[56:57], -v[80:81]
	v_mul_f64 v[10:11], v[10:11], v[58:59]
	v_fmac_f64_e32 v[10:11], v[12:13], v[56:57]
	v_add_f64 v[66:67], v[66:67], v[10:11]
	ds_read_b128 v[10:13], v17 offset:8272
	v_add_f64 v[64:65], v[64:65], v[80:81]
	s_waitcnt lgkmcnt(0)
	v_mul_f64 v[80:81], v[12:13], v[54:55]
	v_mul_f64 v[54:55], v[10:11], v[54:55]
	v_fma_f64 v[80:81], v[10:11], v[52:53], -v[80:81]
	v_fmac_f64_e32 v[54:55], v[12:13], v[52:53]
	v_add_f64 v[52:53], v[6:7], v[80:81]
	v_add_f64 v[54:55], v[8:9], v[54:55]
	v_mul_f64 v[6:7], v[12:13], v[58:59]
	v_mul_f64 v[8:9], v[10:11], v[58:59]
	v_fma_f64 v[6:7], v[10:11], v[56:57], -v[6:7]
	v_fmac_f64_e32 v[8:9], v[12:13], v[56:57]
	v_add_f64 v[56:57], v[2:3], v[6:7]
	v_add_f64 v[58:59], v[4:5], v[8:9]
	ds_read_b128 v[2:5], v17 offset:96
	ds_read_b128 v[6:9], v72 offset:3072
	s_waitcnt lgkmcnt(0)
	v_mul_f64 v[10:11], v[4:5], v[8:9]
	v_mul_f64 v[12:13], v[2:3], v[8:9]
	v_fma_f64 v[10:11], v[2:3], v[6:7], -v[10:11]
	v_fmac_f64_e32 v[12:13], v[4:5], v[6:7]
	v_add_f64 v[60:61], v[60:61], v[10:11]
	v_add_f64 v[62:63], v[62:63], v[12:13]
	ds_read_b128 v[10:13], v77 offset:3072
	s_waitcnt lgkmcnt(0)
	v_mul_f64 v[80:81], v[4:5], v[12:13]
	v_fma_f64 v[80:81], v[2:3], v[10:11], -v[80:81]
	v_mul_f64 v[2:3], v[2:3], v[12:13]
	v_fmac_f64_e32 v[2:3], v[4:5], v[10:11]
	v_add_f64 v[66:67], v[66:67], v[2:3]
	ds_read_b128 v[2:5], v17 offset:8288
	v_add_f64 v[64:65], v[64:65], v[80:81]
	s_waitcnt lgkmcnt(0)
	v_mul_f64 v[80:81], v[4:5], v[8:9]
	v_fma_f64 v[80:81], v[2:3], v[6:7], -v[80:81]
	v_mul_f64 v[8:9], v[2:3], v[8:9]
	v_fmac_f64_e32 v[8:9], v[4:5], v[6:7]
	v_add_f64 v[6:7], v[52:53], v[80:81]
	v_mul_f64 v[52:53], v[4:5], v[12:13]
	v_mul_f64 v[12:13], v[2:3], v[12:13]
	v_fma_f64 v[52:53], v[2:3], v[10:11], -v[52:53]
	v_fmac_f64_e32 v[12:13], v[4:5], v[10:11]
	v_add_f64 v[8:9], v[54:55], v[8:9]
	v_add_f64 v[2:3], v[56:57], v[52:53]
	v_add_f64 v[4:5], v[58:59], v[12:13]
	ds_read_b128 v[10:13], v17 offset:112
	ds_read_b128 v[52:55], v72 offset:3584
	s_waitcnt lgkmcnt(0)
	v_mul_f64 v[56:57], v[12:13], v[54:55]
	v_mul_f64 v[58:59], v[10:11], v[54:55]
	v_fma_f64 v[56:57], v[10:11], v[52:53], -v[56:57]
	v_fmac_f64_e32 v[58:59], v[12:13], v[52:53]
	v_add_f64 v[60:61], v[60:61], v[56:57]
	v_add_f64 v[62:63], v[62:63], v[58:59]
	ds_read_b128 v[56:59], v77 offset:3584
	s_waitcnt lgkmcnt(0)
	v_mul_f64 v[80:81], v[12:13], v[58:59]
	v_fma_f64 v[80:81], v[10:11], v[56:57], -v[80:81]
	v_mul_f64 v[10:11], v[10:11], v[58:59]
	v_fmac_f64_e32 v[10:11], v[12:13], v[56:57]
	v_add_f64 v[66:67], v[66:67], v[10:11]
	ds_read_b128 v[10:13], v17 offset:8304
	v_add_f64 v[64:65], v[64:65], v[80:81]
	s_waitcnt lgkmcnt(0)
	v_mul_f64 v[80:81], v[12:13], v[54:55]
	v_mul_f64 v[54:55], v[10:11], v[54:55]
	v_fma_f64 v[80:81], v[10:11], v[52:53], -v[80:81]
	v_fmac_f64_e32 v[54:55], v[12:13], v[52:53]
	v_add_f64 v[52:53], v[6:7], v[80:81]
	v_add_f64 v[54:55], v[8:9], v[54:55]
	v_mul_f64 v[6:7], v[12:13], v[58:59]
	v_mul_f64 v[8:9], v[10:11], v[58:59]
	v_fma_f64 v[6:7], v[10:11], v[56:57], -v[6:7]
	v_fmac_f64_e32 v[8:9], v[12:13], v[56:57]
	v_add_f64 v[56:57], v[2:3], v[6:7]
	v_add_f64 v[58:59], v[4:5], v[8:9]
	ds_read_b128 v[2:5], v17 offset:128
	ds_read_b128 v[6:9], v72 offset:4096
	;; [unrolled: 62-line block ×13, first 2 shown]
	s_waitcnt lgkmcnt(0)
	v_mul_f64 v[10:11], v[4:5], v[8:9]
	v_mul_f64 v[12:13], v[2:3], v[8:9]
	v_fma_f64 v[10:11], v[2:3], v[6:7], -v[10:11]
	v_fmac_f64_e32 v[12:13], v[4:5], v[6:7]
	v_add_f64 v[60:61], v[60:61], v[10:11]
	v_add_f64 v[62:63], v[62:63], v[12:13]
	ds_read_b128 v[10:13], v77 offset:15360
	s_waitcnt lgkmcnt(0)
	v_mul_f64 v[80:81], v[4:5], v[12:13]
	v_fma_f64 v[80:81], v[2:3], v[10:11], -v[80:81]
	v_mul_f64 v[2:3], v[2:3], v[12:13]
	v_fmac_f64_e32 v[2:3], v[4:5], v[10:11]
	v_add_f64 v[86:87], v[66:67], v[2:3]
	ds_read_b128 v[2:5], v17 offset:8672
	v_add_f64 v[84:85], v[64:65], v[80:81]
	s_waitcnt lgkmcnt(0)
	v_mul_f64 v[64:65], v[4:5], v[8:9]
	v_fma_f64 v[64:65], v[2:3], v[6:7], -v[64:65]
	v_mul_f64 v[8:9], v[2:3], v[8:9]
	v_fmac_f64_e32 v[8:9], v[4:5], v[6:7]
	v_add_f64 v[6:7], v[52:53], v[64:65]
	v_mul_f64 v[52:53], v[4:5], v[12:13]
	v_mul_f64 v[12:13], v[2:3], v[12:13]
	v_fma_f64 v[52:53], v[2:3], v[10:11], -v[52:53]
	v_fmac_f64_e32 v[12:13], v[4:5], v[10:11]
	v_add_f64 v[8:9], v[54:55], v[8:9]
	v_add_f64 v[2:3], v[56:57], v[52:53]
	;; [unrolled: 1-line block ×3, first 2 shown]
	ds_read_b128 v[10:13], v17 offset:496
	ds_read_b128 v[52:55], v72 offset:15872
	;; [unrolled: 1-line block ×3, first 2 shown]
	s_waitcnt lgkmcnt(1)
	v_mul_f64 v[56:57], v[12:13], v[54:55]
	v_fma_f64 v[56:57], v[10:11], v[52:53], -v[56:57]
	v_add_f64 v[64:65], v[60:61], v[56:57]
	s_waitcnt lgkmcnt(0)
	v_mul_f64 v[56:57], v[12:13], v[82:83]
	v_mul_f64 v[58:59], v[10:11], v[54:55]
	v_fma_f64 v[56:57], v[10:11], v[80:81], -v[56:57]
	v_mul_f64 v[10:11], v[10:11], v[82:83]
	v_fmac_f64_e32 v[58:59], v[12:13], v[52:53]
	v_fmac_f64_e32 v[10:11], v[12:13], v[80:81]
	v_add_f64 v[66:67], v[62:63], v[58:59]
	v_add_f64 v[62:63], v[86:87], v[10:11]
	ds_read_b128 v[10:13], v17 offset:8688
	v_add_f64 v[58:59], v[84:85], v[56:57]
	s_waitcnt lgkmcnt(0)
	s_barrier
	v_mul_f64 v[56:57], v[12:13], v[54:55]
	v_fma_f64 v[56:57], v[10:11], v[52:53], -v[56:57]
	v_mul_f64 v[54:55], v[10:11], v[54:55]
	v_add_f64 v[56:57], v[6:7], v[56:57]
	v_mul_f64 v[6:7], v[12:13], v[82:83]
	v_fmac_f64_e32 v[54:55], v[12:13], v[52:53]
	v_fma_f64 v[6:7], v[10:11], v[80:81], -v[6:7]
	v_add_f64 v[60:61], v[8:9], v[54:55]
	v_add_f64 v[54:55], v[2:3], v[6:7]
	v_mov_b32_e32 v2, s43
	v_addc_co_u32_e64 v51, s[10:11], v51, v2, s[10:11]
	v_add_co_u32_e64 v48, s[10:11], s40, v48
	v_mov_b32_e32 v2, s41
	v_mul_f64 v[8:9], v[10:11], v[82:83]
	v_addc_co_u32_e64 v49, s[10:11], v49, v2, s[10:11]
	v_fmac_f64_e32 v[8:9], v[12:13], v[80:81]
	v_add_co_u32_e64 v46, s[10:11], s40, v46
	v_add_f64 v[52:53], v[4:5], v[8:9]
	v_addc_co_u32_e64 v47, s[10:11], v47, v2, s[10:11]
	s_cbranch_scc1 .LBB124_55
.LBB124_7:                              ;   Parent Loop BB124_4 Depth=1
                                        ; =>  This Inner Loop Header: Depth=2
	v_mov_b32_e32 v2, s21
	v_add_co_u32_e64 v6, s[10:11], s20, v16
	v_addc_co_u32_e64 v7, s[10:11], 0, v2, s[10:11]
	v_add_co_u32_e64 v4, s[10:11], v48, v38
	v_addc_co_u32_e64 v5, s[10:11], v49, v39, s[10:11]
	v_cmp_eq_u64_e64 s[10:11], s[20:21], v[36:37]
	s_and_b64 s[24:25], s[34:35], s[10:11]
	v_cmp_gt_i64_e64 s[10:11], v[6:7], v[34:35]
	s_or_b64 s[14:15], s[16:17], s[10:11]
	v_cmp_le_i64_e64 s[12:13], s[46:47], v[6:7]
	s_or_b64 s[14:15], s[14:15], s[24:25]
	s_or_b64 s[14:15], s[12:13], s[14:15]
	s_xor_b64 s[14:15], s[14:15], -1
	s_and_saveexec_b64 s[18:19], s[14:15]
	s_xor_b64 s[14:15], exec, s[18:19]
	s_cbranch_execz .LBB124_9
; %bb.8:                                ;   in Loop: Header=BB124_7 Depth=2
	global_load_dwordx4 v[8:11], v[4:5], off offset:-256
	s_waitcnt vmcnt(0)
	ds_write2_b64 v68, v[8:9], v[10:11] offset1:1
.LBB124_9:                              ;   in Loop: Header=BB124_7 Depth=2
	s_or_saveexec_b64 s[14:15], s[14:15]
	s_xor_b64 s[22:23], s[24:25], -1
	s_xor_b64 exec, exec, s[14:15]
	s_cbranch_execz .LBB124_15
; %bb.10:                               ;   in Loop: Header=BB124_7 Depth=2
	s_and_saveexec_b64 s[18:19], s[22:23]
	s_xor_b64 s[18:19], exec, s[18:19]
	s_cbranch_execz .LBB124_12
; %bb.11:                               ;   in Loop: Header=BB124_7 Depth=2
	v_mov_b32_e32 v8, v0
	v_mov_b32_e32 v9, v0
	;; [unrolled: 1-line block ×4, first 2 shown]
	ds_write_b128 v68, v[8:11]
.LBB124_12:                             ;   in Loop: Header=BB124_7 Depth=2
	s_andn2_saveexec_b64 s[18:19], s[18:19]
	s_cbranch_execz .LBB124_14
; %bb.13:                               ;   in Loop: Header=BB124_7 Depth=2
	v_mov_b32_e32 v2, v0
	v_mov_b32_e32 v3, v0
	ds_write_b128 v68, v[0:3]
.LBB124_14:                             ;   in Loop: Header=BB124_7 Depth=2
	s_or_b64 exec, exec, s[18:19]
.LBB124_15:                             ;   in Loop: Header=BB124_7 Depth=2
	s_or_b64 exec, exec, s[14:15]
	v_add_co_u32_e64 v2, s[14:15], 16, v6
	v_addc_co_u32_e64 v3, s[14:15], 0, v7, s[14:15]
	v_cmp_eq_u64_e64 s[14:15], s[20:21], v[44:45]
	v_cmp_gt_i64_e64 s[18:19], v[2:3], v[34:35]
	s_and_b64 s[26:27], s[34:35], s[14:15]
	s_or_b64 s[18:19], s[16:17], s[18:19]
	v_cmp_le_i64_e64 s[14:15], s[46:47], v[2:3]
	s_or_b64 s[18:19], s[18:19], s[26:27]
	s_or_b64 s[18:19], s[14:15], s[18:19]
	s_xor_b64 s[18:19], s[18:19], -1
	s_and_saveexec_b64 s[36:37], s[18:19]
	s_xor_b64 s[36:37], exec, s[36:37]
	s_cbranch_execz .LBB124_17
; %bb.16:                               ;   in Loop: Header=BB124_7 Depth=2
	v_add_co_u32_e64 v2, s[18:19], v46, v38
	v_addc_co_u32_e64 v3, s[18:19], v47, v39, s[18:19]
	global_load_dwordx4 v[8:11], v[2:3], off
	s_waitcnt vmcnt(0)
	ds_write2_b64 v69, v[8:9], v[10:11] offset1:1
.LBB124_17:                             ;   in Loop: Header=BB124_7 Depth=2
	s_andn2_saveexec_b64 s[18:19], s[36:37]
	s_cbranch_execz .LBB124_23
; %bb.18:                               ;   in Loop: Header=BB124_7 Depth=2
	s_xor_b64 s[26:27], s[26:27], -1
	s_and_saveexec_b64 s[36:37], s[26:27]
	s_xor_b64 s[26:27], exec, s[36:37]
	s_cbranch_execz .LBB124_20
; %bb.19:                               ;   in Loop: Header=BB124_7 Depth=2
	v_mov_b32_e32 v8, v0
	v_mov_b32_e32 v9, v0
	;; [unrolled: 1-line block ×4, first 2 shown]
	ds_write_b128 v69, v[8:11]
.LBB124_20:                             ;   in Loop: Header=BB124_7 Depth=2
	s_andn2_saveexec_b64 s[26:27], s[26:27]
	s_cbranch_execz .LBB124_22
; %bb.21:                               ;   in Loop: Header=BB124_7 Depth=2
	v_mov_b32_e32 v2, v0
	v_mov_b32_e32 v3, v0
	ds_write_b128 v69, v[0:3]
.LBB124_22:                             ;   in Loop: Header=BB124_7 Depth=2
	s_or_b64 exec, exec, s[26:27]
.LBB124_23:                             ;   in Loop: Header=BB124_7 Depth=2
	s_or_b64 exec, exec, s[18:19]
	v_cmp_eq_u64_e64 s[18:19], s[20:21], v[42:43]
	s_and_b64 s[26:27], s[34:35], s[18:19]
	v_cmp_gt_i64_e64 s[18:19], v[6:7], v[40:41]
	s_or_b64 s[18:19], s[8:9], s[18:19]
	s_or_b64 s[18:19], s[18:19], s[26:27]
	;; [unrolled: 1-line block ×3, first 2 shown]
	s_xor_b64 s[12:13], s[12:13], -1
	s_and_saveexec_b64 s[18:19], s[12:13]
	s_xor_b64 s[12:13], exec, s[18:19]
	s_cbranch_execz .LBB124_25
; %bb.24:                               ;   in Loop: Header=BB124_7 Depth=2
	global_load_dwordx4 v[2:5], v[4:5], off
	s_waitcnt vmcnt(0)
	ds_write2_b64 v70, v[2:3], v[4:5] offset1:1
.LBB124_25:                             ;   in Loop: Header=BB124_7 Depth=2
	s_andn2_saveexec_b64 s[12:13], s[12:13]
	s_cbranch_execz .LBB124_31
; %bb.26:                               ;   in Loop: Header=BB124_7 Depth=2
	s_xor_b64 s[18:19], s[26:27], -1
	s_and_saveexec_b64 s[26:27], s[18:19]
	s_xor_b64 s[18:19], exec, s[26:27]
	s_cbranch_execz .LBB124_28
; %bb.27:                               ;   in Loop: Header=BB124_7 Depth=2
	v_mov_b32_e32 v2, v0
	v_mov_b32_e32 v3, v0
	;; [unrolled: 1-line block ×4, first 2 shown]
	ds_write_b128 v70, v[2:5]
.LBB124_28:                             ;   in Loop: Header=BB124_7 Depth=2
	s_andn2_saveexec_b64 s[18:19], s[18:19]
	s_cbranch_execz .LBB124_30
; %bb.29:                               ;   in Loop: Header=BB124_7 Depth=2
	v_mov_b32_e32 v2, v0
	v_mov_b32_e32 v3, v0
	ds_write_b128 v70, v[0:3]
.LBB124_30:                             ;   in Loop: Header=BB124_7 Depth=2
	s_or_b64 exec, exec, s[18:19]
.LBB124_31:                             ;   in Loop: Header=BB124_7 Depth=2
	s_or_b64 exec, exec, s[12:13]
	s_or_b64 s[10:11], s[8:9], s[10:11]
	s_or_b64 s[10:11], s[10:11], s[24:25]
	;; [unrolled: 1-line block ×3, first 2 shown]
	s_xor_b64 s[10:11], s[10:11], -1
	s_and_saveexec_b64 s[12:13], s[10:11]
	s_xor_b64 s[12:13], exec, s[12:13]
	s_cbranch_execz .LBB124_33
; %bb.32:                               ;   in Loop: Header=BB124_7 Depth=2
	v_add_co_u32_e64 v2, s[10:11], v46, v38
	v_addc_co_u32_e64 v3, s[10:11], v47, v39, s[10:11]
	global_load_dwordx4 v[2:5], v[2:3], off offset:256
	s_waitcnt vmcnt(0)
	ds_write2_b64 v71, v[2:3], v[4:5] offset1:1
.LBB124_33:                             ;   in Loop: Header=BB124_7 Depth=2
	s_andn2_saveexec_b64 s[10:11], s[12:13]
	s_cbranch_execz .LBB124_39
; %bb.34:                               ;   in Loop: Header=BB124_7 Depth=2
	s_and_saveexec_b64 s[12:13], s[22:23]
	s_xor_b64 s[12:13], exec, s[12:13]
	s_cbranch_execz .LBB124_36
; %bb.35:                               ;   in Loop: Header=BB124_7 Depth=2
	v_mov_b32_e32 v2, v0
	v_mov_b32_e32 v3, v0
	;; [unrolled: 1-line block ×4, first 2 shown]
	ds_write_b128 v71, v[2:5]
.LBB124_36:                             ;   in Loop: Header=BB124_7 Depth=2
	s_andn2_saveexec_b64 s[12:13], s[12:13]
	s_cbranch_execz .LBB124_38
; %bb.37:                               ;   in Loop: Header=BB124_7 Depth=2
	v_mov_b32_e32 v2, v0
	v_mov_b32_e32 v3, v0
	ds_write_b128 v71, v[0:3]
.LBB124_38:                             ;   in Loop: Header=BB124_7 Depth=2
	s_or_b64 exec, exec, s[12:13]
.LBB124_39:                             ;   in Loop: Header=BB124_7 Depth=2
	s_or_b64 exec, exec, s[10:11]
	v_mov_b32_e32 v3, s21
	v_add_co_u32_e64 v2, s[10:11], s20, v14
	v_addc_co_u32_e64 v3, s[10:11], 0, v3, s[10:11]
	v_add_co_u32_e64 v4, s[10:11], v50, v22
	v_addc_co_u32_e64 v5, s[10:11], v51, v23, s[10:11]
	v_cmp_le_i64_e64 s[10:11], s[46:47], v[2:3]
	s_or_b64 s[12:13], s[10:11], vcc
	s_xor_b64 s[12:13], s[12:13], -1
	s_and_saveexec_b64 s[14:15], s[12:13]
	s_xor_b64 s[12:13], exec, s[14:15]
	s_cbranch_execz .LBB124_41
; %bb.40:                               ;   in Loop: Header=BB124_7 Depth=2
	global_load_dwordx4 v[6:9], v[4:5], off offset:-256
	s_waitcnt vmcnt(0)
	ds_write2_b64 v73, v[6:7], v[8:9] offset1:1
.LBB124_41:                             ;   in Loop: Header=BB124_7 Depth=2
	s_andn2_saveexec_b64 s[12:13], s[12:13]
	s_cbranch_execz .LBB124_43
; %bb.42:                               ;   in Loop: Header=BB124_7 Depth=2
	v_mov_b32_e32 v6, v0
	v_mov_b32_e32 v7, v0
	;; [unrolled: 1-line block ×4, first 2 shown]
	ds_write_b128 v73, v[6:9]
.LBB124_43:                             ;   in Loop: Header=BB124_7 Depth=2
	s_or_b64 exec, exec, s[12:13]
	s_or_b64 s[10:11], s[10:11], s[0:1]
	s_xor_b64 s[10:11], s[10:11], -1
	s_and_saveexec_b64 s[12:13], s[10:11]
	s_xor_b64 s[10:11], exec, s[12:13]
	s_cbranch_execz .LBB124_45
; %bb.44:                               ;   in Loop: Header=BB124_7 Depth=2
	global_load_dwordx4 v[4:7], v[4:5], off
	s_waitcnt vmcnt(0)
	ds_write2_b64 v74, v[4:5], v[6:7] offset1:1
.LBB124_45:                             ;   in Loop: Header=BB124_7 Depth=2
	s_andn2_saveexec_b64 s[10:11], s[10:11]
	s_cbranch_execz .LBB124_47
; %bb.46:                               ;   in Loop: Header=BB124_7 Depth=2
	v_mov_b32_e32 v4, v0
	v_mov_b32_e32 v5, v0
	;; [unrolled: 1-line block ×4, first 2 shown]
	ds_write_b128 v74, v[4:7]
.LBB124_47:                             ;   in Loop: Header=BB124_7 Depth=2
	s_or_b64 exec, exec, s[10:11]
	v_cmp_le_i64_e64 s[10:11], s[50:51], v[2:3]
	s_or_b64 s[12:13], s[10:11], vcc
	s_xor_b64 s[12:13], s[12:13], -1
	s_and_saveexec_b64 s[14:15], s[12:13]
	s_xor_b64 s[14:15], exec, s[14:15]
	s_cbranch_execz .LBB124_49
; %bb.48:                               ;   in Loop: Header=BB124_7 Depth=2
	v_add_co_u32_e64 v2, s[12:13], v50, v32
	v_addc_co_u32_e64 v3, s[12:13], v51, v15, s[12:13]
	global_load_dwordx4 v[2:5], v[2:3], off offset:-256
	s_waitcnt vmcnt(0)
	ds_write2_b64 v75, v[2:3], v[4:5] offset1:1
.LBB124_49:                             ;   in Loop: Header=BB124_7 Depth=2
	s_andn2_saveexec_b64 s[12:13], s[14:15]
	s_cbranch_execz .LBB124_51
; %bb.50:                               ;   in Loop: Header=BB124_7 Depth=2
	v_mov_b32_e32 v2, v0
	v_mov_b32_e32 v3, v0
	;; [unrolled: 1-line block ×4, first 2 shown]
	ds_write_b128 v75, v[2:5]
.LBB124_51:                             ;   in Loop: Header=BB124_7 Depth=2
	s_or_b64 exec, exec, s[12:13]
	s_or_b64 s[10:11], s[10:11], s[0:1]
	s_xor_b64 s[10:11], s[10:11], -1
	s_and_saveexec_b64 s[12:13], s[10:11]
	s_xor_b64 s[12:13], exec, s[12:13]
	s_cbranch_execz .LBB124_53
; %bb.52:                               ;   in Loop: Header=BB124_7 Depth=2
	v_add_co_u32_e64 v2, s[10:11], v50, v32
	v_addc_co_u32_e64 v3, s[10:11], v51, v15, s[10:11]
	global_load_dwordx4 v[2:5], v[2:3], off
	s_waitcnt vmcnt(0)
	ds_write2_b64 v76, v[2:3], v[4:5] offset1:1
.LBB124_53:                             ;   in Loop: Header=BB124_7 Depth=2
	s_andn2_saveexec_b64 s[10:11], s[12:13]
	s_cbranch_execz .LBB124_6
; %bb.54:                               ;   in Loop: Header=BB124_7 Depth=2
	v_mov_b32_e32 v2, v0
	v_mov_b32_e32 v3, v0
	v_mov_b32_e32 v4, v0
	v_mov_b32_e32 v5, v0
	ds_write_b128 v76, v[2:5]
	s_branch .LBB124_6
.LBB124_55:                             ;   in Loop: Header=BB124_4 Depth=1
	v_mul_lo_u32 v4, v35, s48
	v_mul_lo_u32 v5, v34, s49
	v_mad_u64_u32 v[2:3], s[10:11], v34, s48, 0
	v_add3_u32 v3, v3, v5, v4
	v_lshlrev_b64 v[2:3], 4, v[2:3]
	v_mov_b32_e32 v4, s54
	v_add_co_u32_e64 v2, s[10:11], s53, v2
	v_cmp_gt_i32_e64 s[8:9], s46, v34
	v_addc_co_u32_e64 v3, s[10:11], v4, v3, s[10:11]
	s_and_b64 s[10:11], s[2:3], s[8:9]
	s_and_saveexec_b64 s[12:13], s[10:11]
	s_cbranch_execz .LBB124_57
; %bb.56:                               ;   in Loop: Header=BB124_4 Depth=1
	v_add_co_u32_e64 v8, s[10:11], v2, v24
	v_addc_co_u32_e64 v9, s[10:11], v3, v25, s[10:11]
	global_load_dwordx4 v[4:7], v[8:9], off
	v_mul_f64 v[10:11], s[30:31], v[66:67]
	v_mul_f64 v[12:13], s[28:29], v[66:67]
	v_fma_f64 v[10:11], s[28:29], v[64:65], -v[10:11]
	v_fmac_f64_e32 v[12:13], s[30:31], v[64:65]
	s_waitcnt vmcnt(0)
	v_add_f64 v[4:5], v[4:5], v[10:11]
	v_add_f64 v[6:7], v[6:7], v[12:13]
	global_store_dwordx4 v[8:9], v[4:7], off
.LBB124_57:                             ;   in Loop: Header=BB124_4 Depth=1
	s_or_b64 exec, exec, s[12:13]
	s_and_b64 s[8:9], s[4:5], s[8:9]
	s_and_saveexec_b64 s[10:11], s[8:9]
	s_cbranch_execz .LBB124_59
; %bb.58:                               ;   in Loop: Header=BB124_4 Depth=1
	v_lshlrev_b64 v[4:5], 4, v[18:19]
	v_add_co_u32_e64 v6, s[8:9], v2, v4
	v_addc_co_u32_e64 v7, s[8:9], v3, v5, s[8:9]
	global_load_dwordx4 v[2:5], v[6:7], off
	v_mul_f64 v[8:9], s[30:31], v[62:63]
	v_mul_f64 v[10:11], s[28:29], v[62:63]
	v_fma_f64 v[8:9], s[28:29], v[58:59], -v[8:9]
	v_fmac_f64_e32 v[10:11], s[30:31], v[58:59]
	s_waitcnt vmcnt(0)
	v_add_f64 v[2:3], v[2:3], v[8:9]
	v_add_f64 v[4:5], v[4:5], v[10:11]
	global_store_dwordx4 v[6:7], v[2:5], off
.LBB124_59:                             ;   in Loop: Header=BB124_4 Depth=1
	s_or_b64 exec, exec, s[10:11]
	v_add_u32_e32 v2, 16, v34
	v_ashrrev_i32_e32 v3, 31, v2
	v_cmp_gt_i32_e64 s[8:9], s46, v2
	v_mul_lo_u32 v4, v3, s48
	v_mul_lo_u32 v5, v2, s49
	v_mad_u64_u32 v[2:3], s[10:11], v2, s48, 0
	v_add3_u32 v3, v3, v5, v4
	v_lshlrev_b64 v[2:3], 4, v[2:3]
	v_mov_b32_e32 v4, s54
	v_add_co_u32_e64 v2, s[10:11], s53, v2
	v_addc_co_u32_e64 v3, s[10:11], v4, v3, s[10:11]
	s_and_b64 s[10:11], s[2:3], s[8:9]
	s_and_saveexec_b64 s[12:13], s[10:11]
	s_cbranch_execz .LBB124_61
; %bb.60:                               ;   in Loop: Header=BB124_4 Depth=1
	v_add_co_u32_e64 v8, s[10:11], v2, v24
	v_addc_co_u32_e64 v9, s[10:11], v3, v25, s[10:11]
	global_load_dwordx4 v[4:7], v[8:9], off
	v_mul_f64 v[10:11], s[30:31], v[60:61]
	v_mul_f64 v[12:13], s[28:29], v[60:61]
	v_fma_f64 v[10:11], s[28:29], v[56:57], -v[10:11]
	v_fmac_f64_e32 v[12:13], s[30:31], v[56:57]
	s_waitcnt vmcnt(0)
	v_add_f64 v[4:5], v[4:5], v[10:11]
	v_add_f64 v[6:7], v[6:7], v[12:13]
	global_store_dwordx4 v[8:9], v[4:7], off
.LBB124_61:                             ;   in Loop: Header=BB124_4 Depth=1
	s_or_b64 exec, exec, s[12:13]
	s_and_b64 s[8:9], s[4:5], s[8:9]
	s_and_saveexec_b64 s[10:11], s[8:9]
	s_cbranch_execz .LBB124_3
; %bb.62:                               ;   in Loop: Header=BB124_4 Depth=1
	v_lshlrev_b64 v[4:5], 4, v[18:19]
	v_add_co_u32_e64 v6, s[8:9], v2, v4
	v_addc_co_u32_e64 v7, s[8:9], v3, v5, s[8:9]
	global_load_dwordx4 v[2:5], v[6:7], off
	v_mul_f64 v[8:9], s[30:31], v[52:53]
	v_mul_f64 v[10:11], s[28:29], v[52:53]
	v_fma_f64 v[8:9], s[28:29], v[54:55], -v[8:9]
	v_fmac_f64_e32 v[10:11], s[30:31], v[54:55]
	s_waitcnt vmcnt(0)
	v_add_f64 v[2:3], v[2:3], v[8:9]
	v_add_f64 v[4:5], v[4:5], v[10:11]
	global_store_dwordx4 v[6:7], v[2:5], off
	s_branch .LBB124_3
.LBB124_63:
	s_endpgm
	.section	.rodata,"a",@progbits
	.p2align	6, 0x0
	.amdhsa_kernel _ZL30rocblas_trmm_outofplace_kernelI19rocblas_complex_numIdELi32ELi2ELb0ELb0ELb1ELb0EPKS1_S2_S1_Ev17rocblas_diagonal_iiT6_lPT7_lllS7_lllPT8_llli
		.amdhsa_group_segment_fixed_size 32768
		.amdhsa_private_segment_fixed_size 0
		.amdhsa_kernarg_size 392
		.amdhsa_user_sgpr_count 6
		.amdhsa_user_sgpr_private_segment_buffer 1
		.amdhsa_user_sgpr_dispatch_ptr 0
		.amdhsa_user_sgpr_queue_ptr 0
		.amdhsa_user_sgpr_kernarg_segment_ptr 1
		.amdhsa_user_sgpr_dispatch_id 0
		.amdhsa_user_sgpr_flat_scratch_init 0
		.amdhsa_user_sgpr_kernarg_preload_length 0
		.amdhsa_user_sgpr_kernarg_preload_offset 0
		.amdhsa_user_sgpr_private_segment_size 0
		.amdhsa_uses_dynamic_stack 0
		.amdhsa_system_sgpr_private_segment_wavefront_offset 0
		.amdhsa_system_sgpr_workgroup_id_x 1
		.amdhsa_system_sgpr_workgroup_id_y 1
		.amdhsa_system_sgpr_workgroup_id_z 1
		.amdhsa_system_sgpr_workgroup_info 0
		.amdhsa_system_vgpr_workitem_id 1
		.amdhsa_next_free_vgpr 96
		.amdhsa_next_free_sgpr 55
		.amdhsa_accum_offset 96
		.amdhsa_reserve_vcc 1
		.amdhsa_reserve_flat_scratch 0
		.amdhsa_float_round_mode_32 0
		.amdhsa_float_round_mode_16_64 0
		.amdhsa_float_denorm_mode_32 3
		.amdhsa_float_denorm_mode_16_64 3
		.amdhsa_dx10_clamp 1
		.amdhsa_ieee_mode 1
		.amdhsa_fp16_overflow 0
		.amdhsa_tg_split 0
		.amdhsa_exception_fp_ieee_invalid_op 0
		.amdhsa_exception_fp_denorm_src 0
		.amdhsa_exception_fp_ieee_div_zero 0
		.amdhsa_exception_fp_ieee_overflow 0
		.amdhsa_exception_fp_ieee_underflow 0
		.amdhsa_exception_fp_ieee_inexact 0
		.amdhsa_exception_int_div_zero 0
	.end_amdhsa_kernel
	.section	.text._ZL30rocblas_trmm_outofplace_kernelI19rocblas_complex_numIdELi32ELi2ELb0ELb0ELb1ELb0EPKS1_S2_S1_Ev17rocblas_diagonal_iiT6_lPT7_lllS7_lllPT8_llli,"axG",@progbits,_ZL30rocblas_trmm_outofplace_kernelI19rocblas_complex_numIdELi32ELi2ELb0ELb0ELb1ELb0EPKS1_S2_S1_Ev17rocblas_diagonal_iiT6_lPT7_lllS7_lllPT8_llli,comdat
.Lfunc_end124:
	.size	_ZL30rocblas_trmm_outofplace_kernelI19rocblas_complex_numIdELi32ELi2ELb0ELb0ELb1ELb0EPKS1_S2_S1_Ev17rocblas_diagonal_iiT6_lPT7_lllS7_lllPT8_llli, .Lfunc_end124-_ZL30rocblas_trmm_outofplace_kernelI19rocblas_complex_numIdELi32ELi2ELb0ELb0ELb1ELb0EPKS1_S2_S1_Ev17rocblas_diagonal_iiT6_lPT7_lllS7_lllPT8_llli
                                        ; -- End function
	.section	.AMDGPU.csdata,"",@progbits
; Kernel info:
; codeLenInByte = 9760
; NumSgprs: 59
; NumVgprs: 96
; NumAgprs: 0
; TotalNumVgprs: 96
; ScratchSize: 0
; MemoryBound: 0
; FloatMode: 240
; IeeeMode: 1
; LDSByteSize: 32768 bytes/workgroup (compile time only)
; SGPRBlocks: 7
; VGPRBlocks: 11
; NumSGPRsForWavesPerEU: 59
; NumVGPRsForWavesPerEU: 96
; AccumOffset: 96
; Occupancy: 5
; WaveLimiterHint : 0
; COMPUTE_PGM_RSRC2:SCRATCH_EN: 0
; COMPUTE_PGM_RSRC2:USER_SGPR: 6
; COMPUTE_PGM_RSRC2:TRAP_HANDLER: 0
; COMPUTE_PGM_RSRC2:TGID_X_EN: 1
; COMPUTE_PGM_RSRC2:TGID_Y_EN: 1
; COMPUTE_PGM_RSRC2:TGID_Z_EN: 1
; COMPUTE_PGM_RSRC2:TIDIG_COMP_CNT: 1
; COMPUTE_PGM_RSRC3_GFX90A:ACCUM_OFFSET: 23
; COMPUTE_PGM_RSRC3_GFX90A:TG_SPLIT: 0
	.section	.text._ZL30rocblas_trmm_outofplace_kernelI19rocblas_complex_numIdELi32ELi2ELb0ELb0ELb1ELb0ES1_KS1_S1_Ev17rocblas_diagonal_iiT6_lPT7_lllS6_lllPT8_llli,"axG",@progbits,_ZL30rocblas_trmm_outofplace_kernelI19rocblas_complex_numIdELi32ELi2ELb0ELb0ELb1ELb0ES1_KS1_S1_Ev17rocblas_diagonal_iiT6_lPT7_lllS6_lllPT8_llli,comdat
	.globl	_ZL30rocblas_trmm_outofplace_kernelI19rocblas_complex_numIdELi32ELi2ELb0ELb0ELb1ELb0ES1_KS1_S1_Ev17rocblas_diagonal_iiT6_lPT7_lllS6_lllPT8_llli ; -- Begin function _ZL30rocblas_trmm_outofplace_kernelI19rocblas_complex_numIdELi32ELi2ELb0ELb0ELb1ELb0ES1_KS1_S1_Ev17rocblas_diagonal_iiT6_lPT7_lllS6_lllPT8_llli
	.p2align	8
	.type	_ZL30rocblas_trmm_outofplace_kernelI19rocblas_complex_numIdELi32ELi2ELb0ELb0ELb1ELb0ES1_KS1_S1_Ev17rocblas_diagonal_iiT6_lPT7_lllS6_lllPT8_llli,@function
_ZL30rocblas_trmm_outofplace_kernelI19rocblas_complex_numIdELi32ELi2ELb0ELb0ELb1ELb0ES1_KS1_S1_Ev17rocblas_diagonal_iiT6_lPT7_lllS6_lllPT8_llli: ; @_ZL30rocblas_trmm_outofplace_kernelI19rocblas_complex_numIdELi32ELi2ELb0ELb0ELb1ELb0ES1_KS1_S1_Ev17rocblas_diagonal_iiT6_lPT7_lllS6_lllPT8_llli
; %bb.0:
	s_load_dwordx4 s[28:31], s[4:5], 0x10
	s_waitcnt lgkmcnt(0)
	v_cmp_eq_f64_e64 s[0:1], s[28:29], 0
	v_cmp_eq_f64_e64 s[2:3], s[30:31], 0
	s_and_b64 s[0:1], s[0:1], s[2:3]
	s_and_b64 vcc, exec, s[0:1]
	s_cbranch_vccnz .LBB125_63
; %bb.1:
	s_load_dwordx4 s[44:47], s[4:5], 0x0
	s_waitcnt lgkmcnt(0)
	s_add_i32 s0, s46, -1
	s_ashr_i32 s1, s0, 31
	s_lshr_b32 s1, s1, 27
	s_add_i32 s0, s0, s1
	s_ashr_i32 s33, s0, 5
	s_cmp_gt_i32 s7, s33
	s_cbranch_scc1 .LBB125_63
; %bb.2:
	s_load_dwordx8 s[36:43], s[4:5], 0x68
	s_load_dwordx16 s[12:27], s[4:5], 0x28
	v_and_b32_e32 v16, 0x3ff, v0
	v_lshl_add_u32 v2, s6, 5, v16
	v_ashrrev_i32_e32 v3, 31, v2
	s_waitcnt lgkmcnt(0)
	s_mul_i32 s1, s8, s43
	s_mul_hi_u32 s2, s8, s42
	s_mul_i32 s0, s8, s42
	s_add_i32 s1, s2, s1
	s_lshl_b64 s[0:1], s[0:1], 4
	s_add_u32 s2, s36, s0
	s_addc_u32 s3, s37, s1
	s_lshl_b64 s[0:1], s[38:39], 4
	s_add_u32 s48, s2, s0
	s_addc_u32 s49, s3, s1
	s_cmpk_eq_i32 s44, 0x84
	s_cselect_b64 s[34:35], -1, 0
	s_ashr_i32 s0, s45, 31
	v_mov_b32_e32 v1, s0
	v_sub_co_u32_e32 v4, vcc, s45, v2
	v_bfe_u32 v14, v0, 10, 10
	v_subb_co_u32_e32 v5, vcc, v1, v3, vcc
	v_sub_co_u32_e64 v78, s[10:11], 0, v16
	s_load_dword s6, s[4:5], 0x94
	v_cmp_gt_i64_e32 vcc, 1, v[4:5]
	v_cmp_gt_i64_e64 s[0:1], 17, v[4:5]
	v_subb_co_u32_e64 v79, s[10:11], 0, 0, s[10:11]
	v_mad_u64_u32 v[4:5], s[10:11], s24, v14, 0
	v_mov_b32_e32 v6, v5
	s_ashr_i32 s47, s46, 31
	s_lshl_b64 s[36:37], s[16:17], 9
	s_lshl_b64 s[38:39], s[24:25], 9
	v_mad_u64_u32 v[6:7], s[10:11], s25, v14, v[6:7]
	s_add_u32 s42, s46, -16
	s_mul_i32 s9, s27, s8
	s_mul_hi_u32 s10, s26, s8
	s_addc_u32 s43, s47, -1
	s_add_i32 s11, s10, s9
	s_mul_i32 s10, s26, s8
	s_waitcnt lgkmcnt(0)
	s_lshl_b32 s50, s6, 5
	s_lshl_b64 s[10:11], s[10:11], 4
	s_lshl_b64 s[22:23], s[22:23], 4
	s_add_u32 s9, s10, s22
	s_addc_u32 s10, s11, s23
	s_add_u32 s9, s20, s9
	v_lshlrev_b64 v[24:25], 4, v[2:3]
	s_addc_u32 s10, s21, s10
	v_cmp_gt_i32_e64 s[2:3], s45, v2
	v_add_u32_e32 v18, 16, v2
	v_mov_b32_e32 v2, s10
	v_add_co_u32_e64 v3, s[10:11], s9, v24
	s_movk_i32 s44, 0x100
	v_addc_co_u32_e64 v2, s[10:11], v2, v25, s[10:11]
	v_add_co_u32_e64 v26, s[10:11], s44, v3
	v_addc_co_u32_e64 v27, s[10:11], 0, v2, s[10:11]
	s_mul_i32 s9, s19, s8
	s_mul_hi_u32 s10, s18, s8
	v_mov_b32_e32 v5, v6
	s_add_i32 s9, s10, s9
	v_mad_u64_u32 v[2:3], s[10:11], s16, v16, 0
	v_lshlrev_b64 v[22:23], 4, v[4:5]
	v_mov_b32_e32 v4, v3
	s_mul_i32 s8, s18, s8
	v_mad_u64_u32 v[4:5], s[10:11], s17, v16, v[4:5]
	s_lshl_b64 s[8:9], s[8:9], 4
	s_lshl_b64 s[10:11], s[14:15], 4
	s_add_u32 s10, s12, s10
	s_addc_u32 s11, s13, s11
	v_mov_b32_e32 v3, v4
	s_add_u32 s10, s10, s8
	v_lshlrev_b64 v[2:3], 4, v[2:3]
	s_addc_u32 s11, s11, s9
	v_mov_b32_e32 v4, s11
	v_add_co_u32_e64 v2, s[8:9], s10, v2
	v_addc_co_u32_e64 v3, s[8:9], v4, v3, s[8:9]
	v_lshlrev_b32_e32 v1, 4, v16
	v_lshlrev_b32_e32 v17, 9, v14
	v_add_co_u32_e64 v28, s[8:9], s44, v2
	v_add_u32_e32 v68, v17, v1
	v_or_b32_e32 v72, 0x4000, v1
	v_add_u32_e32 v77, 0x4100, v1
	v_addc_co_u32_e64 v29, s[8:9], 0, v3, s[8:9]
	v_add_u32_e32 v1, 0x100, v1
	v_pk_mov_b32 v[2:3], s[10:11], s[10:11] op_sel:[0,1]
	v_mad_u64_u32 v[30:31], s[8:9], s16, v1, v[2:3]
	v_mov_b32_e32 v2, v31
	v_mad_u64_u32 v[2:3], s[8:9], s17, v1, v[2:3]
	v_mov_b32_e32 v1, 0x100
	v_lshl_add_u32 v1, v14, 4, v1
	v_mad_u64_u32 v[32:33], s[8:9], s24, v1, 0
	v_mov_b32_e32 v31, v2
	v_mov_b32_e32 v2, v33
	v_add_u32_e32 v73, v72, v17
	v_mad_u64_u32 v[2:3], s[8:9], s25, v1, v[2:3]
	v_mov_b32_e32 v0, 0
	v_add_u32_e32 v69, 0x100, v68
	v_add_u32_e32 v70, 0x2000, v68
	;; [unrolled: 1-line block ×6, first 2 shown]
	v_cmp_gt_i32_e64 s[4:5], s45, v18
	v_ashrrev_i32_e32 v19, 31, v18
	v_lshl_add_u32 v20, s7, 5, v14
	v_mov_b32_e32 v15, v2
	v_mov_b32_e32 v1, 0x3ff00000
	s_branch .LBB125_4
.LBB125_3:                              ;   in Loop: Header=BB125_4 Depth=1
	s_or_b64 exec, exec, s[10:11]
	s_add_i32 s7, s6, s7
	s_cmp_le_i32 s7, s33
	v_add_u32_e32 v20, s50, v20
	s_cbranch_scc0 .LBB125_63
.LBB125_4:                              ; =>This Loop Header: Depth=1
                                        ;     Child Loop BB125_7 Depth 2
	s_lshl_b32 s51, s7, 5
	v_add_u32_e32 v34, s51, v14
	v_pk_mov_b32 v[64:65], 0, 0
	v_ashrrev_i32_e32 v35, 31, v34
	s_cmp_lt_i32 s7, 0
	v_pk_mov_b32 v[66:67], v[64:65], v[64:65] op_sel:[0,1]
	v_pk_mov_b32 v[58:59], v[64:65], v[64:65] op_sel:[0,1]
	;; [unrolled: 1-line block ×7, first 2 shown]
	s_cbranch_scc1 .LBB125_55
; %bb.5:                                ;   in Loop: Header=BB125_4 Depth=1
	v_ashrrev_i32_e32 v21, 31, v20
	v_add_co_u32_e64 v36, s[8:9], v78, v20
	v_addc_co_u32_e64 v37, s[8:9], v79, v21, s[8:9]
	v_add_co_u32_e64 v42, s[10:11], 16, v36
	v_add_co_u32_e64 v40, s[8:9], 16, v34
	v_addc_co_u32_e64 v43, s[10:11], 0, v37, s[10:11]
	v_addc_co_u32_e64 v41, s[8:9], 0, v35, s[8:9]
	v_add_co_u32_e64 v44, s[10:11], -16, v36
	v_pk_mov_b32 v[52:53], 0, 0
	v_lshlrev_b64 v[38:39], 4, v[20:21]
	v_cmp_le_i32_e64 s[16:17], s46, v34
	v_cmp_le_i64_e64 s[8:9], s[46:47], v[40:41]
	v_addc_co_u32_e64 v45, s[10:11], -1, v37, s[10:11]
	s_mov_b64 s[20:21], 0
	v_pk_mov_b32 v[46:47], v[30:31], v[30:31] op_sel:[0,1]
	v_pk_mov_b32 v[48:49], v[28:29], v[28:29] op_sel:[0,1]
	;; [unrolled: 1-line block ×10, first 2 shown]
	s_branch .LBB125_7
.LBB125_6:                              ;   in Loop: Header=BB125_7 Depth=2
	s_or_b64 exec, exec, s[10:11]
	s_waitcnt lgkmcnt(0)
	s_barrier
	ds_read_b128 v[80:83], v17
	ds_read_b128 v[10:13], v17 offset:16
	ds_read_b128 v[6:9], v17 offset:32
	;; [unrolled: 1-line block ×3, first 2 shown]
	ds_read_b128 v[84:87], v72
	v_add_co_u32_e64 v50, s[10:11], s38, v50
	s_add_u32 s20, s20, 32
	s_addc_u32 s21, s21, 0
	s_waitcnt lgkmcnt(0)
	v_mul_f64 v[88:89], v[82:83], v[86:87]
	v_mul_f64 v[90:91], v[80:81], v[86:87]
	v_fma_f64 v[88:89], v[80:81], v[84:85], -v[88:89]
	v_fmac_f64_e32 v[90:91], v[82:83], v[84:85]
	v_add_f64 v[88:89], v[64:65], v[88:89]
	v_add_f64 v[90:91], v[66:67], v[90:91]
	ds_read_b128 v[64:67], v77
	s_sub_i32 s12, s20, 32
	s_cmp_ge_i32 s12, s51
	s_waitcnt lgkmcnt(0)
	v_mul_f64 v[92:93], v[82:83], v[66:67]
	v_fma_f64 v[92:93], v[80:81], v[64:65], -v[92:93]
	v_mul_f64 v[80:81], v[80:81], v[66:67]
	v_fmac_f64_e32 v[80:81], v[82:83], v[64:65]
	v_add_f64 v[94:95], v[62:63], v[80:81]
	ds_read_b128 v[80:83], v17 offset:8192
	v_add_f64 v[92:93], v[58:59], v[92:93]
	s_waitcnt lgkmcnt(0)
	v_mul_f64 v[58:59], v[82:83], v[86:87]
	v_mul_f64 v[62:63], v[80:81], v[86:87]
	v_fma_f64 v[58:59], v[80:81], v[84:85], -v[58:59]
	v_fmac_f64_e32 v[62:63], v[82:83], v[84:85]
	v_add_f64 v[56:57], v[56:57], v[58:59]
	v_add_f64 v[58:59], v[60:61], v[62:63]
	v_mul_f64 v[60:61], v[82:83], v[66:67]
	v_mul_f64 v[62:63], v[80:81], v[66:67]
	v_fma_f64 v[60:61], v[80:81], v[64:65], -v[60:61]
	v_fmac_f64_e32 v[62:63], v[82:83], v[64:65]
	v_add_f64 v[54:55], v[54:55], v[60:61]
	v_add_f64 v[52:53], v[52:53], v[62:63]
	ds_read_b128 v[60:63], v72 offset:512
	s_waitcnt lgkmcnt(0)
	v_mul_f64 v[64:65], v[12:13], v[62:63]
	v_mul_f64 v[66:67], v[10:11], v[62:63]
	v_fma_f64 v[64:65], v[10:11], v[60:61], -v[64:65]
	v_fmac_f64_e32 v[66:67], v[12:13], v[60:61]
	v_add_f64 v[80:81], v[88:89], v[64:65]
	v_add_f64 v[82:83], v[90:91], v[66:67]
	ds_read_b128 v[64:67], v77 offset:512
	s_waitcnt lgkmcnt(0)
	v_mul_f64 v[84:85], v[12:13], v[66:67]
	v_fma_f64 v[84:85], v[10:11], v[64:65], -v[84:85]
	v_mul_f64 v[10:11], v[10:11], v[66:67]
	v_fmac_f64_e32 v[10:11], v[12:13], v[64:65]
	v_add_f64 v[86:87], v[94:95], v[10:11]
	ds_read_b128 v[10:13], v17 offset:8208
	v_add_f64 v[84:85], v[92:93], v[84:85]
	s_waitcnt lgkmcnt(0)
	v_mul_f64 v[88:89], v[12:13], v[62:63]
	v_mul_f64 v[62:63], v[10:11], v[62:63]
	v_fma_f64 v[88:89], v[10:11], v[60:61], -v[88:89]
	v_fmac_f64_e32 v[62:63], v[12:13], v[60:61]
	v_mul_f64 v[60:61], v[12:13], v[66:67]
	v_fma_f64 v[60:61], v[10:11], v[64:65], -v[60:61]
	v_mul_f64 v[10:11], v[10:11], v[66:67]
	v_fmac_f64_e32 v[10:11], v[12:13], v[64:65]
	v_add_f64 v[58:59], v[58:59], v[62:63]
	v_add_f64 v[62:63], v[52:53], v[10:11]
	ds_read_b128 v[10:13], v72 offset:1024
	v_add_f64 v[60:61], v[54:55], v[60:61]
	v_add_f64 v[56:57], v[56:57], v[88:89]
	s_waitcnt lgkmcnt(0)
	v_mul_f64 v[52:53], v[8:9], v[12:13]
	v_mul_f64 v[54:55], v[6:7], v[12:13]
	v_fma_f64 v[52:53], v[6:7], v[10:11], -v[52:53]
	v_fmac_f64_e32 v[54:55], v[8:9], v[10:11]
	v_add_f64 v[64:65], v[80:81], v[52:53]
	v_add_f64 v[66:67], v[82:83], v[54:55]
	ds_read_b128 v[52:55], v77 offset:1024
	s_waitcnt lgkmcnt(0)
	v_mul_f64 v[80:81], v[8:9], v[54:55]
	v_fma_f64 v[80:81], v[6:7], v[52:53], -v[80:81]
	v_mul_f64 v[6:7], v[6:7], v[54:55]
	v_fmac_f64_e32 v[6:7], v[8:9], v[52:53]
	v_add_f64 v[82:83], v[86:87], v[6:7]
	ds_read_b128 v[6:9], v17 offset:8224
	v_add_f64 v[80:81], v[84:85], v[80:81]
	s_waitcnt lgkmcnt(0)
	v_mul_f64 v[84:85], v[8:9], v[12:13]
	v_fma_f64 v[84:85], v[6:7], v[10:11], -v[84:85]
	v_mul_f64 v[12:13], v[6:7], v[12:13]
	v_fmac_f64_e32 v[12:13], v[8:9], v[10:11]
	v_add_f64 v[10:11], v[56:57], v[84:85]
	v_mul_f64 v[56:57], v[8:9], v[54:55]
	v_mul_f64 v[54:55], v[6:7], v[54:55]
	v_fmac_f64_e32 v[54:55], v[8:9], v[52:53]
	v_fma_f64 v[56:57], v[6:7], v[52:53], -v[56:57]
	v_add_f64 v[8:9], v[62:63], v[54:55]
	ds_read_b128 v[52:55], v72 offset:1536
	v_add_f64 v[12:13], v[58:59], v[12:13]
	v_add_f64 v[6:7], v[60:61], v[56:57]
	s_waitcnt lgkmcnt(0)
	v_mul_f64 v[56:57], v[4:5], v[54:55]
	v_mul_f64 v[58:59], v[2:3], v[54:55]
	v_fma_f64 v[56:57], v[2:3], v[52:53], -v[56:57]
	v_fmac_f64_e32 v[58:59], v[4:5], v[52:53]
	v_add_f64 v[60:61], v[64:65], v[56:57]
	v_add_f64 v[62:63], v[66:67], v[58:59]
	ds_read_b128 v[56:59], v77 offset:1536
	s_waitcnt lgkmcnt(0)
	v_mul_f64 v[64:65], v[4:5], v[58:59]
	v_fma_f64 v[64:65], v[2:3], v[56:57], -v[64:65]
	v_mul_f64 v[2:3], v[2:3], v[58:59]
	v_fmac_f64_e32 v[2:3], v[4:5], v[56:57]
	v_add_f64 v[66:67], v[82:83], v[2:3]
	ds_read_b128 v[2:5], v17 offset:8240
	v_add_f64 v[64:65], v[80:81], v[64:65]
	s_waitcnt lgkmcnt(0)
	v_mul_f64 v[80:81], v[4:5], v[54:55]
	v_fma_f64 v[80:81], v[2:3], v[52:53], -v[80:81]
	v_mul_f64 v[54:55], v[2:3], v[54:55]
	v_fmac_f64_e32 v[54:55], v[4:5], v[52:53]
	v_add_f64 v[52:53], v[10:11], v[80:81]
	v_mul_f64 v[10:11], v[4:5], v[58:59]
	v_fma_f64 v[10:11], v[2:3], v[56:57], -v[10:11]
	v_mul_f64 v[2:3], v[2:3], v[58:59]
	v_fmac_f64_e32 v[2:3], v[4:5], v[56:57]
	v_add_f64 v[56:57], v[6:7], v[10:11]
	v_add_f64 v[58:59], v[8:9], v[2:3]
	ds_read_b128 v[2:5], v17 offset:64
	ds_read_b128 v[6:9], v72 offset:2048
	v_add_f64 v[54:55], v[12:13], v[54:55]
	s_waitcnt lgkmcnt(0)
	v_mul_f64 v[10:11], v[4:5], v[8:9]
	v_mul_f64 v[12:13], v[2:3], v[8:9]
	v_fma_f64 v[10:11], v[2:3], v[6:7], -v[10:11]
	v_fmac_f64_e32 v[12:13], v[4:5], v[6:7]
	v_add_f64 v[60:61], v[60:61], v[10:11]
	v_add_f64 v[62:63], v[62:63], v[12:13]
	ds_read_b128 v[10:13], v77 offset:2048
	s_waitcnt lgkmcnt(0)
	v_mul_f64 v[80:81], v[4:5], v[12:13]
	v_fma_f64 v[80:81], v[2:3], v[10:11], -v[80:81]
	v_mul_f64 v[2:3], v[2:3], v[12:13]
	v_fmac_f64_e32 v[2:3], v[4:5], v[10:11]
	v_add_f64 v[66:67], v[66:67], v[2:3]
	ds_read_b128 v[2:5], v17 offset:8256
	v_add_f64 v[64:65], v[64:65], v[80:81]
	s_waitcnt lgkmcnt(0)
	v_mul_f64 v[80:81], v[4:5], v[8:9]
	v_fma_f64 v[80:81], v[2:3], v[6:7], -v[80:81]
	v_mul_f64 v[8:9], v[2:3], v[8:9]
	v_fmac_f64_e32 v[8:9], v[4:5], v[6:7]
	v_add_f64 v[6:7], v[52:53], v[80:81]
	v_mul_f64 v[52:53], v[4:5], v[12:13]
	v_mul_f64 v[12:13], v[2:3], v[12:13]
	v_fma_f64 v[52:53], v[2:3], v[10:11], -v[52:53]
	v_fmac_f64_e32 v[12:13], v[4:5], v[10:11]
	v_add_f64 v[8:9], v[54:55], v[8:9]
	v_add_f64 v[2:3], v[56:57], v[52:53]
	v_add_f64 v[4:5], v[58:59], v[12:13]
	ds_read_b128 v[10:13], v17 offset:80
	ds_read_b128 v[52:55], v72 offset:2560
	s_waitcnt lgkmcnt(0)
	v_mul_f64 v[56:57], v[12:13], v[54:55]
	v_mul_f64 v[58:59], v[10:11], v[54:55]
	v_fma_f64 v[56:57], v[10:11], v[52:53], -v[56:57]
	v_fmac_f64_e32 v[58:59], v[12:13], v[52:53]
	v_add_f64 v[60:61], v[60:61], v[56:57]
	v_add_f64 v[62:63], v[62:63], v[58:59]
	ds_read_b128 v[56:59], v77 offset:2560
	s_waitcnt lgkmcnt(0)
	v_mul_f64 v[80:81], v[12:13], v[58:59]
	v_fma_f64 v[80:81], v[10:11], v[56:57], -v[80:81]
	v_mul_f64 v[10:11], v[10:11], v[58:59]
	v_fmac_f64_e32 v[10:11], v[12:13], v[56:57]
	v_add_f64 v[66:67], v[66:67], v[10:11]
	ds_read_b128 v[10:13], v17 offset:8272
	v_add_f64 v[64:65], v[64:65], v[80:81]
	s_waitcnt lgkmcnt(0)
	v_mul_f64 v[80:81], v[12:13], v[54:55]
	v_mul_f64 v[54:55], v[10:11], v[54:55]
	v_fma_f64 v[80:81], v[10:11], v[52:53], -v[80:81]
	v_fmac_f64_e32 v[54:55], v[12:13], v[52:53]
	v_add_f64 v[52:53], v[6:7], v[80:81]
	v_add_f64 v[54:55], v[8:9], v[54:55]
	v_mul_f64 v[6:7], v[12:13], v[58:59]
	v_mul_f64 v[8:9], v[10:11], v[58:59]
	v_fma_f64 v[6:7], v[10:11], v[56:57], -v[6:7]
	v_fmac_f64_e32 v[8:9], v[12:13], v[56:57]
	v_add_f64 v[56:57], v[2:3], v[6:7]
	v_add_f64 v[58:59], v[4:5], v[8:9]
	ds_read_b128 v[2:5], v17 offset:96
	ds_read_b128 v[6:9], v72 offset:3072
	s_waitcnt lgkmcnt(0)
	v_mul_f64 v[10:11], v[4:5], v[8:9]
	v_mul_f64 v[12:13], v[2:3], v[8:9]
	v_fma_f64 v[10:11], v[2:3], v[6:7], -v[10:11]
	v_fmac_f64_e32 v[12:13], v[4:5], v[6:7]
	v_add_f64 v[60:61], v[60:61], v[10:11]
	v_add_f64 v[62:63], v[62:63], v[12:13]
	ds_read_b128 v[10:13], v77 offset:3072
	s_waitcnt lgkmcnt(0)
	v_mul_f64 v[80:81], v[4:5], v[12:13]
	v_fma_f64 v[80:81], v[2:3], v[10:11], -v[80:81]
	v_mul_f64 v[2:3], v[2:3], v[12:13]
	v_fmac_f64_e32 v[2:3], v[4:5], v[10:11]
	v_add_f64 v[66:67], v[66:67], v[2:3]
	ds_read_b128 v[2:5], v17 offset:8288
	v_add_f64 v[64:65], v[64:65], v[80:81]
	s_waitcnt lgkmcnt(0)
	v_mul_f64 v[80:81], v[4:5], v[8:9]
	v_fma_f64 v[80:81], v[2:3], v[6:7], -v[80:81]
	v_mul_f64 v[8:9], v[2:3], v[8:9]
	v_fmac_f64_e32 v[8:9], v[4:5], v[6:7]
	v_add_f64 v[6:7], v[52:53], v[80:81]
	v_mul_f64 v[52:53], v[4:5], v[12:13]
	v_mul_f64 v[12:13], v[2:3], v[12:13]
	v_fma_f64 v[52:53], v[2:3], v[10:11], -v[52:53]
	v_fmac_f64_e32 v[12:13], v[4:5], v[10:11]
	v_add_f64 v[8:9], v[54:55], v[8:9]
	v_add_f64 v[2:3], v[56:57], v[52:53]
	v_add_f64 v[4:5], v[58:59], v[12:13]
	ds_read_b128 v[10:13], v17 offset:112
	ds_read_b128 v[52:55], v72 offset:3584
	s_waitcnt lgkmcnt(0)
	v_mul_f64 v[56:57], v[12:13], v[54:55]
	v_mul_f64 v[58:59], v[10:11], v[54:55]
	v_fma_f64 v[56:57], v[10:11], v[52:53], -v[56:57]
	v_fmac_f64_e32 v[58:59], v[12:13], v[52:53]
	v_add_f64 v[60:61], v[60:61], v[56:57]
	v_add_f64 v[62:63], v[62:63], v[58:59]
	ds_read_b128 v[56:59], v77 offset:3584
	s_waitcnt lgkmcnt(0)
	v_mul_f64 v[80:81], v[12:13], v[58:59]
	v_fma_f64 v[80:81], v[10:11], v[56:57], -v[80:81]
	v_mul_f64 v[10:11], v[10:11], v[58:59]
	v_fmac_f64_e32 v[10:11], v[12:13], v[56:57]
	v_add_f64 v[66:67], v[66:67], v[10:11]
	ds_read_b128 v[10:13], v17 offset:8304
	v_add_f64 v[64:65], v[64:65], v[80:81]
	s_waitcnt lgkmcnt(0)
	v_mul_f64 v[80:81], v[12:13], v[54:55]
	v_mul_f64 v[54:55], v[10:11], v[54:55]
	v_fma_f64 v[80:81], v[10:11], v[52:53], -v[80:81]
	v_fmac_f64_e32 v[54:55], v[12:13], v[52:53]
	v_add_f64 v[52:53], v[6:7], v[80:81]
	v_add_f64 v[54:55], v[8:9], v[54:55]
	v_mul_f64 v[6:7], v[12:13], v[58:59]
	v_mul_f64 v[8:9], v[10:11], v[58:59]
	v_fma_f64 v[6:7], v[10:11], v[56:57], -v[6:7]
	v_fmac_f64_e32 v[8:9], v[12:13], v[56:57]
	v_add_f64 v[56:57], v[2:3], v[6:7]
	v_add_f64 v[58:59], v[4:5], v[8:9]
	ds_read_b128 v[2:5], v17 offset:128
	ds_read_b128 v[6:9], v72 offset:4096
	;; [unrolled: 62-line block ×13, first 2 shown]
	s_waitcnt lgkmcnt(0)
	v_mul_f64 v[10:11], v[4:5], v[8:9]
	v_mul_f64 v[12:13], v[2:3], v[8:9]
	v_fma_f64 v[10:11], v[2:3], v[6:7], -v[10:11]
	v_fmac_f64_e32 v[12:13], v[4:5], v[6:7]
	v_add_f64 v[60:61], v[60:61], v[10:11]
	v_add_f64 v[62:63], v[62:63], v[12:13]
	ds_read_b128 v[10:13], v77 offset:15360
	s_waitcnt lgkmcnt(0)
	v_mul_f64 v[80:81], v[4:5], v[12:13]
	v_fma_f64 v[80:81], v[2:3], v[10:11], -v[80:81]
	v_mul_f64 v[2:3], v[2:3], v[12:13]
	v_fmac_f64_e32 v[2:3], v[4:5], v[10:11]
	v_add_f64 v[86:87], v[66:67], v[2:3]
	ds_read_b128 v[2:5], v17 offset:8672
	v_add_f64 v[84:85], v[64:65], v[80:81]
	s_waitcnt lgkmcnt(0)
	v_mul_f64 v[64:65], v[4:5], v[8:9]
	v_fma_f64 v[64:65], v[2:3], v[6:7], -v[64:65]
	v_mul_f64 v[8:9], v[2:3], v[8:9]
	v_fmac_f64_e32 v[8:9], v[4:5], v[6:7]
	v_add_f64 v[6:7], v[52:53], v[64:65]
	v_mul_f64 v[52:53], v[4:5], v[12:13]
	v_mul_f64 v[12:13], v[2:3], v[12:13]
	v_fma_f64 v[52:53], v[2:3], v[10:11], -v[52:53]
	v_fmac_f64_e32 v[12:13], v[4:5], v[10:11]
	v_add_f64 v[8:9], v[54:55], v[8:9]
	v_add_f64 v[2:3], v[56:57], v[52:53]
	;; [unrolled: 1-line block ×3, first 2 shown]
	ds_read_b128 v[10:13], v17 offset:496
	ds_read_b128 v[52:55], v72 offset:15872
	;; [unrolled: 1-line block ×3, first 2 shown]
	s_waitcnt lgkmcnt(1)
	v_mul_f64 v[56:57], v[12:13], v[54:55]
	v_fma_f64 v[56:57], v[10:11], v[52:53], -v[56:57]
	v_add_f64 v[64:65], v[60:61], v[56:57]
	s_waitcnt lgkmcnt(0)
	v_mul_f64 v[56:57], v[12:13], v[82:83]
	v_mul_f64 v[58:59], v[10:11], v[54:55]
	v_fma_f64 v[56:57], v[10:11], v[80:81], -v[56:57]
	v_mul_f64 v[10:11], v[10:11], v[82:83]
	v_fmac_f64_e32 v[58:59], v[12:13], v[52:53]
	v_fmac_f64_e32 v[10:11], v[12:13], v[80:81]
	v_add_f64 v[66:67], v[62:63], v[58:59]
	v_add_f64 v[62:63], v[86:87], v[10:11]
	ds_read_b128 v[10:13], v17 offset:8688
	v_add_f64 v[58:59], v[84:85], v[56:57]
	s_waitcnt lgkmcnt(0)
	s_barrier
	v_mul_f64 v[56:57], v[12:13], v[54:55]
	v_fma_f64 v[56:57], v[10:11], v[52:53], -v[56:57]
	v_mul_f64 v[54:55], v[10:11], v[54:55]
	v_add_f64 v[56:57], v[6:7], v[56:57]
	v_mul_f64 v[6:7], v[12:13], v[82:83]
	v_fmac_f64_e32 v[54:55], v[12:13], v[52:53]
	v_fma_f64 v[6:7], v[10:11], v[80:81], -v[6:7]
	v_add_f64 v[60:61], v[8:9], v[54:55]
	v_add_f64 v[54:55], v[2:3], v[6:7]
	v_mov_b32_e32 v2, s39
	v_addc_co_u32_e64 v51, s[10:11], v51, v2, s[10:11]
	v_add_co_u32_e64 v48, s[10:11], s36, v48
	v_mov_b32_e32 v2, s37
	v_mul_f64 v[8:9], v[10:11], v[82:83]
	v_addc_co_u32_e64 v49, s[10:11], v49, v2, s[10:11]
	v_fmac_f64_e32 v[8:9], v[12:13], v[80:81]
	v_add_co_u32_e64 v46, s[10:11], s36, v46
	v_add_f64 v[52:53], v[4:5], v[8:9]
	v_addc_co_u32_e64 v47, s[10:11], v47, v2, s[10:11]
	s_cbranch_scc1 .LBB125_55
.LBB125_7:                              ;   Parent Loop BB125_4 Depth=1
                                        ; =>  This Inner Loop Header: Depth=2
	v_mov_b32_e32 v2, s21
	v_add_co_u32_e64 v6, s[10:11], s20, v16
	v_addc_co_u32_e64 v7, s[10:11], 0, v2, s[10:11]
	v_add_co_u32_e64 v4, s[10:11], v48, v38
	v_addc_co_u32_e64 v5, s[10:11], v49, v39, s[10:11]
	v_cmp_eq_u64_e64 s[10:11], s[20:21], v[36:37]
	s_and_b64 s[24:25], s[34:35], s[10:11]
	v_cmp_gt_i64_e64 s[10:11], v[6:7], v[34:35]
	s_or_b64 s[14:15], s[16:17], s[10:11]
	v_cmp_le_i64_e64 s[12:13], s[46:47], v[6:7]
	s_or_b64 s[14:15], s[14:15], s[24:25]
	s_or_b64 s[14:15], s[12:13], s[14:15]
	s_xor_b64 s[14:15], s[14:15], -1
	s_and_saveexec_b64 s[18:19], s[14:15]
	s_xor_b64 s[14:15], exec, s[18:19]
	s_cbranch_execz .LBB125_9
; %bb.8:                                ;   in Loop: Header=BB125_7 Depth=2
	global_load_dwordx4 v[8:11], v[4:5], off offset:-256
	s_waitcnt vmcnt(0)
	ds_write2_b64 v68, v[8:9], v[10:11] offset1:1
.LBB125_9:                              ;   in Loop: Header=BB125_7 Depth=2
	s_or_saveexec_b64 s[14:15], s[14:15]
	s_xor_b64 s[22:23], s[24:25], -1
	s_xor_b64 exec, exec, s[14:15]
	s_cbranch_execz .LBB125_15
; %bb.10:                               ;   in Loop: Header=BB125_7 Depth=2
	s_and_saveexec_b64 s[18:19], s[22:23]
	s_xor_b64 s[18:19], exec, s[18:19]
	s_cbranch_execz .LBB125_12
; %bb.11:                               ;   in Loop: Header=BB125_7 Depth=2
	v_mov_b32_e32 v8, v0
	v_mov_b32_e32 v9, v0
	;; [unrolled: 1-line block ×4, first 2 shown]
	ds_write_b128 v68, v[8:11]
.LBB125_12:                             ;   in Loop: Header=BB125_7 Depth=2
	s_andn2_saveexec_b64 s[18:19], s[18:19]
	s_cbranch_execz .LBB125_14
; %bb.13:                               ;   in Loop: Header=BB125_7 Depth=2
	v_mov_b32_e32 v2, v0
	v_mov_b32_e32 v3, v0
	ds_write_b128 v68, v[0:3]
.LBB125_14:                             ;   in Loop: Header=BB125_7 Depth=2
	s_or_b64 exec, exec, s[18:19]
.LBB125_15:                             ;   in Loop: Header=BB125_7 Depth=2
	s_or_b64 exec, exec, s[14:15]
	v_add_co_u32_e64 v2, s[14:15], 16, v6
	v_addc_co_u32_e64 v3, s[14:15], 0, v7, s[14:15]
	v_cmp_eq_u64_e64 s[14:15], s[20:21], v[44:45]
	v_cmp_gt_i64_e64 s[18:19], v[2:3], v[34:35]
	s_and_b64 s[26:27], s[34:35], s[14:15]
	s_or_b64 s[18:19], s[16:17], s[18:19]
	v_cmp_le_i64_e64 s[14:15], s[46:47], v[2:3]
	s_or_b64 s[18:19], s[18:19], s[26:27]
	s_or_b64 s[18:19], s[14:15], s[18:19]
	s_xor_b64 s[18:19], s[18:19], -1
	s_and_saveexec_b64 s[44:45], s[18:19]
	s_xor_b64 s[44:45], exec, s[44:45]
	s_cbranch_execz .LBB125_17
; %bb.16:                               ;   in Loop: Header=BB125_7 Depth=2
	v_add_co_u32_e64 v2, s[18:19], v46, v38
	v_addc_co_u32_e64 v3, s[18:19], v47, v39, s[18:19]
	global_load_dwordx4 v[8:11], v[2:3], off
	s_waitcnt vmcnt(0)
	ds_write2_b64 v69, v[8:9], v[10:11] offset1:1
.LBB125_17:                             ;   in Loop: Header=BB125_7 Depth=2
	s_andn2_saveexec_b64 s[18:19], s[44:45]
	s_cbranch_execz .LBB125_23
; %bb.18:                               ;   in Loop: Header=BB125_7 Depth=2
	s_xor_b64 s[26:27], s[26:27], -1
	s_and_saveexec_b64 s[44:45], s[26:27]
	s_xor_b64 s[26:27], exec, s[44:45]
	s_cbranch_execz .LBB125_20
; %bb.19:                               ;   in Loop: Header=BB125_7 Depth=2
	v_mov_b32_e32 v8, v0
	v_mov_b32_e32 v9, v0
	;; [unrolled: 1-line block ×4, first 2 shown]
	ds_write_b128 v69, v[8:11]
.LBB125_20:                             ;   in Loop: Header=BB125_7 Depth=2
	s_andn2_saveexec_b64 s[26:27], s[26:27]
	s_cbranch_execz .LBB125_22
; %bb.21:                               ;   in Loop: Header=BB125_7 Depth=2
	v_mov_b32_e32 v2, v0
	v_mov_b32_e32 v3, v0
	ds_write_b128 v69, v[0:3]
.LBB125_22:                             ;   in Loop: Header=BB125_7 Depth=2
	s_or_b64 exec, exec, s[26:27]
.LBB125_23:                             ;   in Loop: Header=BB125_7 Depth=2
	s_or_b64 exec, exec, s[18:19]
	v_cmp_eq_u64_e64 s[18:19], s[20:21], v[42:43]
	s_and_b64 s[26:27], s[34:35], s[18:19]
	v_cmp_gt_i64_e64 s[18:19], v[6:7], v[40:41]
	s_or_b64 s[18:19], s[8:9], s[18:19]
	s_or_b64 s[18:19], s[18:19], s[26:27]
	s_or_b64 s[12:13], s[12:13], s[18:19]
	s_xor_b64 s[12:13], s[12:13], -1
	s_and_saveexec_b64 s[18:19], s[12:13]
	s_xor_b64 s[12:13], exec, s[18:19]
	s_cbranch_execz .LBB125_25
; %bb.24:                               ;   in Loop: Header=BB125_7 Depth=2
	global_load_dwordx4 v[2:5], v[4:5], off
	s_waitcnt vmcnt(0)
	ds_write2_b64 v70, v[2:3], v[4:5] offset1:1
.LBB125_25:                             ;   in Loop: Header=BB125_7 Depth=2
	s_andn2_saveexec_b64 s[12:13], s[12:13]
	s_cbranch_execz .LBB125_31
; %bb.26:                               ;   in Loop: Header=BB125_7 Depth=2
	s_xor_b64 s[18:19], s[26:27], -1
	s_and_saveexec_b64 s[26:27], s[18:19]
	s_xor_b64 s[18:19], exec, s[26:27]
	s_cbranch_execz .LBB125_28
; %bb.27:                               ;   in Loop: Header=BB125_7 Depth=2
	v_mov_b32_e32 v2, v0
	v_mov_b32_e32 v3, v0
	;; [unrolled: 1-line block ×4, first 2 shown]
	ds_write_b128 v70, v[2:5]
.LBB125_28:                             ;   in Loop: Header=BB125_7 Depth=2
	s_andn2_saveexec_b64 s[18:19], s[18:19]
	s_cbranch_execz .LBB125_30
; %bb.29:                               ;   in Loop: Header=BB125_7 Depth=2
	v_mov_b32_e32 v2, v0
	v_mov_b32_e32 v3, v0
	ds_write_b128 v70, v[0:3]
.LBB125_30:                             ;   in Loop: Header=BB125_7 Depth=2
	s_or_b64 exec, exec, s[18:19]
.LBB125_31:                             ;   in Loop: Header=BB125_7 Depth=2
	s_or_b64 exec, exec, s[12:13]
	s_or_b64 s[10:11], s[8:9], s[10:11]
	s_or_b64 s[10:11], s[10:11], s[24:25]
	;; [unrolled: 1-line block ×3, first 2 shown]
	s_xor_b64 s[10:11], s[10:11], -1
	s_and_saveexec_b64 s[12:13], s[10:11]
	s_xor_b64 s[12:13], exec, s[12:13]
	s_cbranch_execz .LBB125_33
; %bb.32:                               ;   in Loop: Header=BB125_7 Depth=2
	v_add_co_u32_e64 v2, s[10:11], v46, v38
	v_addc_co_u32_e64 v3, s[10:11], v47, v39, s[10:11]
	global_load_dwordx4 v[2:5], v[2:3], off offset:256
	s_waitcnt vmcnt(0)
	ds_write2_b64 v71, v[2:3], v[4:5] offset1:1
.LBB125_33:                             ;   in Loop: Header=BB125_7 Depth=2
	s_andn2_saveexec_b64 s[10:11], s[12:13]
	s_cbranch_execz .LBB125_39
; %bb.34:                               ;   in Loop: Header=BB125_7 Depth=2
	s_and_saveexec_b64 s[12:13], s[22:23]
	s_xor_b64 s[12:13], exec, s[12:13]
	s_cbranch_execz .LBB125_36
; %bb.35:                               ;   in Loop: Header=BB125_7 Depth=2
	v_mov_b32_e32 v2, v0
	v_mov_b32_e32 v3, v0
	;; [unrolled: 1-line block ×4, first 2 shown]
	ds_write_b128 v71, v[2:5]
.LBB125_36:                             ;   in Loop: Header=BB125_7 Depth=2
	s_andn2_saveexec_b64 s[12:13], s[12:13]
	s_cbranch_execz .LBB125_38
; %bb.37:                               ;   in Loop: Header=BB125_7 Depth=2
	v_mov_b32_e32 v2, v0
	v_mov_b32_e32 v3, v0
	ds_write_b128 v71, v[0:3]
.LBB125_38:                             ;   in Loop: Header=BB125_7 Depth=2
	s_or_b64 exec, exec, s[12:13]
.LBB125_39:                             ;   in Loop: Header=BB125_7 Depth=2
	s_or_b64 exec, exec, s[10:11]
	v_mov_b32_e32 v3, s21
	v_add_co_u32_e64 v2, s[10:11], s20, v14
	v_addc_co_u32_e64 v3, s[10:11], 0, v3, s[10:11]
	v_add_co_u32_e64 v4, s[10:11], v50, v22
	v_addc_co_u32_e64 v5, s[10:11], v51, v23, s[10:11]
	v_cmp_le_i64_e64 s[10:11], s[46:47], v[2:3]
	s_or_b64 s[12:13], s[10:11], vcc
	s_xor_b64 s[12:13], s[12:13], -1
	s_and_saveexec_b64 s[14:15], s[12:13]
	s_xor_b64 s[12:13], exec, s[14:15]
	s_cbranch_execz .LBB125_41
; %bb.40:                               ;   in Loop: Header=BB125_7 Depth=2
	global_load_dwordx4 v[6:9], v[4:5], off offset:-256
	s_waitcnt vmcnt(0)
	ds_write2_b64 v73, v[6:7], v[8:9] offset1:1
.LBB125_41:                             ;   in Loop: Header=BB125_7 Depth=2
	s_andn2_saveexec_b64 s[12:13], s[12:13]
	s_cbranch_execz .LBB125_43
; %bb.42:                               ;   in Loop: Header=BB125_7 Depth=2
	v_mov_b32_e32 v6, v0
	v_mov_b32_e32 v7, v0
	;; [unrolled: 1-line block ×4, first 2 shown]
	ds_write_b128 v73, v[6:9]
.LBB125_43:                             ;   in Loop: Header=BB125_7 Depth=2
	s_or_b64 exec, exec, s[12:13]
	s_or_b64 s[10:11], s[10:11], s[0:1]
	s_xor_b64 s[10:11], s[10:11], -1
	s_and_saveexec_b64 s[12:13], s[10:11]
	s_xor_b64 s[10:11], exec, s[12:13]
	s_cbranch_execz .LBB125_45
; %bb.44:                               ;   in Loop: Header=BB125_7 Depth=2
	global_load_dwordx4 v[4:7], v[4:5], off
	s_waitcnt vmcnt(0)
	ds_write2_b64 v74, v[4:5], v[6:7] offset1:1
.LBB125_45:                             ;   in Loop: Header=BB125_7 Depth=2
	s_andn2_saveexec_b64 s[10:11], s[10:11]
	s_cbranch_execz .LBB125_47
; %bb.46:                               ;   in Loop: Header=BB125_7 Depth=2
	v_mov_b32_e32 v4, v0
	v_mov_b32_e32 v5, v0
	;; [unrolled: 1-line block ×4, first 2 shown]
	ds_write_b128 v74, v[4:7]
.LBB125_47:                             ;   in Loop: Header=BB125_7 Depth=2
	s_or_b64 exec, exec, s[10:11]
	v_cmp_le_i64_e64 s[10:11], s[42:43], v[2:3]
	s_or_b64 s[12:13], s[10:11], vcc
	s_xor_b64 s[12:13], s[12:13], -1
	s_and_saveexec_b64 s[14:15], s[12:13]
	s_xor_b64 s[14:15], exec, s[14:15]
	s_cbranch_execz .LBB125_49
; %bb.48:                               ;   in Loop: Header=BB125_7 Depth=2
	v_add_co_u32_e64 v2, s[12:13], v50, v32
	v_addc_co_u32_e64 v3, s[12:13], v51, v15, s[12:13]
	global_load_dwordx4 v[2:5], v[2:3], off offset:-256
	s_waitcnt vmcnt(0)
	ds_write2_b64 v75, v[2:3], v[4:5] offset1:1
.LBB125_49:                             ;   in Loop: Header=BB125_7 Depth=2
	s_andn2_saveexec_b64 s[12:13], s[14:15]
	s_cbranch_execz .LBB125_51
; %bb.50:                               ;   in Loop: Header=BB125_7 Depth=2
	v_mov_b32_e32 v2, v0
	v_mov_b32_e32 v3, v0
	;; [unrolled: 1-line block ×4, first 2 shown]
	ds_write_b128 v75, v[2:5]
.LBB125_51:                             ;   in Loop: Header=BB125_7 Depth=2
	s_or_b64 exec, exec, s[12:13]
	s_or_b64 s[10:11], s[10:11], s[0:1]
	s_xor_b64 s[10:11], s[10:11], -1
	s_and_saveexec_b64 s[12:13], s[10:11]
	s_xor_b64 s[12:13], exec, s[12:13]
	s_cbranch_execz .LBB125_53
; %bb.52:                               ;   in Loop: Header=BB125_7 Depth=2
	v_add_co_u32_e64 v2, s[10:11], v50, v32
	v_addc_co_u32_e64 v3, s[10:11], v51, v15, s[10:11]
	global_load_dwordx4 v[2:5], v[2:3], off
	s_waitcnt vmcnt(0)
	ds_write2_b64 v76, v[2:3], v[4:5] offset1:1
.LBB125_53:                             ;   in Loop: Header=BB125_7 Depth=2
	s_andn2_saveexec_b64 s[10:11], s[12:13]
	s_cbranch_execz .LBB125_6
; %bb.54:                               ;   in Loop: Header=BB125_7 Depth=2
	v_mov_b32_e32 v2, v0
	v_mov_b32_e32 v3, v0
	;; [unrolled: 1-line block ×4, first 2 shown]
	ds_write_b128 v76, v[2:5]
	s_branch .LBB125_6
.LBB125_55:                             ;   in Loop: Header=BB125_4 Depth=1
	v_mul_lo_u32 v4, v35, s40
	v_mul_lo_u32 v5, v34, s41
	v_mad_u64_u32 v[2:3], s[10:11], v34, s40, 0
	v_add3_u32 v3, v3, v5, v4
	v_lshlrev_b64 v[2:3], 4, v[2:3]
	v_mov_b32_e32 v4, s49
	v_add_co_u32_e64 v2, s[10:11], s48, v2
	v_cmp_gt_i32_e64 s[8:9], s46, v34
	v_addc_co_u32_e64 v3, s[10:11], v4, v3, s[10:11]
	s_and_b64 s[10:11], s[2:3], s[8:9]
	s_and_saveexec_b64 s[12:13], s[10:11]
	s_cbranch_execz .LBB125_57
; %bb.56:                               ;   in Loop: Header=BB125_4 Depth=1
	v_add_co_u32_e64 v8, s[10:11], v2, v24
	v_addc_co_u32_e64 v9, s[10:11], v3, v25, s[10:11]
	global_load_dwordx4 v[4:7], v[8:9], off
	v_mul_f64 v[10:11], s[30:31], v[66:67]
	v_mul_f64 v[12:13], s[28:29], v[66:67]
	v_fma_f64 v[10:11], s[28:29], v[64:65], -v[10:11]
	v_fmac_f64_e32 v[12:13], s[30:31], v[64:65]
	s_waitcnt vmcnt(0)
	v_add_f64 v[4:5], v[4:5], v[10:11]
	v_add_f64 v[6:7], v[6:7], v[12:13]
	global_store_dwordx4 v[8:9], v[4:7], off
.LBB125_57:                             ;   in Loop: Header=BB125_4 Depth=1
	s_or_b64 exec, exec, s[12:13]
	s_and_b64 s[8:9], s[4:5], s[8:9]
	s_and_saveexec_b64 s[10:11], s[8:9]
	s_cbranch_execz .LBB125_59
; %bb.58:                               ;   in Loop: Header=BB125_4 Depth=1
	v_lshlrev_b64 v[4:5], 4, v[18:19]
	v_add_co_u32_e64 v6, s[8:9], v2, v4
	v_addc_co_u32_e64 v7, s[8:9], v3, v5, s[8:9]
	global_load_dwordx4 v[2:5], v[6:7], off
	v_mul_f64 v[8:9], s[30:31], v[62:63]
	v_mul_f64 v[10:11], s[28:29], v[62:63]
	v_fma_f64 v[8:9], s[28:29], v[58:59], -v[8:9]
	v_fmac_f64_e32 v[10:11], s[30:31], v[58:59]
	s_waitcnt vmcnt(0)
	v_add_f64 v[2:3], v[2:3], v[8:9]
	v_add_f64 v[4:5], v[4:5], v[10:11]
	global_store_dwordx4 v[6:7], v[2:5], off
.LBB125_59:                             ;   in Loop: Header=BB125_4 Depth=1
	s_or_b64 exec, exec, s[10:11]
	v_add_u32_e32 v2, 16, v34
	v_ashrrev_i32_e32 v3, 31, v2
	v_cmp_gt_i32_e64 s[8:9], s46, v2
	v_mul_lo_u32 v4, v3, s40
	v_mul_lo_u32 v5, v2, s41
	v_mad_u64_u32 v[2:3], s[10:11], v2, s40, 0
	v_add3_u32 v3, v3, v5, v4
	v_lshlrev_b64 v[2:3], 4, v[2:3]
	v_mov_b32_e32 v4, s49
	v_add_co_u32_e64 v2, s[10:11], s48, v2
	v_addc_co_u32_e64 v3, s[10:11], v4, v3, s[10:11]
	s_and_b64 s[10:11], s[2:3], s[8:9]
	s_and_saveexec_b64 s[12:13], s[10:11]
	s_cbranch_execz .LBB125_61
; %bb.60:                               ;   in Loop: Header=BB125_4 Depth=1
	v_add_co_u32_e64 v8, s[10:11], v2, v24
	v_addc_co_u32_e64 v9, s[10:11], v3, v25, s[10:11]
	global_load_dwordx4 v[4:7], v[8:9], off
	v_mul_f64 v[10:11], s[30:31], v[60:61]
	v_mul_f64 v[12:13], s[28:29], v[60:61]
	v_fma_f64 v[10:11], s[28:29], v[56:57], -v[10:11]
	v_fmac_f64_e32 v[12:13], s[30:31], v[56:57]
	s_waitcnt vmcnt(0)
	v_add_f64 v[4:5], v[4:5], v[10:11]
	v_add_f64 v[6:7], v[6:7], v[12:13]
	global_store_dwordx4 v[8:9], v[4:7], off
.LBB125_61:                             ;   in Loop: Header=BB125_4 Depth=1
	s_or_b64 exec, exec, s[12:13]
	s_and_b64 s[8:9], s[4:5], s[8:9]
	s_and_saveexec_b64 s[10:11], s[8:9]
	s_cbranch_execz .LBB125_3
; %bb.62:                               ;   in Loop: Header=BB125_4 Depth=1
	v_lshlrev_b64 v[4:5], 4, v[18:19]
	v_add_co_u32_e64 v6, s[8:9], v2, v4
	v_addc_co_u32_e64 v7, s[8:9], v3, v5, s[8:9]
	global_load_dwordx4 v[2:5], v[6:7], off
	v_mul_f64 v[8:9], s[30:31], v[52:53]
	v_mul_f64 v[10:11], s[28:29], v[52:53]
	v_fma_f64 v[8:9], s[28:29], v[54:55], -v[8:9]
	v_fmac_f64_e32 v[10:11], s[30:31], v[54:55]
	s_waitcnt vmcnt(0)
	v_add_f64 v[2:3], v[2:3], v[8:9]
	v_add_f64 v[4:5], v[4:5], v[10:11]
	global_store_dwordx4 v[6:7], v[2:5], off
	s_branch .LBB125_3
.LBB125_63:
	s_endpgm
	.section	.rodata,"a",@progbits
	.p2align	6, 0x0
	.amdhsa_kernel _ZL30rocblas_trmm_outofplace_kernelI19rocblas_complex_numIdELi32ELi2ELb0ELb0ELb1ELb0ES1_KS1_S1_Ev17rocblas_diagonal_iiT6_lPT7_lllS6_lllPT8_llli
		.amdhsa_group_segment_fixed_size 32768
		.amdhsa_private_segment_fixed_size 0
		.amdhsa_kernarg_size 400
		.amdhsa_user_sgpr_count 6
		.amdhsa_user_sgpr_private_segment_buffer 1
		.amdhsa_user_sgpr_dispatch_ptr 0
		.amdhsa_user_sgpr_queue_ptr 0
		.amdhsa_user_sgpr_kernarg_segment_ptr 1
		.amdhsa_user_sgpr_dispatch_id 0
		.amdhsa_user_sgpr_flat_scratch_init 0
		.amdhsa_user_sgpr_kernarg_preload_length 0
		.amdhsa_user_sgpr_kernarg_preload_offset 0
		.amdhsa_user_sgpr_private_segment_size 0
		.amdhsa_uses_dynamic_stack 0
		.amdhsa_system_sgpr_private_segment_wavefront_offset 0
		.amdhsa_system_sgpr_workgroup_id_x 1
		.amdhsa_system_sgpr_workgroup_id_y 1
		.amdhsa_system_sgpr_workgroup_id_z 1
		.amdhsa_system_sgpr_workgroup_info 0
		.amdhsa_system_vgpr_workitem_id 1
		.amdhsa_next_free_vgpr 96
		.amdhsa_next_free_sgpr 52
		.amdhsa_accum_offset 96
		.amdhsa_reserve_vcc 1
		.amdhsa_reserve_flat_scratch 0
		.amdhsa_float_round_mode_32 0
		.amdhsa_float_round_mode_16_64 0
		.amdhsa_float_denorm_mode_32 3
		.amdhsa_float_denorm_mode_16_64 3
		.amdhsa_dx10_clamp 1
		.amdhsa_ieee_mode 1
		.amdhsa_fp16_overflow 0
		.amdhsa_tg_split 0
		.amdhsa_exception_fp_ieee_invalid_op 0
		.amdhsa_exception_fp_denorm_src 0
		.amdhsa_exception_fp_ieee_div_zero 0
		.amdhsa_exception_fp_ieee_overflow 0
		.amdhsa_exception_fp_ieee_underflow 0
		.amdhsa_exception_fp_ieee_inexact 0
		.amdhsa_exception_int_div_zero 0
	.end_amdhsa_kernel
	.section	.text._ZL30rocblas_trmm_outofplace_kernelI19rocblas_complex_numIdELi32ELi2ELb0ELb0ELb1ELb0ES1_KS1_S1_Ev17rocblas_diagonal_iiT6_lPT7_lllS6_lllPT8_llli,"axG",@progbits,_ZL30rocblas_trmm_outofplace_kernelI19rocblas_complex_numIdELi32ELi2ELb0ELb0ELb1ELb0ES1_KS1_S1_Ev17rocblas_diagonal_iiT6_lPT7_lllS6_lllPT8_llli,comdat
.Lfunc_end125:
	.size	_ZL30rocblas_trmm_outofplace_kernelI19rocblas_complex_numIdELi32ELi2ELb0ELb0ELb1ELb0ES1_KS1_S1_Ev17rocblas_diagonal_iiT6_lPT7_lllS6_lllPT8_llli, .Lfunc_end125-_ZL30rocblas_trmm_outofplace_kernelI19rocblas_complex_numIdELi32ELi2ELb0ELb0ELb1ELb0ES1_KS1_S1_Ev17rocblas_diagonal_iiT6_lPT7_lllS6_lllPT8_llli
                                        ; -- End function
	.section	.AMDGPU.csdata,"",@progbits
; Kernel info:
; codeLenInByte = 9724
; NumSgprs: 56
; NumVgprs: 96
; NumAgprs: 0
; TotalNumVgprs: 96
; ScratchSize: 0
; MemoryBound: 0
; FloatMode: 240
; IeeeMode: 1
; LDSByteSize: 32768 bytes/workgroup (compile time only)
; SGPRBlocks: 6
; VGPRBlocks: 11
; NumSGPRsForWavesPerEU: 56
; NumVGPRsForWavesPerEU: 96
; AccumOffset: 96
; Occupancy: 5
; WaveLimiterHint : 0
; COMPUTE_PGM_RSRC2:SCRATCH_EN: 0
; COMPUTE_PGM_RSRC2:USER_SGPR: 6
; COMPUTE_PGM_RSRC2:TRAP_HANDLER: 0
; COMPUTE_PGM_RSRC2:TGID_X_EN: 1
; COMPUTE_PGM_RSRC2:TGID_Y_EN: 1
; COMPUTE_PGM_RSRC2:TGID_Z_EN: 1
; COMPUTE_PGM_RSRC2:TIDIG_COMP_CNT: 1
; COMPUTE_PGM_RSRC3_GFX90A:ACCUM_OFFSET: 23
; COMPUTE_PGM_RSRC3_GFX90A:TG_SPLIT: 0
	.section	.text._ZL30rocblas_trmm_outofplace_kernelI19rocblas_complex_numIdELi32ELi2ELb0ELb1ELb1ELb0EPKS1_S2_S1_Ev17rocblas_diagonal_iiT6_lPT7_lllS7_lllPT8_llli,"axG",@progbits,_ZL30rocblas_trmm_outofplace_kernelI19rocblas_complex_numIdELi32ELi2ELb0ELb1ELb1ELb0EPKS1_S2_S1_Ev17rocblas_diagonal_iiT6_lPT7_lllS7_lllPT8_llli,comdat
	.globl	_ZL30rocblas_trmm_outofplace_kernelI19rocblas_complex_numIdELi32ELi2ELb0ELb1ELb1ELb0EPKS1_S2_S1_Ev17rocblas_diagonal_iiT6_lPT7_lllS7_lllPT8_llli ; -- Begin function _ZL30rocblas_trmm_outofplace_kernelI19rocblas_complex_numIdELi32ELi2ELb0ELb1ELb1ELb0EPKS1_S2_S1_Ev17rocblas_diagonal_iiT6_lPT7_lllS7_lllPT8_llli
	.p2align	8
	.type	_ZL30rocblas_trmm_outofplace_kernelI19rocblas_complex_numIdELi32ELi2ELb0ELb1ELb1ELb0EPKS1_S2_S1_Ev17rocblas_diagonal_iiT6_lPT7_lllS7_lllPT8_llli,@function
_ZL30rocblas_trmm_outofplace_kernelI19rocblas_complex_numIdELi32ELi2ELb0ELb1ELb1ELb0EPKS1_S2_S1_Ev17rocblas_diagonal_iiT6_lPT7_lllS7_lllPT8_llli: ; @_ZL30rocblas_trmm_outofplace_kernelI19rocblas_complex_numIdELi32ELi2ELb0ELb1ELb1ELb0EPKS1_S2_S1_Ev17rocblas_diagonal_iiT6_lPT7_lllS7_lllPT8_llli
; %bb.0:
	s_load_dwordx16 s[12:27], s[4:5], 0x10
	s_waitcnt lgkmcnt(0)
	s_mul_i32 s0, s8, s15
	s_mul_hi_u32 s1, s8, s14
	s_add_i32 s1, s1, s0
	s_mul_i32 s0, s8, s14
	s_lshl_b64 s[0:1], s[0:1], 4
	s_add_u32 s0, s12, s0
	s_addc_u32 s1, s13, s1
	s_load_dwordx4 s[28:31], s[0:1], 0x0
	s_waitcnt lgkmcnt(0)
	v_cmp_eq_f64_e64 s[0:1], s[28:29], 0
	v_cmp_eq_f64_e64 s[2:3], s[30:31], 0
	s_and_b64 s[0:1], s[0:1], s[2:3]
	s_and_b64 vcc, exec, s[0:1]
	s_cbranch_vccnz .LBB126_63
; %bb.1:
	s_load_dwordx4 s[44:47], s[4:5], 0x0
	s_waitcnt lgkmcnt(0)
	s_add_i32 s0, s46, -1
	s_ashr_i32 s1, s0, 31
	s_lshr_b32 s1, s1, 27
	s_add_i32 s0, s0, s1
	s_ashr_i32 s33, s0, 5
	s_cmp_gt_i32 s7, s33
	s_cbranch_scc1 .LBB126_63
; %bb.2:
	s_load_dwordx8 s[36:43], s[4:5], 0x50
	s_load_dwordx4 s[48:51], s[4:5], 0x70
	s_load_dword s60, s[4:5], 0x8c
	v_and_b32_e32 v4, 0x3ff, v0
	v_bfe_u32 v62, v0, 10, 10
	s_waitcnt lgkmcnt(0)
	s_mul_i32 s1, s8, s39
	s_mul_hi_u32 s2, s8, s38
	s_mul_i32 s0, s8, s38
	s_add_i32 s1, s2, s1
	s_lshl_b64 s[0:1], s[0:1], 4
	s_add_u32 s2, s24, s0
	s_addc_u32 s3, s25, s1
	s_lshl_b64 s[0:1], s[26:27], 4
	s_add_u32 s2, s2, s0
	s_addc_u32 s3, s3, s1
	s_mul_i32 s0, s8, s51
	s_mul_hi_u32 s1, s8, s50
	s_add_i32 s1, s1, s0
	s_mul_i32 s0, s8, s50
	s_lshl_b64 s[0:1], s[0:1], 4
	s_add_u32 s4, s40, s0
	s_addc_u32 s5, s41, s1
	s_lshl_b64 s[0:1], s[42:43], 4
	s_add_u32 s61, s4, s0
	s_addc_u32 s62, s5, s1
	s_cmpk_eq_i32 s44, 0x84
	s_cselect_b64 s[24:25], -1, 0
	s_ashr_i32 s47, s46, 31
	s_ashr_i32 s0, s45, 31
	s_lshl_b64 s[26:27], s[20:21], 9
	s_lshl_b64 s[34:35], s[36:37], 9
	s_add_u32 s38, s46, -16
	v_lshl_add_u32 v0, s6, 5, v4
	s_addc_u32 s39, s47, -1
	s_lshl_b32 s9, s7, 5
	v_ashrrev_i32_e32 v1, 31, v0
	v_add_u32_e32 v20, s9, v4
	v_add_u32_e32 v22, s9, v62
	s_mul_i32 s9, s23, s8
	s_mul_hi_u32 s10, s22, s8
	v_lshlrev_b64 v[14:15], 4, v[0:1]
	s_add_i32 s9, s10, s9
	s_mul_i32 s8, s22, s8
	v_mov_b32_e32 v2, s3
	v_add_co_u32_e32 v16, vcc, s2, v14
	s_lshl_b32 s63, s60, 5
	s_lshl_b64 s[40:41], s[36:37], 4
	s_lshl_b64 s[8:9], s[8:9], 4
	;; [unrolled: 1-line block ×3, first 2 shown]
	v_addc_co_u32_e32 v17, vcc, v2, v15, vcc
	s_add_u32 s8, s8, s10
	v_mov_b32_e32 v3, s0
	v_sub_co_u32_e32 v2, vcc, s45, v0
	s_addc_u32 s9, s9, s11
	v_subb_co_u32_e32 v3, vcc, v3, v1, vcc
	v_lshlrev_b32_e32 v1, 4, v4
	s_add_u32 s22, s16, s8
	v_lshlrev_b32_e32 v63, 9, v62
	v_or_b32_e32 v68, 0x4000, v1
	s_addc_u32 s23, s17, s9
	v_add_u32_e32 v64, v63, v1
	v_add_u32_e32 v69, v68, v63
	;; [unrolled: 1-line block ×3, first 2 shown]
	s_add_u32 s42, s22, 0x100
	s_movk_i32 s6, 0x100
	v_add_u32_e32 v65, 0x100, v64
	v_add_u32_e32 v66, 0x2000, v64
	;; [unrolled: 1-line block ×3, first 2 shown]
	v_cmp_gt_i64_e32 vcc, 1, v[2:3]
	v_cmp_gt_i64_e64 s[0:1], 17, v[2:3]
	v_add_u32_e32 v70, 0x100, v69
	v_add_u32_e32 v71, 0x2000, v69
	;; [unrolled: 1-line block ×3, first 2 shown]
	v_cmp_gt_i32_e64 s[2:3], s45, v0
	v_cmp_gt_i32_e64 s[4:5], s45, v18
	v_ashrrev_i32_e32 v19, 31, v18
	v_add_u32_e32 v73, 0x4100, v1
	s_addc_u32 s43, s23, 0
	s_lshl_b64 s[44:45], s[20:21], 4
	v_mov_b32_e32 v0, 0
	v_mov_b32_e32 v1, 0x3ff00000
	s_branch .LBB126_4
.LBB126_3:                              ;   in Loop: Header=BB126_4 Depth=1
	s_or_b64 exec, exec, s[10:11]
	s_add_i32 s7, s60, s7
	v_add_u32_e32 v20, s63, v20
	s_cmp_le_i32 s7, s33
	v_add_u32_e32 v22, s63, v22
	s_cbranch_scc0 .LBB126_63
.LBB126_4:                              ; =>This Loop Header: Depth=1
                                        ;     Child Loop BB126_7 Depth 2
	s_lshl_b32 s8, s7, 5
	v_add_u32_e32 v24, s8, v62
	s_sub_i32 s64, s46, s8
	v_pk_mov_b32 v[58:59], 0, 0
	v_ashrrev_i32_e32 v21, 31, v20
	v_ashrrev_i32_e32 v23, 31, v22
	;; [unrolled: 1-line block ×3, first 2 shown]
	s_cmp_lt_i32 s64, 1
	v_pk_mov_b32 v[60:61], v[58:59], v[58:59] op_sel:[0,1]
	v_pk_mov_b32 v[52:53], v[58:59], v[58:59] op_sel:[0,1]
	;; [unrolled: 1-line block ×7, first 2 shown]
	s_cbranch_scc1 .LBB126_55
; %bb.5:                                ;   in Loop: Header=BB126_4 Depth=1
	v_mov_b32_e32 v2, 0x100
	v_sub_co_u32_e64 v26, s[8:9], v22, v20
	v_mov_b32_e32 v3, 0
	v_subb_co_u32_e64 v27, s[8:9], v23, v21, s[8:9]
	v_mad_u64_u32 v[28:29], s[8:9], s40, v22, v[2:3]
	v_mul_lo_u32 v4, s40, v23
	v_mul_lo_u32 v5, s41, v22
	v_add3_u32 v29, v5, v29, v4
	v_pk_mov_b32 v[4:5], s[42:43], s[42:43] op_sel:[0,1]
	v_mad_u64_u32 v[32:33], s[8:9], s44, v20, v[4:5]
	v_mul_lo_u32 v4, s44, v21
	v_mul_lo_u32 v5, s45, v20
	v_add3_u32 v33, v5, v33, v4
	v_lshlrev_b64 v[4:5], 4, v[20:21]
	v_add_co_u32_e64 v6, s[8:9], s6, v4
	v_addc_co_u32_e64 v4, s[8:9], 0, v5, s[8:9]
	v_mul_lo_u32 v7, s20, v4
	v_pk_mov_b32 v[4:5], s[22:23], s[22:23] op_sel:[0,1]
	v_lshlrev_b64 v[30:31], 4, v[22:23]
	v_mad_u64_u32 v[34:35], s[8:9], s20, v6, v[4:5]
	v_add_co_u32_e64 v4, s[8:9], s6, v30
	v_addc_co_u32_e64 v5, s[8:9], 0, v31, s[8:9]
	v_mad_u64_u32 v[36:37], s[8:9], s36, v4, v[2:3]
	v_add_co_u32_e64 v40, s[10:11], 16, v26
	v_add_co_u32_e64 v38, s[8:9], 16, v24
	v_addc_co_u32_e64 v41, s[10:11], 0, v27, s[10:11]
	v_mul_lo_u32 v8, s21, v6
	v_mul_lo_u32 v5, s36, v5
	;; [unrolled: 1-line block ×3, first 2 shown]
	v_addc_co_u32_e64 v39, s[8:9], 0, v25, s[8:9]
	v_add_co_u32_e64 v42, s[10:11], -16, v26
	v_pk_mov_b32 v[46:47], 0, 0
	v_add3_u32 v35, v8, v35, v7
	v_add3_u32 v37, v6, v37, v5
	v_cmp_le_i32_e64 s[16:17], s46, v24
	v_cmp_le_i64_e64 s[8:9], s[46:47], v[38:39]
	v_addc_co_u32_e64 v43, s[10:11], -1, v27, s[10:11]
	s_mov_b64 s[50:51], 0
	v_pk_mov_b32 v[44:45], v[16:17], v[16:17] op_sel:[0,1]
	v_pk_mov_b32 v[48:49], v[46:47], v[46:47] op_sel:[0,1]
	;; [unrolled: 1-line block ×8, first 2 shown]
	s_branch .LBB126_7
.LBB126_6:                              ;   in Loop: Header=BB126_7 Depth=2
	s_or_b64 exec, exec, s[10:11]
	s_waitcnt lgkmcnt(0)
	s_barrier
	ds_read_b128 v[74:77], v63
	ds_read_b128 v[10:13], v63 offset:16
	ds_read_b128 v[6:9], v63 offset:32
	;; [unrolled: 1-line block ×3, first 2 shown]
	ds_read_b128 v[78:81], v68
	v_add_co_u32_e64 v44, s[10:11], s34, v44
	s_add_u32 s50, s50, 32
	s_addc_u32 s51, s51, 0
	s_waitcnt lgkmcnt(0)
	v_mul_f64 v[82:83], v[76:77], v[80:81]
	v_mul_f64 v[84:85], v[74:75], v[80:81]
	v_fma_f64 v[82:83], v[74:75], v[78:79], -v[82:83]
	v_fmac_f64_e32 v[84:85], v[76:77], v[78:79]
	v_add_f64 v[82:83], v[58:59], v[82:83]
	v_add_f64 v[84:85], v[60:61], v[84:85]
	ds_read_b128 v[58:61], v73
	s_cmp_ge_i32 s50, s64
	s_waitcnt lgkmcnt(0)
	v_mul_f64 v[86:87], v[76:77], v[60:61]
	v_fma_f64 v[86:87], v[74:75], v[58:59], -v[86:87]
	v_mul_f64 v[74:75], v[74:75], v[60:61]
	v_fmac_f64_e32 v[74:75], v[76:77], v[58:59]
	v_add_f64 v[88:89], v[56:57], v[74:75]
	ds_read_b128 v[74:77], v63 offset:8192
	v_add_f64 v[86:87], v[52:53], v[86:87]
	s_waitcnt lgkmcnt(0)
	v_mul_f64 v[52:53], v[76:77], v[80:81]
	v_mul_f64 v[56:57], v[74:75], v[80:81]
	v_fma_f64 v[52:53], v[74:75], v[78:79], -v[52:53]
	v_fmac_f64_e32 v[56:57], v[76:77], v[78:79]
	v_add_f64 v[50:51], v[50:51], v[52:53]
	v_add_f64 v[52:53], v[54:55], v[56:57]
	v_mul_f64 v[54:55], v[76:77], v[60:61]
	v_mul_f64 v[56:57], v[74:75], v[60:61]
	v_fma_f64 v[54:55], v[74:75], v[58:59], -v[54:55]
	v_fmac_f64_e32 v[56:57], v[76:77], v[58:59]
	v_add_f64 v[48:49], v[48:49], v[54:55]
	v_add_f64 v[46:47], v[46:47], v[56:57]
	ds_read_b128 v[54:57], v68 offset:512
	s_waitcnt lgkmcnt(0)
	v_mul_f64 v[58:59], v[12:13], v[56:57]
	v_mul_f64 v[60:61], v[10:11], v[56:57]
	v_fma_f64 v[58:59], v[10:11], v[54:55], -v[58:59]
	v_fmac_f64_e32 v[60:61], v[12:13], v[54:55]
	v_add_f64 v[74:75], v[82:83], v[58:59]
	v_add_f64 v[76:77], v[84:85], v[60:61]
	ds_read_b128 v[58:61], v73 offset:512
	s_waitcnt lgkmcnt(0)
	v_mul_f64 v[78:79], v[12:13], v[60:61]
	v_fma_f64 v[78:79], v[10:11], v[58:59], -v[78:79]
	v_mul_f64 v[10:11], v[10:11], v[60:61]
	v_fmac_f64_e32 v[10:11], v[12:13], v[58:59]
	v_add_f64 v[80:81], v[88:89], v[10:11]
	ds_read_b128 v[10:13], v63 offset:8208
	v_add_f64 v[78:79], v[86:87], v[78:79]
	s_waitcnt lgkmcnt(0)
	v_mul_f64 v[82:83], v[12:13], v[56:57]
	v_mul_f64 v[56:57], v[10:11], v[56:57]
	v_fma_f64 v[82:83], v[10:11], v[54:55], -v[82:83]
	v_fmac_f64_e32 v[56:57], v[12:13], v[54:55]
	v_mul_f64 v[54:55], v[12:13], v[60:61]
	v_fma_f64 v[54:55], v[10:11], v[58:59], -v[54:55]
	v_mul_f64 v[10:11], v[10:11], v[60:61]
	v_fmac_f64_e32 v[10:11], v[12:13], v[58:59]
	v_add_f64 v[52:53], v[52:53], v[56:57]
	v_add_f64 v[56:57], v[46:47], v[10:11]
	ds_read_b128 v[10:13], v68 offset:1024
	v_add_f64 v[54:55], v[48:49], v[54:55]
	v_add_f64 v[50:51], v[50:51], v[82:83]
	s_waitcnt lgkmcnt(0)
	v_mul_f64 v[46:47], v[8:9], v[12:13]
	v_mul_f64 v[48:49], v[6:7], v[12:13]
	v_fma_f64 v[46:47], v[6:7], v[10:11], -v[46:47]
	v_fmac_f64_e32 v[48:49], v[8:9], v[10:11]
	v_add_f64 v[58:59], v[74:75], v[46:47]
	v_add_f64 v[60:61], v[76:77], v[48:49]
	ds_read_b128 v[46:49], v73 offset:1024
	s_waitcnt lgkmcnt(0)
	v_mul_f64 v[74:75], v[8:9], v[48:49]
	v_fma_f64 v[74:75], v[6:7], v[46:47], -v[74:75]
	v_mul_f64 v[6:7], v[6:7], v[48:49]
	v_fmac_f64_e32 v[6:7], v[8:9], v[46:47]
	v_add_f64 v[76:77], v[80:81], v[6:7]
	ds_read_b128 v[6:9], v63 offset:8224
	v_add_f64 v[74:75], v[78:79], v[74:75]
	s_waitcnt lgkmcnt(0)
	v_mul_f64 v[78:79], v[8:9], v[12:13]
	v_fma_f64 v[78:79], v[6:7], v[10:11], -v[78:79]
	v_mul_f64 v[12:13], v[6:7], v[12:13]
	v_fmac_f64_e32 v[12:13], v[8:9], v[10:11]
	v_add_f64 v[10:11], v[50:51], v[78:79]
	v_mul_f64 v[50:51], v[8:9], v[48:49]
	v_mul_f64 v[48:49], v[6:7], v[48:49]
	v_fmac_f64_e32 v[48:49], v[8:9], v[46:47]
	v_fma_f64 v[50:51], v[6:7], v[46:47], -v[50:51]
	v_add_f64 v[8:9], v[56:57], v[48:49]
	ds_read_b128 v[46:49], v68 offset:1536
	v_add_f64 v[12:13], v[52:53], v[12:13]
	v_add_f64 v[6:7], v[54:55], v[50:51]
	s_waitcnt lgkmcnt(0)
	v_mul_f64 v[50:51], v[4:5], v[48:49]
	v_mul_f64 v[52:53], v[2:3], v[48:49]
	v_fma_f64 v[50:51], v[2:3], v[46:47], -v[50:51]
	v_fmac_f64_e32 v[52:53], v[4:5], v[46:47]
	v_add_f64 v[54:55], v[58:59], v[50:51]
	v_add_f64 v[56:57], v[60:61], v[52:53]
	ds_read_b128 v[50:53], v73 offset:1536
	s_waitcnt lgkmcnt(0)
	v_mul_f64 v[58:59], v[4:5], v[52:53]
	v_fma_f64 v[58:59], v[2:3], v[50:51], -v[58:59]
	v_mul_f64 v[2:3], v[2:3], v[52:53]
	v_fmac_f64_e32 v[2:3], v[4:5], v[50:51]
	v_add_f64 v[60:61], v[76:77], v[2:3]
	ds_read_b128 v[2:5], v63 offset:8240
	v_add_f64 v[58:59], v[74:75], v[58:59]
	s_waitcnt lgkmcnt(0)
	v_mul_f64 v[74:75], v[4:5], v[48:49]
	v_fma_f64 v[74:75], v[2:3], v[46:47], -v[74:75]
	v_mul_f64 v[48:49], v[2:3], v[48:49]
	v_fmac_f64_e32 v[48:49], v[4:5], v[46:47]
	v_add_f64 v[46:47], v[10:11], v[74:75]
	v_mul_f64 v[10:11], v[4:5], v[52:53]
	v_fma_f64 v[10:11], v[2:3], v[50:51], -v[10:11]
	v_mul_f64 v[2:3], v[2:3], v[52:53]
	v_fmac_f64_e32 v[2:3], v[4:5], v[50:51]
	v_add_f64 v[50:51], v[6:7], v[10:11]
	v_add_f64 v[52:53], v[8:9], v[2:3]
	ds_read_b128 v[2:5], v63 offset:64
	ds_read_b128 v[6:9], v68 offset:2048
	v_add_f64 v[48:49], v[12:13], v[48:49]
	s_waitcnt lgkmcnt(0)
	v_mul_f64 v[10:11], v[4:5], v[8:9]
	v_mul_f64 v[12:13], v[2:3], v[8:9]
	v_fma_f64 v[10:11], v[2:3], v[6:7], -v[10:11]
	v_fmac_f64_e32 v[12:13], v[4:5], v[6:7]
	v_add_f64 v[54:55], v[54:55], v[10:11]
	v_add_f64 v[56:57], v[56:57], v[12:13]
	ds_read_b128 v[10:13], v73 offset:2048
	s_waitcnt lgkmcnt(0)
	v_mul_f64 v[74:75], v[4:5], v[12:13]
	v_fma_f64 v[74:75], v[2:3], v[10:11], -v[74:75]
	v_mul_f64 v[2:3], v[2:3], v[12:13]
	v_fmac_f64_e32 v[2:3], v[4:5], v[10:11]
	v_add_f64 v[60:61], v[60:61], v[2:3]
	ds_read_b128 v[2:5], v63 offset:8256
	v_add_f64 v[58:59], v[58:59], v[74:75]
	s_waitcnt lgkmcnt(0)
	v_mul_f64 v[74:75], v[4:5], v[8:9]
	v_fma_f64 v[74:75], v[2:3], v[6:7], -v[74:75]
	v_mul_f64 v[8:9], v[2:3], v[8:9]
	v_fmac_f64_e32 v[8:9], v[4:5], v[6:7]
	v_add_f64 v[6:7], v[46:47], v[74:75]
	v_mul_f64 v[46:47], v[4:5], v[12:13]
	v_mul_f64 v[12:13], v[2:3], v[12:13]
	v_fma_f64 v[46:47], v[2:3], v[10:11], -v[46:47]
	v_fmac_f64_e32 v[12:13], v[4:5], v[10:11]
	v_add_f64 v[8:9], v[48:49], v[8:9]
	v_add_f64 v[2:3], v[50:51], v[46:47]
	v_add_f64 v[4:5], v[52:53], v[12:13]
	ds_read_b128 v[10:13], v63 offset:80
	ds_read_b128 v[46:49], v68 offset:2560
	s_waitcnt lgkmcnt(0)
	v_mul_f64 v[50:51], v[12:13], v[48:49]
	v_mul_f64 v[52:53], v[10:11], v[48:49]
	v_fma_f64 v[50:51], v[10:11], v[46:47], -v[50:51]
	v_fmac_f64_e32 v[52:53], v[12:13], v[46:47]
	v_add_f64 v[54:55], v[54:55], v[50:51]
	v_add_f64 v[56:57], v[56:57], v[52:53]
	ds_read_b128 v[50:53], v73 offset:2560
	s_waitcnt lgkmcnt(0)
	v_mul_f64 v[74:75], v[12:13], v[52:53]
	v_fma_f64 v[74:75], v[10:11], v[50:51], -v[74:75]
	v_mul_f64 v[10:11], v[10:11], v[52:53]
	v_fmac_f64_e32 v[10:11], v[12:13], v[50:51]
	v_add_f64 v[60:61], v[60:61], v[10:11]
	ds_read_b128 v[10:13], v63 offset:8272
	v_add_f64 v[58:59], v[58:59], v[74:75]
	s_waitcnt lgkmcnt(0)
	v_mul_f64 v[74:75], v[12:13], v[48:49]
	v_mul_f64 v[48:49], v[10:11], v[48:49]
	v_fma_f64 v[74:75], v[10:11], v[46:47], -v[74:75]
	v_fmac_f64_e32 v[48:49], v[12:13], v[46:47]
	v_add_f64 v[46:47], v[6:7], v[74:75]
	v_add_f64 v[48:49], v[8:9], v[48:49]
	v_mul_f64 v[6:7], v[12:13], v[52:53]
	v_mul_f64 v[8:9], v[10:11], v[52:53]
	v_fma_f64 v[6:7], v[10:11], v[50:51], -v[6:7]
	v_fmac_f64_e32 v[8:9], v[12:13], v[50:51]
	v_add_f64 v[50:51], v[2:3], v[6:7]
	v_add_f64 v[52:53], v[4:5], v[8:9]
	ds_read_b128 v[2:5], v63 offset:96
	ds_read_b128 v[6:9], v68 offset:3072
	s_waitcnt lgkmcnt(0)
	v_mul_f64 v[10:11], v[4:5], v[8:9]
	v_mul_f64 v[12:13], v[2:3], v[8:9]
	v_fma_f64 v[10:11], v[2:3], v[6:7], -v[10:11]
	v_fmac_f64_e32 v[12:13], v[4:5], v[6:7]
	v_add_f64 v[54:55], v[54:55], v[10:11]
	v_add_f64 v[56:57], v[56:57], v[12:13]
	ds_read_b128 v[10:13], v73 offset:3072
	s_waitcnt lgkmcnt(0)
	v_mul_f64 v[74:75], v[4:5], v[12:13]
	v_fma_f64 v[74:75], v[2:3], v[10:11], -v[74:75]
	v_mul_f64 v[2:3], v[2:3], v[12:13]
	v_fmac_f64_e32 v[2:3], v[4:5], v[10:11]
	v_add_f64 v[60:61], v[60:61], v[2:3]
	ds_read_b128 v[2:5], v63 offset:8288
	v_add_f64 v[58:59], v[58:59], v[74:75]
	s_waitcnt lgkmcnt(0)
	v_mul_f64 v[74:75], v[4:5], v[8:9]
	v_fma_f64 v[74:75], v[2:3], v[6:7], -v[74:75]
	v_mul_f64 v[8:9], v[2:3], v[8:9]
	v_fmac_f64_e32 v[8:9], v[4:5], v[6:7]
	v_add_f64 v[6:7], v[46:47], v[74:75]
	v_mul_f64 v[46:47], v[4:5], v[12:13]
	v_mul_f64 v[12:13], v[2:3], v[12:13]
	v_fma_f64 v[46:47], v[2:3], v[10:11], -v[46:47]
	v_fmac_f64_e32 v[12:13], v[4:5], v[10:11]
	v_add_f64 v[8:9], v[48:49], v[8:9]
	v_add_f64 v[2:3], v[50:51], v[46:47]
	v_add_f64 v[4:5], v[52:53], v[12:13]
	ds_read_b128 v[10:13], v63 offset:112
	ds_read_b128 v[46:49], v68 offset:3584
	s_waitcnt lgkmcnt(0)
	v_mul_f64 v[50:51], v[12:13], v[48:49]
	v_mul_f64 v[52:53], v[10:11], v[48:49]
	v_fma_f64 v[50:51], v[10:11], v[46:47], -v[50:51]
	v_fmac_f64_e32 v[52:53], v[12:13], v[46:47]
	v_add_f64 v[54:55], v[54:55], v[50:51]
	v_add_f64 v[56:57], v[56:57], v[52:53]
	ds_read_b128 v[50:53], v73 offset:3584
	s_waitcnt lgkmcnt(0)
	v_mul_f64 v[74:75], v[12:13], v[52:53]
	v_fma_f64 v[74:75], v[10:11], v[50:51], -v[74:75]
	v_mul_f64 v[10:11], v[10:11], v[52:53]
	v_fmac_f64_e32 v[10:11], v[12:13], v[50:51]
	v_add_f64 v[60:61], v[60:61], v[10:11]
	ds_read_b128 v[10:13], v63 offset:8304
	v_add_f64 v[58:59], v[58:59], v[74:75]
	s_waitcnt lgkmcnt(0)
	v_mul_f64 v[74:75], v[12:13], v[48:49]
	v_mul_f64 v[48:49], v[10:11], v[48:49]
	v_fma_f64 v[74:75], v[10:11], v[46:47], -v[74:75]
	v_fmac_f64_e32 v[48:49], v[12:13], v[46:47]
	v_add_f64 v[46:47], v[6:7], v[74:75]
	v_add_f64 v[48:49], v[8:9], v[48:49]
	v_mul_f64 v[6:7], v[12:13], v[52:53]
	v_mul_f64 v[8:9], v[10:11], v[52:53]
	v_fma_f64 v[6:7], v[10:11], v[50:51], -v[6:7]
	v_fmac_f64_e32 v[8:9], v[12:13], v[50:51]
	v_add_f64 v[50:51], v[2:3], v[6:7]
	v_add_f64 v[52:53], v[4:5], v[8:9]
	ds_read_b128 v[2:5], v63 offset:128
	ds_read_b128 v[6:9], v68 offset:4096
	;; [unrolled: 62-line block ×13, first 2 shown]
	s_waitcnt lgkmcnt(0)
	v_mul_f64 v[10:11], v[4:5], v[8:9]
	v_mul_f64 v[12:13], v[2:3], v[8:9]
	v_fma_f64 v[10:11], v[2:3], v[6:7], -v[10:11]
	v_fmac_f64_e32 v[12:13], v[4:5], v[6:7]
	v_add_f64 v[54:55], v[54:55], v[10:11]
	v_add_f64 v[56:57], v[56:57], v[12:13]
	ds_read_b128 v[10:13], v73 offset:15360
	s_waitcnt lgkmcnt(0)
	v_mul_f64 v[74:75], v[4:5], v[12:13]
	v_fma_f64 v[74:75], v[2:3], v[10:11], -v[74:75]
	v_mul_f64 v[2:3], v[2:3], v[12:13]
	v_fmac_f64_e32 v[2:3], v[4:5], v[10:11]
	v_add_f64 v[80:81], v[60:61], v[2:3]
	ds_read_b128 v[2:5], v63 offset:8672
	v_add_f64 v[78:79], v[58:59], v[74:75]
	s_waitcnt lgkmcnt(0)
	v_mul_f64 v[58:59], v[4:5], v[8:9]
	v_fma_f64 v[58:59], v[2:3], v[6:7], -v[58:59]
	v_mul_f64 v[8:9], v[2:3], v[8:9]
	v_fmac_f64_e32 v[8:9], v[4:5], v[6:7]
	v_add_f64 v[6:7], v[46:47], v[58:59]
	v_mul_f64 v[46:47], v[4:5], v[12:13]
	v_mul_f64 v[12:13], v[2:3], v[12:13]
	v_fma_f64 v[46:47], v[2:3], v[10:11], -v[46:47]
	v_fmac_f64_e32 v[12:13], v[4:5], v[10:11]
	v_add_f64 v[8:9], v[48:49], v[8:9]
	v_add_f64 v[2:3], v[50:51], v[46:47]
	v_add_f64 v[4:5], v[52:53], v[12:13]
	ds_read_b128 v[10:13], v63 offset:496
	ds_read_b128 v[46:49], v68 offset:15872
	;; [unrolled: 1-line block ×3, first 2 shown]
	s_waitcnt lgkmcnt(1)
	v_mul_f64 v[50:51], v[12:13], v[48:49]
	v_fma_f64 v[50:51], v[10:11], v[46:47], -v[50:51]
	v_add_f64 v[58:59], v[54:55], v[50:51]
	s_waitcnt lgkmcnt(0)
	v_mul_f64 v[50:51], v[12:13], v[76:77]
	v_mul_f64 v[52:53], v[10:11], v[48:49]
	v_fma_f64 v[50:51], v[10:11], v[74:75], -v[50:51]
	v_mul_f64 v[10:11], v[10:11], v[76:77]
	v_fmac_f64_e32 v[52:53], v[12:13], v[46:47]
	v_fmac_f64_e32 v[10:11], v[12:13], v[74:75]
	v_add_f64 v[60:61], v[56:57], v[52:53]
	v_add_f64 v[56:57], v[80:81], v[10:11]
	ds_read_b128 v[10:13], v63 offset:8688
	v_add_f64 v[52:53], v[78:79], v[50:51]
	s_waitcnt lgkmcnt(0)
	s_barrier
	v_mul_f64 v[50:51], v[12:13], v[48:49]
	v_fma_f64 v[50:51], v[10:11], v[46:47], -v[50:51]
	v_mul_f64 v[48:49], v[10:11], v[48:49]
	v_add_f64 v[50:51], v[6:7], v[50:51]
	v_mul_f64 v[6:7], v[12:13], v[76:77]
	v_fmac_f64_e32 v[48:49], v[12:13], v[46:47]
	v_fma_f64 v[6:7], v[10:11], v[74:75], -v[6:7]
	v_add_f64 v[54:55], v[8:9], v[48:49]
	v_add_f64 v[48:49], v[2:3], v[6:7]
	v_mov_b32_e32 v2, s35
	v_addc_co_u32_e64 v45, s[10:11], v45, v2, s[10:11]
	v_add_co_u32_e64 v32, s[10:11], s26, v32
	v_mov_b32_e32 v2, s27
	v_mul_f64 v[8:9], v[10:11], v[76:77]
	v_addc_co_u32_e64 v33, s[10:11], v33, v2, s[10:11]
	v_fmac_f64_e32 v[8:9], v[12:13], v[74:75]
	v_add_co_u32_e64 v34, s[10:11], s26, v34
	v_add_f64 v[46:47], v[4:5], v[8:9]
	v_addc_co_u32_e64 v35, s[10:11], v35, v2, s[10:11]
	s_cbranch_scc1 .LBB126_55
.LBB126_7:                              ;   Parent Loop BB126_4 Depth=1
                                        ; =>  This Inner Loop Header: Depth=2
	v_mov_b32_e32 v2, s51
	v_add_co_u32_e64 v6, s[10:11], s50, v20
	v_addc_co_u32_e64 v7, s[10:11], v21, v2, s[10:11]
	v_add_co_u32_e64 v4, s[10:11], v32, v30
	v_addc_co_u32_e64 v5, s[10:11], v33, v31, s[10:11]
	v_cmp_eq_u64_e64 s[10:11], s[50:51], v[26:27]
	s_and_b64 s[54:55], s[24:25], s[10:11]
	v_cmp_lt_i64_e64 s[10:11], v[6:7], v[24:25]
	v_cmp_le_i64_e64 s[12:13], s[46:47], v[6:7]
	s_or_b64 s[14:15], s[16:17], s[10:11]
	s_or_b64 s[14:15], s[12:13], s[14:15]
	;; [unrolled: 1-line block ×3, first 2 shown]
	s_xor_b64 s[14:15], s[14:15], -1
	s_and_saveexec_b64 s[18:19], s[14:15]
	s_xor_b64 s[14:15], exec, s[18:19]
	s_cbranch_execz .LBB126_9
; %bb.8:                                ;   in Loop: Header=BB126_7 Depth=2
	global_load_dwordx4 v[8:11], v[4:5], off offset:-256
	s_waitcnt vmcnt(0)
	ds_write2_b64 v64, v[8:9], v[10:11] offset1:1
.LBB126_9:                              ;   in Loop: Header=BB126_7 Depth=2
	s_or_saveexec_b64 s[14:15], s[14:15]
	s_xor_b64 s[52:53], s[54:55], -1
	s_xor_b64 exec, exec, s[14:15]
	s_cbranch_execz .LBB126_15
; %bb.10:                               ;   in Loop: Header=BB126_7 Depth=2
	s_and_saveexec_b64 s[18:19], s[52:53]
	s_xor_b64 s[18:19], exec, s[18:19]
	s_cbranch_execz .LBB126_12
; %bb.11:                               ;   in Loop: Header=BB126_7 Depth=2
	v_mov_b32_e32 v8, v0
	v_mov_b32_e32 v9, v0
	;; [unrolled: 1-line block ×4, first 2 shown]
	ds_write_b128 v64, v[8:11]
.LBB126_12:                             ;   in Loop: Header=BB126_7 Depth=2
	s_andn2_saveexec_b64 s[18:19], s[18:19]
	s_cbranch_execz .LBB126_14
; %bb.13:                               ;   in Loop: Header=BB126_7 Depth=2
	v_mov_b32_e32 v2, v0
	v_mov_b32_e32 v3, v0
	ds_write_b128 v64, v[0:3]
.LBB126_14:                             ;   in Loop: Header=BB126_7 Depth=2
	s_or_b64 exec, exec, s[18:19]
.LBB126_15:                             ;   in Loop: Header=BB126_7 Depth=2
	s_or_b64 exec, exec, s[14:15]
	v_add_co_u32_e64 v2, s[14:15], 16, v6
	v_addc_co_u32_e64 v3, s[14:15], 0, v7, s[14:15]
	v_cmp_eq_u64_e64 s[14:15], s[50:51], v[42:43]
	v_cmp_lt_i64_e64 s[18:19], v[2:3], v[24:25]
	s_and_b64 s[56:57], s[24:25], s[14:15]
	v_cmp_le_i64_e64 s[14:15], s[46:47], v[2:3]
	s_or_b64 s[18:19], s[16:17], s[18:19]
	s_or_b64 s[18:19], s[14:15], s[18:19]
	;; [unrolled: 1-line block ×3, first 2 shown]
	s_xor_b64 s[18:19], s[18:19], -1
	s_and_saveexec_b64 s[58:59], s[18:19]
	s_xor_b64 s[58:59], exec, s[58:59]
	s_cbranch_execz .LBB126_17
; %bb.16:                               ;   in Loop: Header=BB126_7 Depth=2
	v_add_co_u32_e64 v2, s[18:19], v34, v30
	v_addc_co_u32_e64 v3, s[18:19], v35, v31, s[18:19]
	global_load_dwordx4 v[8:11], v[2:3], off
	s_waitcnt vmcnt(0)
	ds_write2_b64 v65, v[8:9], v[10:11] offset1:1
.LBB126_17:                             ;   in Loop: Header=BB126_7 Depth=2
	s_andn2_saveexec_b64 s[18:19], s[58:59]
	s_cbranch_execz .LBB126_23
; %bb.18:                               ;   in Loop: Header=BB126_7 Depth=2
	s_xor_b64 s[56:57], s[56:57], -1
	s_and_saveexec_b64 s[58:59], s[56:57]
	s_xor_b64 s[56:57], exec, s[58:59]
	s_cbranch_execz .LBB126_20
; %bb.19:                               ;   in Loop: Header=BB126_7 Depth=2
	v_mov_b32_e32 v8, v0
	v_mov_b32_e32 v9, v0
	;; [unrolled: 1-line block ×4, first 2 shown]
	ds_write_b128 v65, v[8:11]
.LBB126_20:                             ;   in Loop: Header=BB126_7 Depth=2
	s_andn2_saveexec_b64 s[56:57], s[56:57]
	s_cbranch_execz .LBB126_22
; %bb.21:                               ;   in Loop: Header=BB126_7 Depth=2
	v_mov_b32_e32 v2, v0
	v_mov_b32_e32 v3, v0
	ds_write_b128 v65, v[0:3]
.LBB126_22:                             ;   in Loop: Header=BB126_7 Depth=2
	s_or_b64 exec, exec, s[56:57]
.LBB126_23:                             ;   in Loop: Header=BB126_7 Depth=2
	s_or_b64 exec, exec, s[18:19]
	v_cmp_eq_u64_e64 s[18:19], s[50:51], v[40:41]
	s_and_b64 s[56:57], s[24:25], s[18:19]
	v_cmp_lt_i64_e64 s[18:19], v[6:7], v[38:39]
	s_or_b64 s[18:19], s[8:9], s[18:19]
	s_or_b64 s[18:19], s[18:19], s[56:57]
	;; [unrolled: 1-line block ×3, first 2 shown]
	s_xor_b64 s[12:13], s[12:13], -1
	s_and_saveexec_b64 s[18:19], s[12:13]
	s_xor_b64 s[12:13], exec, s[18:19]
	s_cbranch_execz .LBB126_25
; %bb.24:                               ;   in Loop: Header=BB126_7 Depth=2
	global_load_dwordx4 v[2:5], v[4:5], off
	s_waitcnt vmcnt(0)
	ds_write2_b64 v66, v[2:3], v[4:5] offset1:1
.LBB126_25:                             ;   in Loop: Header=BB126_7 Depth=2
	s_andn2_saveexec_b64 s[12:13], s[12:13]
	s_cbranch_execz .LBB126_31
; %bb.26:                               ;   in Loop: Header=BB126_7 Depth=2
	s_xor_b64 s[18:19], s[56:57], -1
	s_and_saveexec_b64 s[56:57], s[18:19]
	s_xor_b64 s[18:19], exec, s[56:57]
	s_cbranch_execz .LBB126_28
; %bb.27:                               ;   in Loop: Header=BB126_7 Depth=2
	v_mov_b32_e32 v2, v0
	v_mov_b32_e32 v3, v0
	;; [unrolled: 1-line block ×4, first 2 shown]
	ds_write_b128 v66, v[2:5]
.LBB126_28:                             ;   in Loop: Header=BB126_7 Depth=2
	s_andn2_saveexec_b64 s[18:19], s[18:19]
	s_cbranch_execz .LBB126_30
; %bb.29:                               ;   in Loop: Header=BB126_7 Depth=2
	v_mov_b32_e32 v2, v0
	v_mov_b32_e32 v3, v0
	ds_write_b128 v66, v[0:3]
.LBB126_30:                             ;   in Loop: Header=BB126_7 Depth=2
	s_or_b64 exec, exec, s[18:19]
.LBB126_31:                             ;   in Loop: Header=BB126_7 Depth=2
	s_or_b64 exec, exec, s[12:13]
	s_or_b64 s[10:11], s[8:9], s[10:11]
	s_or_b64 s[10:11], s[14:15], s[10:11]
	;; [unrolled: 1-line block ×3, first 2 shown]
	s_xor_b64 s[10:11], s[10:11], -1
	s_and_saveexec_b64 s[12:13], s[10:11]
	s_xor_b64 s[12:13], exec, s[12:13]
	s_cbranch_execz .LBB126_33
; %bb.32:                               ;   in Loop: Header=BB126_7 Depth=2
	v_add_co_u32_e64 v2, s[10:11], v34, v30
	v_addc_co_u32_e64 v3, s[10:11], v35, v31, s[10:11]
	global_load_dwordx4 v[2:5], v[2:3], off offset:256
	s_waitcnt vmcnt(0)
	ds_write2_b64 v67, v[2:3], v[4:5] offset1:1
.LBB126_33:                             ;   in Loop: Header=BB126_7 Depth=2
	s_andn2_saveexec_b64 s[10:11], s[12:13]
	s_cbranch_execz .LBB126_39
; %bb.34:                               ;   in Loop: Header=BB126_7 Depth=2
	s_and_saveexec_b64 s[12:13], s[52:53]
	s_xor_b64 s[12:13], exec, s[12:13]
	s_cbranch_execz .LBB126_36
; %bb.35:                               ;   in Loop: Header=BB126_7 Depth=2
	v_mov_b32_e32 v2, v0
	v_mov_b32_e32 v3, v0
	;; [unrolled: 1-line block ×4, first 2 shown]
	ds_write_b128 v67, v[2:5]
.LBB126_36:                             ;   in Loop: Header=BB126_7 Depth=2
	s_andn2_saveexec_b64 s[12:13], s[12:13]
	s_cbranch_execz .LBB126_38
; %bb.37:                               ;   in Loop: Header=BB126_7 Depth=2
	v_mov_b32_e32 v2, v0
	v_mov_b32_e32 v3, v0
	ds_write_b128 v67, v[0:3]
.LBB126_38:                             ;   in Loop: Header=BB126_7 Depth=2
	s_or_b64 exec, exec, s[12:13]
.LBB126_39:                             ;   in Loop: Header=BB126_7 Depth=2
	s_or_b64 exec, exec, s[10:11]
	v_mov_b32_e32 v3, s51
	v_add_co_u32_e64 v2, s[10:11], s50, v22
	v_addc_co_u32_e64 v3, s[10:11], v23, v3, s[10:11]
	v_add_co_u32_e64 v4, s[10:11], v44, v28
	v_addc_co_u32_e64 v5, s[10:11], v45, v29, s[10:11]
	v_cmp_le_i64_e64 s[10:11], s[46:47], v[2:3]
	s_or_b64 s[12:13], s[10:11], vcc
	s_xor_b64 s[12:13], s[12:13], -1
	s_and_saveexec_b64 s[14:15], s[12:13]
	s_xor_b64 s[12:13], exec, s[14:15]
	s_cbranch_execz .LBB126_41
; %bb.40:                               ;   in Loop: Header=BB126_7 Depth=2
	global_load_dwordx4 v[6:9], v[4:5], off offset:-256
	s_waitcnt vmcnt(0)
	ds_write2_b64 v69, v[6:7], v[8:9] offset1:1
.LBB126_41:                             ;   in Loop: Header=BB126_7 Depth=2
	s_andn2_saveexec_b64 s[12:13], s[12:13]
	s_cbranch_execz .LBB126_43
; %bb.42:                               ;   in Loop: Header=BB126_7 Depth=2
	v_mov_b32_e32 v6, v0
	v_mov_b32_e32 v7, v0
	;; [unrolled: 1-line block ×4, first 2 shown]
	ds_write_b128 v69, v[6:9]
.LBB126_43:                             ;   in Loop: Header=BB126_7 Depth=2
	s_or_b64 exec, exec, s[12:13]
	s_or_b64 s[10:11], s[10:11], s[0:1]
	s_xor_b64 s[10:11], s[10:11], -1
	s_and_saveexec_b64 s[12:13], s[10:11]
	s_xor_b64 s[10:11], exec, s[12:13]
	s_cbranch_execz .LBB126_45
; %bb.44:                               ;   in Loop: Header=BB126_7 Depth=2
	global_load_dwordx4 v[4:7], v[4:5], off
	s_waitcnt vmcnt(0)
	ds_write2_b64 v70, v[4:5], v[6:7] offset1:1
.LBB126_45:                             ;   in Loop: Header=BB126_7 Depth=2
	s_andn2_saveexec_b64 s[10:11], s[10:11]
	s_cbranch_execz .LBB126_47
; %bb.46:                               ;   in Loop: Header=BB126_7 Depth=2
	v_mov_b32_e32 v4, v0
	v_mov_b32_e32 v5, v0
	;; [unrolled: 1-line block ×4, first 2 shown]
	ds_write_b128 v70, v[4:7]
.LBB126_47:                             ;   in Loop: Header=BB126_7 Depth=2
	s_or_b64 exec, exec, s[10:11]
	v_cmp_le_i64_e64 s[10:11], s[38:39], v[2:3]
	s_or_b64 s[12:13], s[10:11], vcc
	s_xor_b64 s[12:13], s[12:13], -1
	s_and_saveexec_b64 s[14:15], s[12:13]
	s_xor_b64 s[14:15], exec, s[14:15]
	s_cbranch_execz .LBB126_49
; %bb.48:                               ;   in Loop: Header=BB126_7 Depth=2
	v_add_co_u32_e64 v2, s[12:13], v44, v36
	v_addc_co_u32_e64 v3, s[12:13], v45, v37, s[12:13]
	global_load_dwordx4 v[2:5], v[2:3], off offset:-256
	s_waitcnt vmcnt(0)
	ds_write2_b64 v71, v[2:3], v[4:5] offset1:1
.LBB126_49:                             ;   in Loop: Header=BB126_7 Depth=2
	s_andn2_saveexec_b64 s[12:13], s[14:15]
	s_cbranch_execz .LBB126_51
; %bb.50:                               ;   in Loop: Header=BB126_7 Depth=2
	v_mov_b32_e32 v2, v0
	v_mov_b32_e32 v3, v0
	;; [unrolled: 1-line block ×4, first 2 shown]
	ds_write_b128 v71, v[2:5]
.LBB126_51:                             ;   in Loop: Header=BB126_7 Depth=2
	s_or_b64 exec, exec, s[12:13]
	s_or_b64 s[10:11], s[10:11], s[0:1]
	s_xor_b64 s[10:11], s[10:11], -1
	s_and_saveexec_b64 s[12:13], s[10:11]
	s_xor_b64 s[12:13], exec, s[12:13]
	s_cbranch_execz .LBB126_53
; %bb.52:                               ;   in Loop: Header=BB126_7 Depth=2
	v_add_co_u32_e64 v2, s[10:11], v44, v36
	v_addc_co_u32_e64 v3, s[10:11], v45, v37, s[10:11]
	global_load_dwordx4 v[2:5], v[2:3], off
	s_waitcnt vmcnt(0)
	ds_write2_b64 v72, v[2:3], v[4:5] offset1:1
.LBB126_53:                             ;   in Loop: Header=BB126_7 Depth=2
	s_andn2_saveexec_b64 s[10:11], s[12:13]
	s_cbranch_execz .LBB126_6
; %bb.54:                               ;   in Loop: Header=BB126_7 Depth=2
	v_mov_b32_e32 v2, v0
	v_mov_b32_e32 v3, v0
	;; [unrolled: 1-line block ×4, first 2 shown]
	ds_write_b128 v72, v[2:5]
	s_branch .LBB126_6
.LBB126_55:                             ;   in Loop: Header=BB126_4 Depth=1
	v_mul_lo_u32 v4, v25, s48
	v_mul_lo_u32 v5, v24, s49
	v_mad_u64_u32 v[2:3], s[10:11], v24, s48, 0
	v_add3_u32 v3, v3, v5, v4
	v_lshlrev_b64 v[2:3], 4, v[2:3]
	v_mov_b32_e32 v4, s62
	v_add_co_u32_e64 v2, s[10:11], s61, v2
	v_cmp_gt_i32_e64 s[8:9], s46, v24
	v_addc_co_u32_e64 v3, s[10:11], v4, v3, s[10:11]
	s_and_b64 s[10:11], s[2:3], s[8:9]
	s_and_saveexec_b64 s[12:13], s[10:11]
	s_cbranch_execz .LBB126_57
; %bb.56:                               ;   in Loop: Header=BB126_4 Depth=1
	v_add_co_u32_e64 v8, s[10:11], v2, v14
	v_addc_co_u32_e64 v9, s[10:11], v3, v15, s[10:11]
	global_load_dwordx4 v[4:7], v[8:9], off
	v_mul_f64 v[10:11], s[30:31], v[60:61]
	v_mul_f64 v[12:13], s[28:29], v[60:61]
	v_fma_f64 v[10:11], s[28:29], v[58:59], -v[10:11]
	v_fmac_f64_e32 v[12:13], s[30:31], v[58:59]
	s_waitcnt vmcnt(0)
	v_add_f64 v[4:5], v[4:5], v[10:11]
	v_add_f64 v[6:7], v[6:7], v[12:13]
	global_store_dwordx4 v[8:9], v[4:7], off
.LBB126_57:                             ;   in Loop: Header=BB126_4 Depth=1
	s_or_b64 exec, exec, s[12:13]
	s_and_b64 s[8:9], s[4:5], s[8:9]
	s_and_saveexec_b64 s[10:11], s[8:9]
	s_cbranch_execz .LBB126_59
; %bb.58:                               ;   in Loop: Header=BB126_4 Depth=1
	v_lshlrev_b64 v[4:5], 4, v[18:19]
	v_add_co_u32_e64 v6, s[8:9], v2, v4
	v_addc_co_u32_e64 v7, s[8:9], v3, v5, s[8:9]
	global_load_dwordx4 v[2:5], v[6:7], off
	v_mul_f64 v[8:9], s[30:31], v[56:57]
	v_mul_f64 v[10:11], s[28:29], v[56:57]
	v_fma_f64 v[8:9], s[28:29], v[52:53], -v[8:9]
	v_fmac_f64_e32 v[10:11], s[30:31], v[52:53]
	s_waitcnt vmcnt(0)
	v_add_f64 v[2:3], v[2:3], v[8:9]
	v_add_f64 v[4:5], v[4:5], v[10:11]
	global_store_dwordx4 v[6:7], v[2:5], off
.LBB126_59:                             ;   in Loop: Header=BB126_4 Depth=1
	s_or_b64 exec, exec, s[10:11]
	v_add_u32_e32 v2, 16, v24
	v_ashrrev_i32_e32 v3, 31, v2
	v_cmp_gt_i32_e64 s[8:9], s46, v2
	v_mul_lo_u32 v4, v3, s48
	v_mul_lo_u32 v5, v2, s49
	v_mad_u64_u32 v[2:3], s[10:11], v2, s48, 0
	v_add3_u32 v3, v3, v5, v4
	v_lshlrev_b64 v[2:3], 4, v[2:3]
	v_mov_b32_e32 v4, s62
	v_add_co_u32_e64 v2, s[10:11], s61, v2
	v_addc_co_u32_e64 v3, s[10:11], v4, v3, s[10:11]
	s_and_b64 s[10:11], s[2:3], s[8:9]
	s_and_saveexec_b64 s[12:13], s[10:11]
	s_cbranch_execz .LBB126_61
; %bb.60:                               ;   in Loop: Header=BB126_4 Depth=1
	v_add_co_u32_e64 v8, s[10:11], v2, v14
	v_addc_co_u32_e64 v9, s[10:11], v3, v15, s[10:11]
	global_load_dwordx4 v[4:7], v[8:9], off
	v_mul_f64 v[10:11], s[30:31], v[54:55]
	v_mul_f64 v[12:13], s[28:29], v[54:55]
	v_fma_f64 v[10:11], s[28:29], v[50:51], -v[10:11]
	v_fmac_f64_e32 v[12:13], s[30:31], v[50:51]
	s_waitcnt vmcnt(0)
	v_add_f64 v[4:5], v[4:5], v[10:11]
	v_add_f64 v[6:7], v[6:7], v[12:13]
	global_store_dwordx4 v[8:9], v[4:7], off
.LBB126_61:                             ;   in Loop: Header=BB126_4 Depth=1
	s_or_b64 exec, exec, s[12:13]
	s_and_b64 s[8:9], s[4:5], s[8:9]
	s_and_saveexec_b64 s[10:11], s[8:9]
	s_cbranch_execz .LBB126_3
; %bb.62:                               ;   in Loop: Header=BB126_4 Depth=1
	v_lshlrev_b64 v[4:5], 4, v[18:19]
	v_add_co_u32_e64 v6, s[8:9], v2, v4
	v_addc_co_u32_e64 v7, s[8:9], v3, v5, s[8:9]
	global_load_dwordx4 v[2:5], v[6:7], off
	v_mul_f64 v[8:9], s[30:31], v[46:47]
	v_mul_f64 v[10:11], s[28:29], v[46:47]
	v_fma_f64 v[8:9], s[28:29], v[48:49], -v[8:9]
	v_fmac_f64_e32 v[10:11], s[30:31], v[48:49]
	s_waitcnt vmcnt(0)
	v_add_f64 v[2:3], v[2:3], v[8:9]
	v_add_f64 v[4:5], v[4:5], v[10:11]
	global_store_dwordx4 v[6:7], v[2:5], off
	s_branch .LBB126_3
.LBB126_63:
	s_endpgm
	.section	.rodata,"a",@progbits
	.p2align	6, 0x0
	.amdhsa_kernel _ZL30rocblas_trmm_outofplace_kernelI19rocblas_complex_numIdELi32ELi2ELb0ELb1ELb1ELb0EPKS1_S2_S1_Ev17rocblas_diagonal_iiT6_lPT7_lllS7_lllPT8_llli
		.amdhsa_group_segment_fixed_size 32768
		.amdhsa_private_segment_fixed_size 0
		.amdhsa_kernarg_size 392
		.amdhsa_user_sgpr_count 6
		.amdhsa_user_sgpr_private_segment_buffer 1
		.amdhsa_user_sgpr_dispatch_ptr 0
		.amdhsa_user_sgpr_queue_ptr 0
		.amdhsa_user_sgpr_kernarg_segment_ptr 1
		.amdhsa_user_sgpr_dispatch_id 0
		.amdhsa_user_sgpr_flat_scratch_init 0
		.amdhsa_user_sgpr_kernarg_preload_length 0
		.amdhsa_user_sgpr_kernarg_preload_offset 0
		.amdhsa_user_sgpr_private_segment_size 0
		.amdhsa_uses_dynamic_stack 0
		.amdhsa_system_sgpr_private_segment_wavefront_offset 0
		.amdhsa_system_sgpr_workgroup_id_x 1
		.amdhsa_system_sgpr_workgroup_id_y 1
		.amdhsa_system_sgpr_workgroup_id_z 1
		.amdhsa_system_sgpr_workgroup_info 0
		.amdhsa_system_vgpr_workitem_id 1
		.amdhsa_next_free_vgpr 90
		.amdhsa_next_free_sgpr 65
		.amdhsa_accum_offset 92
		.amdhsa_reserve_vcc 1
		.amdhsa_reserve_flat_scratch 0
		.amdhsa_float_round_mode_32 0
		.amdhsa_float_round_mode_16_64 0
		.amdhsa_float_denorm_mode_32 3
		.amdhsa_float_denorm_mode_16_64 3
		.amdhsa_dx10_clamp 1
		.amdhsa_ieee_mode 1
		.amdhsa_fp16_overflow 0
		.amdhsa_tg_split 0
		.amdhsa_exception_fp_ieee_invalid_op 0
		.amdhsa_exception_fp_denorm_src 0
		.amdhsa_exception_fp_ieee_div_zero 0
		.amdhsa_exception_fp_ieee_overflow 0
		.amdhsa_exception_fp_ieee_underflow 0
		.amdhsa_exception_fp_ieee_inexact 0
		.amdhsa_exception_int_div_zero 0
	.end_amdhsa_kernel
	.section	.text._ZL30rocblas_trmm_outofplace_kernelI19rocblas_complex_numIdELi32ELi2ELb0ELb1ELb1ELb0EPKS1_S2_S1_Ev17rocblas_diagonal_iiT6_lPT7_lllS7_lllPT8_llli,"axG",@progbits,_ZL30rocblas_trmm_outofplace_kernelI19rocblas_complex_numIdELi32ELi2ELb0ELb1ELb1ELb0EPKS1_S2_S1_Ev17rocblas_diagonal_iiT6_lPT7_lllS7_lllPT8_llli,comdat
.Lfunc_end126:
	.size	_ZL30rocblas_trmm_outofplace_kernelI19rocblas_complex_numIdELi32ELi2ELb0ELb1ELb1ELb0EPKS1_S2_S1_Ev17rocblas_diagonal_iiT6_lPT7_lllS7_lllPT8_llli, .Lfunc_end126-_ZL30rocblas_trmm_outofplace_kernelI19rocblas_complex_numIdELi32ELi2ELb0ELb1ELb1ELb0EPKS1_S2_S1_Ev17rocblas_diagonal_iiT6_lPT7_lllS7_lllPT8_llli
                                        ; -- End function
	.section	.AMDGPU.csdata,"",@progbits
; Kernel info:
; codeLenInByte = 9752
; NumSgprs: 69
; NumVgprs: 90
; NumAgprs: 0
; TotalNumVgprs: 90
; ScratchSize: 0
; MemoryBound: 0
; FloatMode: 240
; IeeeMode: 1
; LDSByteSize: 32768 bytes/workgroup (compile time only)
; SGPRBlocks: 8
; VGPRBlocks: 11
; NumSGPRsForWavesPerEU: 69
; NumVGPRsForWavesPerEU: 90
; AccumOffset: 92
; Occupancy: 5
; WaveLimiterHint : 0
; COMPUTE_PGM_RSRC2:SCRATCH_EN: 0
; COMPUTE_PGM_RSRC2:USER_SGPR: 6
; COMPUTE_PGM_RSRC2:TRAP_HANDLER: 0
; COMPUTE_PGM_RSRC2:TGID_X_EN: 1
; COMPUTE_PGM_RSRC2:TGID_Y_EN: 1
; COMPUTE_PGM_RSRC2:TGID_Z_EN: 1
; COMPUTE_PGM_RSRC2:TIDIG_COMP_CNT: 1
; COMPUTE_PGM_RSRC3_GFX90A:ACCUM_OFFSET: 22
; COMPUTE_PGM_RSRC3_GFX90A:TG_SPLIT: 0
	.section	.text._ZL30rocblas_trmm_outofplace_kernelI19rocblas_complex_numIdELi32ELi2ELb0ELb1ELb1ELb0ES1_KS1_S1_Ev17rocblas_diagonal_iiT6_lPT7_lllS6_lllPT8_llli,"axG",@progbits,_ZL30rocblas_trmm_outofplace_kernelI19rocblas_complex_numIdELi32ELi2ELb0ELb1ELb1ELb0ES1_KS1_S1_Ev17rocblas_diagonal_iiT6_lPT7_lllS6_lllPT8_llli,comdat
	.globl	_ZL30rocblas_trmm_outofplace_kernelI19rocblas_complex_numIdELi32ELi2ELb0ELb1ELb1ELb0ES1_KS1_S1_Ev17rocblas_diagonal_iiT6_lPT7_lllS6_lllPT8_llli ; -- Begin function _ZL30rocblas_trmm_outofplace_kernelI19rocblas_complex_numIdELi32ELi2ELb0ELb1ELb1ELb0ES1_KS1_S1_Ev17rocblas_diagonal_iiT6_lPT7_lllS6_lllPT8_llli
	.p2align	8
	.type	_ZL30rocblas_trmm_outofplace_kernelI19rocblas_complex_numIdELi32ELi2ELb0ELb1ELb1ELb0ES1_KS1_S1_Ev17rocblas_diagonal_iiT6_lPT7_lllS6_lllPT8_llli,@function
_ZL30rocblas_trmm_outofplace_kernelI19rocblas_complex_numIdELi32ELi2ELb0ELb1ELb1ELb0ES1_KS1_S1_Ev17rocblas_diagonal_iiT6_lPT7_lllS6_lllPT8_llli: ; @_ZL30rocblas_trmm_outofplace_kernelI19rocblas_complex_numIdELi32ELi2ELb0ELb1ELb1ELb0ES1_KS1_S1_Ev17rocblas_diagonal_iiT6_lPT7_lllS6_lllPT8_llli
; %bb.0:
	s_load_dwordx4 s[44:47], s[4:5], 0x10
	s_waitcnt lgkmcnt(0)
	v_cmp_eq_f64_e64 s[0:1], s[44:45], 0
	v_cmp_eq_f64_e64 s[2:3], s[46:47], 0
	s_and_b64 s[0:1], s[0:1], s[2:3]
	s_and_b64 vcc, exec, s[0:1]
	s_cbranch_vccnz .LBB127_63
; %bb.1:
	s_load_dwordx4 s[48:51], s[4:5], 0x0
	s_waitcnt lgkmcnt(0)
	s_add_i32 s0, s50, -1
	s_ashr_i32 s1, s0, 31
	s_lshr_b32 s1, s1, 27
	s_add_i32 s0, s0, s1
	s_ashr_i32 s33, s0, 5
	s_cmp_gt_i32 s7, s33
	s_cbranch_scc1 .LBB127_63
; %bb.2:
	s_load_dwordx16 s[16:31], s[4:5], 0x28
	s_load_dwordx8 s[36:43], s[4:5], 0x68
	v_and_b32_e32 v4, 0x3ff, v0
	v_bfe_u32 v62, v0, 10, 10
	v_lshl_add_u32 v0, s6, 5, v4
	s_waitcnt lgkmcnt(0)
	s_mul_i32 s1, s8, s31
	s_mul_hi_u32 s2, s8, s30
	s_mul_i32 s0, s8, s30
	s_add_i32 s1, s2, s1
	s_lshl_b64 s[0:1], s[0:1], 4
	s_add_u32 s2, s24, s0
	s_addc_u32 s3, s25, s1
	s_lshl_b64 s[0:1], s[26:27], 4
	s_add_u32 s2, s2, s0
	s_addc_u32 s3, s3, s1
	s_mul_i32 s0, s8, s43
	s_mul_hi_u32 s1, s8, s42
	s_add_i32 s1, s1, s0
	s_mul_i32 s0, s8, s42
	s_lshl_b64 s[0:1], s[0:1], 4
	s_add_u32 s9, s36, s0
	s_addc_u32 s10, s37, s1
	s_lshl_b64 s[0:1], s[38:39], 4
	s_add_u32 s60, s9, s0
	s_addc_u32 s61, s10, s1
	s_cmpk_eq_i32 s48, 0x84
	s_cselect_b64 s[24:25], -1, 0
	s_ashr_i32 s51, s50, 31
	s_ashr_i32 s0, s49, 31
	s_lshl_b64 s[26:27], s[20:21], 9
	s_lshl_b64 s[30:31], s[28:29], 9
	s_load_dword s6, s[4:5], 0x94
	s_add_u32 s34, s50, -16
	s_addc_u32 s35, s51, -1
	s_lshl_b32 s9, s7, 5
	v_ashrrev_i32_e32 v1, 31, v0
	v_add_u32_e32 v20, s9, v4
	v_add_u32_e32 v22, s9, v62
	s_mul_i32 s9, s23, s8
	s_mul_hi_u32 s10, s22, s8
	v_lshlrev_b64 v[14:15], 4, v[0:1]
	s_add_i32 s9, s10, s9
	s_mul_i32 s8, s22, s8
	v_mov_b32_e32 v2, s3
	v_add_co_u32_e32 v16, vcc, s2, v14
	s_waitcnt lgkmcnt(0)
	s_lshl_b32 s63, s6, 5
	s_lshl_b64 s[36:37], s[28:29], 4
	s_lshl_b64 s[8:9], s[8:9], 4
	s_lshl_b64 s[10:11], s[18:19], 4
	v_addc_co_u32_e32 v17, vcc, v2, v15, vcc
	s_add_u32 s8, s8, s10
	v_mov_b32_e32 v3, s0
	v_sub_co_u32_e32 v2, vcc, s49, v0
	s_addc_u32 s9, s9, s11
	v_subb_co_u32_e32 v3, vcc, v3, v1, vcc
	v_lshlrev_b32_e32 v1, 4, v4
	s_add_u32 s22, s16, s8
	v_lshlrev_b32_e32 v63, 9, v62
	v_or_b32_e32 v68, 0x4000, v1
	s_addc_u32 s23, s17, s9
	v_add_u32_e32 v64, v63, v1
	v_add_u32_e32 v69, v68, v63
	;; [unrolled: 1-line block ×3, first 2 shown]
	s_add_u32 s38, s22, 0x100
	s_movk_i32 s62, 0x100
	v_add_u32_e32 v65, 0x100, v64
	v_add_u32_e32 v66, 0x2000, v64
	;; [unrolled: 1-line block ×3, first 2 shown]
	v_cmp_gt_i64_e32 vcc, 1, v[2:3]
	v_cmp_gt_i64_e64 s[0:1], 17, v[2:3]
	v_add_u32_e32 v70, 0x100, v69
	v_add_u32_e32 v71, 0x2000, v69
	;; [unrolled: 1-line block ×3, first 2 shown]
	v_cmp_gt_i32_e64 s[2:3], s49, v0
	v_cmp_gt_i32_e64 s[4:5], s49, v18
	v_ashrrev_i32_e32 v19, 31, v18
	v_add_u32_e32 v73, 0x4100, v1
	s_addc_u32 s39, s23, 0
	s_lshl_b64 s[42:43], s[20:21], 4
	v_mov_b32_e32 v0, 0
	v_mov_b32_e32 v1, 0x3ff00000
	s_branch .LBB127_4
.LBB127_3:                              ;   in Loop: Header=BB127_4 Depth=1
	s_or_b64 exec, exec, s[10:11]
	s_add_i32 s7, s6, s7
	v_add_u32_e32 v20, s63, v20
	s_cmp_le_i32 s7, s33
	v_add_u32_e32 v22, s63, v22
	s_cbranch_scc0 .LBB127_63
.LBB127_4:                              ; =>This Loop Header: Depth=1
                                        ;     Child Loop BB127_7 Depth 2
	s_lshl_b32 s8, s7, 5
	v_add_u32_e32 v24, s8, v62
	s_sub_i32 s64, s50, s8
	v_pk_mov_b32 v[58:59], 0, 0
	v_ashrrev_i32_e32 v21, 31, v20
	v_ashrrev_i32_e32 v23, 31, v22
	;; [unrolled: 1-line block ×3, first 2 shown]
	s_cmp_lt_i32 s64, 1
	v_pk_mov_b32 v[60:61], v[58:59], v[58:59] op_sel:[0,1]
	v_pk_mov_b32 v[52:53], v[58:59], v[58:59] op_sel:[0,1]
	;; [unrolled: 1-line block ×7, first 2 shown]
	s_cbranch_scc1 .LBB127_55
; %bb.5:                                ;   in Loop: Header=BB127_4 Depth=1
	v_mov_b32_e32 v2, 0x100
	v_sub_co_u32_e64 v26, s[8:9], v22, v20
	v_mov_b32_e32 v3, 0
	v_subb_co_u32_e64 v27, s[8:9], v23, v21, s[8:9]
	v_mad_u64_u32 v[28:29], s[8:9], s36, v22, v[2:3]
	v_mul_lo_u32 v4, s36, v23
	v_mul_lo_u32 v5, s37, v22
	v_add3_u32 v29, v5, v29, v4
	v_pk_mov_b32 v[4:5], s[38:39], s[38:39] op_sel:[0,1]
	v_mad_u64_u32 v[32:33], s[8:9], s42, v20, v[4:5]
	v_mul_lo_u32 v4, s42, v21
	v_mul_lo_u32 v5, s43, v20
	v_add3_u32 v33, v5, v33, v4
	v_lshlrev_b64 v[4:5], 4, v[20:21]
	v_add_co_u32_e64 v6, s[8:9], s62, v4
	v_addc_co_u32_e64 v4, s[8:9], 0, v5, s[8:9]
	v_mul_lo_u32 v7, s20, v4
	v_pk_mov_b32 v[4:5], s[22:23], s[22:23] op_sel:[0,1]
	v_lshlrev_b64 v[30:31], 4, v[22:23]
	v_mad_u64_u32 v[34:35], s[8:9], s20, v6, v[4:5]
	v_add_co_u32_e64 v4, s[8:9], s62, v30
	v_addc_co_u32_e64 v5, s[8:9], 0, v31, s[8:9]
	v_mad_u64_u32 v[36:37], s[8:9], s28, v4, v[2:3]
	v_add_co_u32_e64 v40, s[10:11], 16, v26
	v_add_co_u32_e64 v38, s[8:9], 16, v24
	v_addc_co_u32_e64 v41, s[10:11], 0, v27, s[10:11]
	v_mul_lo_u32 v8, s21, v6
	v_mul_lo_u32 v5, s28, v5
	;; [unrolled: 1-line block ×3, first 2 shown]
	v_addc_co_u32_e64 v39, s[8:9], 0, v25, s[8:9]
	v_add_co_u32_e64 v42, s[10:11], -16, v26
	v_pk_mov_b32 v[46:47], 0, 0
	v_add3_u32 v35, v8, v35, v7
	v_add3_u32 v37, v6, v37, v5
	v_cmp_le_i32_e64 s[16:17], s50, v24
	v_cmp_le_i64_e64 s[8:9], s[50:51], v[38:39]
	v_addc_co_u32_e64 v43, s[10:11], -1, v27, s[10:11]
	s_mov_b64 s[48:49], 0
	v_pk_mov_b32 v[44:45], v[16:17], v[16:17] op_sel:[0,1]
	v_pk_mov_b32 v[48:49], v[46:47], v[46:47] op_sel:[0,1]
	;; [unrolled: 1-line block ×8, first 2 shown]
	s_branch .LBB127_7
.LBB127_6:                              ;   in Loop: Header=BB127_7 Depth=2
	s_or_b64 exec, exec, s[10:11]
	s_waitcnt lgkmcnt(0)
	s_barrier
	ds_read_b128 v[74:77], v63
	ds_read_b128 v[10:13], v63 offset:16
	ds_read_b128 v[6:9], v63 offset:32
	;; [unrolled: 1-line block ×3, first 2 shown]
	ds_read_b128 v[78:81], v68
	v_add_co_u32_e64 v44, s[10:11], s30, v44
	s_add_u32 s48, s48, 32
	s_addc_u32 s49, s49, 0
	s_waitcnt lgkmcnt(0)
	v_mul_f64 v[82:83], v[76:77], v[80:81]
	v_mul_f64 v[84:85], v[74:75], v[80:81]
	v_fma_f64 v[82:83], v[74:75], v[78:79], -v[82:83]
	v_fmac_f64_e32 v[84:85], v[76:77], v[78:79]
	v_add_f64 v[82:83], v[58:59], v[82:83]
	v_add_f64 v[84:85], v[60:61], v[84:85]
	ds_read_b128 v[58:61], v73
	s_cmp_ge_i32 s48, s64
	s_waitcnt lgkmcnt(0)
	v_mul_f64 v[86:87], v[76:77], v[60:61]
	v_fma_f64 v[86:87], v[74:75], v[58:59], -v[86:87]
	v_mul_f64 v[74:75], v[74:75], v[60:61]
	v_fmac_f64_e32 v[74:75], v[76:77], v[58:59]
	v_add_f64 v[88:89], v[56:57], v[74:75]
	ds_read_b128 v[74:77], v63 offset:8192
	v_add_f64 v[86:87], v[52:53], v[86:87]
	s_waitcnt lgkmcnt(0)
	v_mul_f64 v[52:53], v[76:77], v[80:81]
	v_mul_f64 v[56:57], v[74:75], v[80:81]
	v_fma_f64 v[52:53], v[74:75], v[78:79], -v[52:53]
	v_fmac_f64_e32 v[56:57], v[76:77], v[78:79]
	v_add_f64 v[50:51], v[50:51], v[52:53]
	v_add_f64 v[52:53], v[54:55], v[56:57]
	v_mul_f64 v[54:55], v[76:77], v[60:61]
	v_mul_f64 v[56:57], v[74:75], v[60:61]
	v_fma_f64 v[54:55], v[74:75], v[58:59], -v[54:55]
	v_fmac_f64_e32 v[56:57], v[76:77], v[58:59]
	v_add_f64 v[48:49], v[48:49], v[54:55]
	v_add_f64 v[46:47], v[46:47], v[56:57]
	ds_read_b128 v[54:57], v68 offset:512
	s_waitcnt lgkmcnt(0)
	v_mul_f64 v[58:59], v[12:13], v[56:57]
	v_mul_f64 v[60:61], v[10:11], v[56:57]
	v_fma_f64 v[58:59], v[10:11], v[54:55], -v[58:59]
	v_fmac_f64_e32 v[60:61], v[12:13], v[54:55]
	v_add_f64 v[74:75], v[82:83], v[58:59]
	v_add_f64 v[76:77], v[84:85], v[60:61]
	ds_read_b128 v[58:61], v73 offset:512
	s_waitcnt lgkmcnt(0)
	v_mul_f64 v[78:79], v[12:13], v[60:61]
	v_fma_f64 v[78:79], v[10:11], v[58:59], -v[78:79]
	v_mul_f64 v[10:11], v[10:11], v[60:61]
	v_fmac_f64_e32 v[10:11], v[12:13], v[58:59]
	v_add_f64 v[80:81], v[88:89], v[10:11]
	ds_read_b128 v[10:13], v63 offset:8208
	v_add_f64 v[78:79], v[86:87], v[78:79]
	s_waitcnt lgkmcnt(0)
	v_mul_f64 v[82:83], v[12:13], v[56:57]
	v_mul_f64 v[56:57], v[10:11], v[56:57]
	v_fma_f64 v[82:83], v[10:11], v[54:55], -v[82:83]
	v_fmac_f64_e32 v[56:57], v[12:13], v[54:55]
	v_mul_f64 v[54:55], v[12:13], v[60:61]
	v_fma_f64 v[54:55], v[10:11], v[58:59], -v[54:55]
	v_mul_f64 v[10:11], v[10:11], v[60:61]
	v_fmac_f64_e32 v[10:11], v[12:13], v[58:59]
	v_add_f64 v[52:53], v[52:53], v[56:57]
	v_add_f64 v[56:57], v[46:47], v[10:11]
	ds_read_b128 v[10:13], v68 offset:1024
	v_add_f64 v[54:55], v[48:49], v[54:55]
	v_add_f64 v[50:51], v[50:51], v[82:83]
	s_waitcnt lgkmcnt(0)
	v_mul_f64 v[46:47], v[8:9], v[12:13]
	v_mul_f64 v[48:49], v[6:7], v[12:13]
	v_fma_f64 v[46:47], v[6:7], v[10:11], -v[46:47]
	v_fmac_f64_e32 v[48:49], v[8:9], v[10:11]
	v_add_f64 v[58:59], v[74:75], v[46:47]
	v_add_f64 v[60:61], v[76:77], v[48:49]
	ds_read_b128 v[46:49], v73 offset:1024
	s_waitcnt lgkmcnt(0)
	v_mul_f64 v[74:75], v[8:9], v[48:49]
	v_fma_f64 v[74:75], v[6:7], v[46:47], -v[74:75]
	v_mul_f64 v[6:7], v[6:7], v[48:49]
	v_fmac_f64_e32 v[6:7], v[8:9], v[46:47]
	v_add_f64 v[76:77], v[80:81], v[6:7]
	ds_read_b128 v[6:9], v63 offset:8224
	v_add_f64 v[74:75], v[78:79], v[74:75]
	s_waitcnt lgkmcnt(0)
	v_mul_f64 v[78:79], v[8:9], v[12:13]
	v_fma_f64 v[78:79], v[6:7], v[10:11], -v[78:79]
	v_mul_f64 v[12:13], v[6:7], v[12:13]
	v_fmac_f64_e32 v[12:13], v[8:9], v[10:11]
	v_add_f64 v[10:11], v[50:51], v[78:79]
	v_mul_f64 v[50:51], v[8:9], v[48:49]
	v_mul_f64 v[48:49], v[6:7], v[48:49]
	v_fmac_f64_e32 v[48:49], v[8:9], v[46:47]
	v_fma_f64 v[50:51], v[6:7], v[46:47], -v[50:51]
	v_add_f64 v[8:9], v[56:57], v[48:49]
	ds_read_b128 v[46:49], v68 offset:1536
	v_add_f64 v[12:13], v[52:53], v[12:13]
	v_add_f64 v[6:7], v[54:55], v[50:51]
	s_waitcnt lgkmcnt(0)
	v_mul_f64 v[50:51], v[4:5], v[48:49]
	v_mul_f64 v[52:53], v[2:3], v[48:49]
	v_fma_f64 v[50:51], v[2:3], v[46:47], -v[50:51]
	v_fmac_f64_e32 v[52:53], v[4:5], v[46:47]
	v_add_f64 v[54:55], v[58:59], v[50:51]
	v_add_f64 v[56:57], v[60:61], v[52:53]
	ds_read_b128 v[50:53], v73 offset:1536
	s_waitcnt lgkmcnt(0)
	v_mul_f64 v[58:59], v[4:5], v[52:53]
	v_fma_f64 v[58:59], v[2:3], v[50:51], -v[58:59]
	v_mul_f64 v[2:3], v[2:3], v[52:53]
	v_fmac_f64_e32 v[2:3], v[4:5], v[50:51]
	v_add_f64 v[60:61], v[76:77], v[2:3]
	ds_read_b128 v[2:5], v63 offset:8240
	v_add_f64 v[58:59], v[74:75], v[58:59]
	s_waitcnt lgkmcnt(0)
	v_mul_f64 v[74:75], v[4:5], v[48:49]
	v_fma_f64 v[74:75], v[2:3], v[46:47], -v[74:75]
	v_mul_f64 v[48:49], v[2:3], v[48:49]
	v_fmac_f64_e32 v[48:49], v[4:5], v[46:47]
	v_add_f64 v[46:47], v[10:11], v[74:75]
	v_mul_f64 v[10:11], v[4:5], v[52:53]
	v_fma_f64 v[10:11], v[2:3], v[50:51], -v[10:11]
	v_mul_f64 v[2:3], v[2:3], v[52:53]
	v_fmac_f64_e32 v[2:3], v[4:5], v[50:51]
	v_add_f64 v[50:51], v[6:7], v[10:11]
	v_add_f64 v[52:53], v[8:9], v[2:3]
	ds_read_b128 v[2:5], v63 offset:64
	ds_read_b128 v[6:9], v68 offset:2048
	v_add_f64 v[48:49], v[12:13], v[48:49]
	s_waitcnt lgkmcnt(0)
	v_mul_f64 v[10:11], v[4:5], v[8:9]
	v_mul_f64 v[12:13], v[2:3], v[8:9]
	v_fma_f64 v[10:11], v[2:3], v[6:7], -v[10:11]
	v_fmac_f64_e32 v[12:13], v[4:5], v[6:7]
	v_add_f64 v[54:55], v[54:55], v[10:11]
	v_add_f64 v[56:57], v[56:57], v[12:13]
	ds_read_b128 v[10:13], v73 offset:2048
	s_waitcnt lgkmcnt(0)
	v_mul_f64 v[74:75], v[4:5], v[12:13]
	v_fma_f64 v[74:75], v[2:3], v[10:11], -v[74:75]
	v_mul_f64 v[2:3], v[2:3], v[12:13]
	v_fmac_f64_e32 v[2:3], v[4:5], v[10:11]
	v_add_f64 v[60:61], v[60:61], v[2:3]
	ds_read_b128 v[2:5], v63 offset:8256
	v_add_f64 v[58:59], v[58:59], v[74:75]
	s_waitcnt lgkmcnt(0)
	v_mul_f64 v[74:75], v[4:5], v[8:9]
	v_fma_f64 v[74:75], v[2:3], v[6:7], -v[74:75]
	v_mul_f64 v[8:9], v[2:3], v[8:9]
	v_fmac_f64_e32 v[8:9], v[4:5], v[6:7]
	v_add_f64 v[6:7], v[46:47], v[74:75]
	v_mul_f64 v[46:47], v[4:5], v[12:13]
	v_mul_f64 v[12:13], v[2:3], v[12:13]
	v_fma_f64 v[46:47], v[2:3], v[10:11], -v[46:47]
	v_fmac_f64_e32 v[12:13], v[4:5], v[10:11]
	v_add_f64 v[8:9], v[48:49], v[8:9]
	v_add_f64 v[2:3], v[50:51], v[46:47]
	v_add_f64 v[4:5], v[52:53], v[12:13]
	ds_read_b128 v[10:13], v63 offset:80
	ds_read_b128 v[46:49], v68 offset:2560
	s_waitcnt lgkmcnt(0)
	v_mul_f64 v[50:51], v[12:13], v[48:49]
	v_mul_f64 v[52:53], v[10:11], v[48:49]
	v_fma_f64 v[50:51], v[10:11], v[46:47], -v[50:51]
	v_fmac_f64_e32 v[52:53], v[12:13], v[46:47]
	v_add_f64 v[54:55], v[54:55], v[50:51]
	v_add_f64 v[56:57], v[56:57], v[52:53]
	ds_read_b128 v[50:53], v73 offset:2560
	s_waitcnt lgkmcnt(0)
	v_mul_f64 v[74:75], v[12:13], v[52:53]
	v_fma_f64 v[74:75], v[10:11], v[50:51], -v[74:75]
	v_mul_f64 v[10:11], v[10:11], v[52:53]
	v_fmac_f64_e32 v[10:11], v[12:13], v[50:51]
	v_add_f64 v[60:61], v[60:61], v[10:11]
	ds_read_b128 v[10:13], v63 offset:8272
	v_add_f64 v[58:59], v[58:59], v[74:75]
	s_waitcnt lgkmcnt(0)
	v_mul_f64 v[74:75], v[12:13], v[48:49]
	v_mul_f64 v[48:49], v[10:11], v[48:49]
	v_fma_f64 v[74:75], v[10:11], v[46:47], -v[74:75]
	v_fmac_f64_e32 v[48:49], v[12:13], v[46:47]
	v_add_f64 v[46:47], v[6:7], v[74:75]
	v_add_f64 v[48:49], v[8:9], v[48:49]
	v_mul_f64 v[6:7], v[12:13], v[52:53]
	v_mul_f64 v[8:9], v[10:11], v[52:53]
	v_fma_f64 v[6:7], v[10:11], v[50:51], -v[6:7]
	v_fmac_f64_e32 v[8:9], v[12:13], v[50:51]
	v_add_f64 v[50:51], v[2:3], v[6:7]
	v_add_f64 v[52:53], v[4:5], v[8:9]
	ds_read_b128 v[2:5], v63 offset:96
	ds_read_b128 v[6:9], v68 offset:3072
	s_waitcnt lgkmcnt(0)
	v_mul_f64 v[10:11], v[4:5], v[8:9]
	v_mul_f64 v[12:13], v[2:3], v[8:9]
	v_fma_f64 v[10:11], v[2:3], v[6:7], -v[10:11]
	v_fmac_f64_e32 v[12:13], v[4:5], v[6:7]
	v_add_f64 v[54:55], v[54:55], v[10:11]
	v_add_f64 v[56:57], v[56:57], v[12:13]
	ds_read_b128 v[10:13], v73 offset:3072
	s_waitcnt lgkmcnt(0)
	v_mul_f64 v[74:75], v[4:5], v[12:13]
	v_fma_f64 v[74:75], v[2:3], v[10:11], -v[74:75]
	v_mul_f64 v[2:3], v[2:3], v[12:13]
	v_fmac_f64_e32 v[2:3], v[4:5], v[10:11]
	v_add_f64 v[60:61], v[60:61], v[2:3]
	ds_read_b128 v[2:5], v63 offset:8288
	v_add_f64 v[58:59], v[58:59], v[74:75]
	s_waitcnt lgkmcnt(0)
	v_mul_f64 v[74:75], v[4:5], v[8:9]
	v_fma_f64 v[74:75], v[2:3], v[6:7], -v[74:75]
	v_mul_f64 v[8:9], v[2:3], v[8:9]
	v_fmac_f64_e32 v[8:9], v[4:5], v[6:7]
	v_add_f64 v[6:7], v[46:47], v[74:75]
	v_mul_f64 v[46:47], v[4:5], v[12:13]
	v_mul_f64 v[12:13], v[2:3], v[12:13]
	v_fma_f64 v[46:47], v[2:3], v[10:11], -v[46:47]
	v_fmac_f64_e32 v[12:13], v[4:5], v[10:11]
	v_add_f64 v[8:9], v[48:49], v[8:9]
	v_add_f64 v[2:3], v[50:51], v[46:47]
	v_add_f64 v[4:5], v[52:53], v[12:13]
	ds_read_b128 v[10:13], v63 offset:112
	ds_read_b128 v[46:49], v68 offset:3584
	s_waitcnt lgkmcnt(0)
	v_mul_f64 v[50:51], v[12:13], v[48:49]
	v_mul_f64 v[52:53], v[10:11], v[48:49]
	v_fma_f64 v[50:51], v[10:11], v[46:47], -v[50:51]
	v_fmac_f64_e32 v[52:53], v[12:13], v[46:47]
	v_add_f64 v[54:55], v[54:55], v[50:51]
	v_add_f64 v[56:57], v[56:57], v[52:53]
	ds_read_b128 v[50:53], v73 offset:3584
	s_waitcnt lgkmcnt(0)
	v_mul_f64 v[74:75], v[12:13], v[52:53]
	v_fma_f64 v[74:75], v[10:11], v[50:51], -v[74:75]
	v_mul_f64 v[10:11], v[10:11], v[52:53]
	v_fmac_f64_e32 v[10:11], v[12:13], v[50:51]
	v_add_f64 v[60:61], v[60:61], v[10:11]
	ds_read_b128 v[10:13], v63 offset:8304
	v_add_f64 v[58:59], v[58:59], v[74:75]
	s_waitcnt lgkmcnt(0)
	v_mul_f64 v[74:75], v[12:13], v[48:49]
	v_mul_f64 v[48:49], v[10:11], v[48:49]
	v_fma_f64 v[74:75], v[10:11], v[46:47], -v[74:75]
	v_fmac_f64_e32 v[48:49], v[12:13], v[46:47]
	v_add_f64 v[46:47], v[6:7], v[74:75]
	v_add_f64 v[48:49], v[8:9], v[48:49]
	v_mul_f64 v[6:7], v[12:13], v[52:53]
	v_mul_f64 v[8:9], v[10:11], v[52:53]
	v_fma_f64 v[6:7], v[10:11], v[50:51], -v[6:7]
	v_fmac_f64_e32 v[8:9], v[12:13], v[50:51]
	v_add_f64 v[50:51], v[2:3], v[6:7]
	v_add_f64 v[52:53], v[4:5], v[8:9]
	ds_read_b128 v[2:5], v63 offset:128
	ds_read_b128 v[6:9], v68 offset:4096
	s_waitcnt lgkmcnt(0)
	v_mul_f64 v[10:11], v[4:5], v[8:9]
	v_mul_f64 v[12:13], v[2:3], v[8:9]
	v_fma_f64 v[10:11], v[2:3], v[6:7], -v[10:11]
	v_fmac_f64_e32 v[12:13], v[4:5], v[6:7]
	v_add_f64 v[54:55], v[54:55], v[10:11]
	v_add_f64 v[56:57], v[56:57], v[12:13]
	ds_read_b128 v[10:13], v73 offset:4096
	s_waitcnt lgkmcnt(0)
	v_mul_f64 v[74:75], v[4:5], v[12:13]
	v_fma_f64 v[74:75], v[2:3], v[10:11], -v[74:75]
	v_mul_f64 v[2:3], v[2:3], v[12:13]
	v_fmac_f64_e32 v[2:3], v[4:5], v[10:11]
	v_add_f64 v[60:61], v[60:61], v[2:3]
	ds_read_b128 v[2:5], v63 offset:8320
	v_add_f64 v[58:59], v[58:59], v[74:75]
	s_waitcnt lgkmcnt(0)
	v_mul_f64 v[74:75], v[4:5], v[8:9]
	v_fma_f64 v[74:75], v[2:3], v[6:7], -v[74:75]
	v_mul_f64 v[8:9], v[2:3], v[8:9]
	v_fmac_f64_e32 v[8:9], v[4:5], v[6:7]
	v_add_f64 v[6:7], v[46:47], v[74:75]
	v_mul_f64 v[46:47], v[4:5], v[12:13]
	v_mul_f64 v[12:13], v[2:3], v[12:13]
	v_fma_f64 v[46:47], v[2:3], v[10:11], -v[46:47]
	v_fmac_f64_e32 v[12:13], v[4:5], v[10:11]
	v_add_f64 v[8:9], v[48:49], v[8:9]
	v_add_f64 v[2:3], v[50:51], v[46:47]
	v_add_f64 v[4:5], v[52:53], v[12:13]
	ds_read_b128 v[10:13], v63 offset:144
	ds_read_b128 v[46:49], v68 offset:4608
	s_waitcnt lgkmcnt(0)
	v_mul_f64 v[50:51], v[12:13], v[48:49]
	v_mul_f64 v[52:53], v[10:11], v[48:49]
	v_fma_f64 v[50:51], v[10:11], v[46:47], -v[50:51]
	v_fmac_f64_e32 v[52:53], v[12:13], v[46:47]
	v_add_f64 v[54:55], v[54:55], v[50:51]
	v_add_f64 v[56:57], v[56:57], v[52:53]
	ds_read_b128 v[50:53], v73 offset:4608
	s_waitcnt lgkmcnt(0)
	v_mul_f64 v[74:75], v[12:13], v[52:53]
	v_fma_f64 v[74:75], v[10:11], v[50:51], -v[74:75]
	v_mul_f64 v[10:11], v[10:11], v[52:53]
	v_fmac_f64_e32 v[10:11], v[12:13], v[50:51]
	v_add_f64 v[60:61], v[60:61], v[10:11]
	ds_read_b128 v[10:13], v63 offset:8336
	v_add_f64 v[58:59], v[58:59], v[74:75]
	s_waitcnt lgkmcnt(0)
	v_mul_f64 v[74:75], v[12:13], v[48:49]
	v_mul_f64 v[48:49], v[10:11], v[48:49]
	v_fma_f64 v[74:75], v[10:11], v[46:47], -v[74:75]
	v_fmac_f64_e32 v[48:49], v[12:13], v[46:47]
	v_add_f64 v[46:47], v[6:7], v[74:75]
	v_add_f64 v[48:49], v[8:9], v[48:49]
	v_mul_f64 v[6:7], v[12:13], v[52:53]
	v_mul_f64 v[8:9], v[10:11], v[52:53]
	v_fma_f64 v[6:7], v[10:11], v[50:51], -v[6:7]
	v_fmac_f64_e32 v[8:9], v[12:13], v[50:51]
	v_add_f64 v[50:51], v[2:3], v[6:7]
	v_add_f64 v[52:53], v[4:5], v[8:9]
	ds_read_b128 v[2:5], v63 offset:160
	ds_read_b128 v[6:9], v68 offset:5120
	s_waitcnt lgkmcnt(0)
	v_mul_f64 v[10:11], v[4:5], v[8:9]
	v_mul_f64 v[12:13], v[2:3], v[8:9]
	v_fma_f64 v[10:11], v[2:3], v[6:7], -v[10:11]
	v_fmac_f64_e32 v[12:13], v[4:5], v[6:7]
	v_add_f64 v[54:55], v[54:55], v[10:11]
	v_add_f64 v[56:57], v[56:57], v[12:13]
	ds_read_b128 v[10:13], v73 offset:5120
	s_waitcnt lgkmcnt(0)
	v_mul_f64 v[74:75], v[4:5], v[12:13]
	v_fma_f64 v[74:75], v[2:3], v[10:11], -v[74:75]
	v_mul_f64 v[2:3], v[2:3], v[12:13]
	v_fmac_f64_e32 v[2:3], v[4:5], v[10:11]
	v_add_f64 v[60:61], v[60:61], v[2:3]
	ds_read_b128 v[2:5], v63 offset:8352
	v_add_f64 v[58:59], v[58:59], v[74:75]
	s_waitcnt lgkmcnt(0)
	v_mul_f64 v[74:75], v[4:5], v[8:9]
	v_fma_f64 v[74:75], v[2:3], v[6:7], -v[74:75]
	v_mul_f64 v[8:9], v[2:3], v[8:9]
	v_fmac_f64_e32 v[8:9], v[4:5], v[6:7]
	v_add_f64 v[6:7], v[46:47], v[74:75]
	v_mul_f64 v[46:47], v[4:5], v[12:13]
	v_mul_f64 v[12:13], v[2:3], v[12:13]
	v_fma_f64 v[46:47], v[2:3], v[10:11], -v[46:47]
	v_fmac_f64_e32 v[12:13], v[4:5], v[10:11]
	v_add_f64 v[8:9], v[48:49], v[8:9]
	v_add_f64 v[2:3], v[50:51], v[46:47]
	v_add_f64 v[4:5], v[52:53], v[12:13]
	ds_read_b128 v[10:13], v63 offset:176
	ds_read_b128 v[46:49], v68 offset:5632
	s_waitcnt lgkmcnt(0)
	v_mul_f64 v[50:51], v[12:13], v[48:49]
	v_mul_f64 v[52:53], v[10:11], v[48:49]
	v_fma_f64 v[50:51], v[10:11], v[46:47], -v[50:51]
	v_fmac_f64_e32 v[52:53], v[12:13], v[46:47]
	v_add_f64 v[54:55], v[54:55], v[50:51]
	v_add_f64 v[56:57], v[56:57], v[52:53]
	ds_read_b128 v[50:53], v73 offset:5632
	s_waitcnt lgkmcnt(0)
	v_mul_f64 v[74:75], v[12:13], v[52:53]
	v_fma_f64 v[74:75], v[10:11], v[50:51], -v[74:75]
	v_mul_f64 v[10:11], v[10:11], v[52:53]
	v_fmac_f64_e32 v[10:11], v[12:13], v[50:51]
	v_add_f64 v[60:61], v[60:61], v[10:11]
	ds_read_b128 v[10:13], v63 offset:8368
	v_add_f64 v[58:59], v[58:59], v[74:75]
	s_waitcnt lgkmcnt(0)
	v_mul_f64 v[74:75], v[12:13], v[48:49]
	v_mul_f64 v[48:49], v[10:11], v[48:49]
	v_fma_f64 v[74:75], v[10:11], v[46:47], -v[74:75]
	v_fmac_f64_e32 v[48:49], v[12:13], v[46:47]
	v_add_f64 v[46:47], v[6:7], v[74:75]
	v_add_f64 v[48:49], v[8:9], v[48:49]
	v_mul_f64 v[6:7], v[12:13], v[52:53]
	v_mul_f64 v[8:9], v[10:11], v[52:53]
	v_fma_f64 v[6:7], v[10:11], v[50:51], -v[6:7]
	v_fmac_f64_e32 v[8:9], v[12:13], v[50:51]
	v_add_f64 v[50:51], v[2:3], v[6:7]
	v_add_f64 v[52:53], v[4:5], v[8:9]
	ds_read_b128 v[2:5], v63 offset:192
	ds_read_b128 v[6:9], v68 offset:6144
	s_waitcnt lgkmcnt(0)
	v_mul_f64 v[10:11], v[4:5], v[8:9]
	v_mul_f64 v[12:13], v[2:3], v[8:9]
	v_fma_f64 v[10:11], v[2:3], v[6:7], -v[10:11]
	v_fmac_f64_e32 v[12:13], v[4:5], v[6:7]
	v_add_f64 v[54:55], v[54:55], v[10:11]
	v_add_f64 v[56:57], v[56:57], v[12:13]
	ds_read_b128 v[10:13], v73 offset:6144
	s_waitcnt lgkmcnt(0)
	v_mul_f64 v[74:75], v[4:5], v[12:13]
	v_fma_f64 v[74:75], v[2:3], v[10:11], -v[74:75]
	v_mul_f64 v[2:3], v[2:3], v[12:13]
	v_fmac_f64_e32 v[2:3], v[4:5], v[10:11]
	v_add_f64 v[60:61], v[60:61], v[2:3]
	ds_read_b128 v[2:5], v63 offset:8384
	v_add_f64 v[58:59], v[58:59], v[74:75]
	s_waitcnt lgkmcnt(0)
	v_mul_f64 v[74:75], v[4:5], v[8:9]
	v_fma_f64 v[74:75], v[2:3], v[6:7], -v[74:75]
	v_mul_f64 v[8:9], v[2:3], v[8:9]
	v_fmac_f64_e32 v[8:9], v[4:5], v[6:7]
	v_add_f64 v[6:7], v[46:47], v[74:75]
	v_mul_f64 v[46:47], v[4:5], v[12:13]
	v_mul_f64 v[12:13], v[2:3], v[12:13]
	v_fma_f64 v[46:47], v[2:3], v[10:11], -v[46:47]
	v_fmac_f64_e32 v[12:13], v[4:5], v[10:11]
	v_add_f64 v[8:9], v[48:49], v[8:9]
	v_add_f64 v[2:3], v[50:51], v[46:47]
	v_add_f64 v[4:5], v[52:53], v[12:13]
	ds_read_b128 v[10:13], v63 offset:208
	ds_read_b128 v[46:49], v68 offset:6656
	s_waitcnt lgkmcnt(0)
	v_mul_f64 v[50:51], v[12:13], v[48:49]
	v_mul_f64 v[52:53], v[10:11], v[48:49]
	v_fma_f64 v[50:51], v[10:11], v[46:47], -v[50:51]
	v_fmac_f64_e32 v[52:53], v[12:13], v[46:47]
	v_add_f64 v[54:55], v[54:55], v[50:51]
	v_add_f64 v[56:57], v[56:57], v[52:53]
	ds_read_b128 v[50:53], v73 offset:6656
	s_waitcnt lgkmcnt(0)
	v_mul_f64 v[74:75], v[12:13], v[52:53]
	v_fma_f64 v[74:75], v[10:11], v[50:51], -v[74:75]
	v_mul_f64 v[10:11], v[10:11], v[52:53]
	v_fmac_f64_e32 v[10:11], v[12:13], v[50:51]
	v_add_f64 v[60:61], v[60:61], v[10:11]
	ds_read_b128 v[10:13], v63 offset:8400
	v_add_f64 v[58:59], v[58:59], v[74:75]
	s_waitcnt lgkmcnt(0)
	v_mul_f64 v[74:75], v[12:13], v[48:49]
	v_mul_f64 v[48:49], v[10:11], v[48:49]
	v_fma_f64 v[74:75], v[10:11], v[46:47], -v[74:75]
	v_fmac_f64_e32 v[48:49], v[12:13], v[46:47]
	v_add_f64 v[46:47], v[6:7], v[74:75]
	v_add_f64 v[48:49], v[8:9], v[48:49]
	v_mul_f64 v[6:7], v[12:13], v[52:53]
	v_mul_f64 v[8:9], v[10:11], v[52:53]
	v_fma_f64 v[6:7], v[10:11], v[50:51], -v[6:7]
	v_fmac_f64_e32 v[8:9], v[12:13], v[50:51]
	v_add_f64 v[50:51], v[2:3], v[6:7]
	v_add_f64 v[52:53], v[4:5], v[8:9]
	ds_read_b128 v[2:5], v63 offset:224
	ds_read_b128 v[6:9], v68 offset:7168
	s_waitcnt lgkmcnt(0)
	v_mul_f64 v[10:11], v[4:5], v[8:9]
	v_mul_f64 v[12:13], v[2:3], v[8:9]
	v_fma_f64 v[10:11], v[2:3], v[6:7], -v[10:11]
	v_fmac_f64_e32 v[12:13], v[4:5], v[6:7]
	v_add_f64 v[54:55], v[54:55], v[10:11]
	v_add_f64 v[56:57], v[56:57], v[12:13]
	ds_read_b128 v[10:13], v73 offset:7168
	s_waitcnt lgkmcnt(0)
	v_mul_f64 v[74:75], v[4:5], v[12:13]
	v_fma_f64 v[74:75], v[2:3], v[10:11], -v[74:75]
	v_mul_f64 v[2:3], v[2:3], v[12:13]
	v_fmac_f64_e32 v[2:3], v[4:5], v[10:11]
	v_add_f64 v[60:61], v[60:61], v[2:3]
	ds_read_b128 v[2:5], v63 offset:8416
	v_add_f64 v[58:59], v[58:59], v[74:75]
	s_waitcnt lgkmcnt(0)
	v_mul_f64 v[74:75], v[4:5], v[8:9]
	v_fma_f64 v[74:75], v[2:3], v[6:7], -v[74:75]
	v_mul_f64 v[8:9], v[2:3], v[8:9]
	v_fmac_f64_e32 v[8:9], v[4:5], v[6:7]
	v_add_f64 v[6:7], v[46:47], v[74:75]
	v_mul_f64 v[46:47], v[4:5], v[12:13]
	v_mul_f64 v[12:13], v[2:3], v[12:13]
	v_fma_f64 v[46:47], v[2:3], v[10:11], -v[46:47]
	v_fmac_f64_e32 v[12:13], v[4:5], v[10:11]
	v_add_f64 v[8:9], v[48:49], v[8:9]
	v_add_f64 v[2:3], v[50:51], v[46:47]
	v_add_f64 v[4:5], v[52:53], v[12:13]
	ds_read_b128 v[10:13], v63 offset:240
	ds_read_b128 v[46:49], v68 offset:7680
	s_waitcnt lgkmcnt(0)
	v_mul_f64 v[50:51], v[12:13], v[48:49]
	v_mul_f64 v[52:53], v[10:11], v[48:49]
	v_fma_f64 v[50:51], v[10:11], v[46:47], -v[50:51]
	v_fmac_f64_e32 v[52:53], v[12:13], v[46:47]
	v_add_f64 v[54:55], v[54:55], v[50:51]
	v_add_f64 v[56:57], v[56:57], v[52:53]
	ds_read_b128 v[50:53], v73 offset:7680
	s_waitcnt lgkmcnt(0)
	v_mul_f64 v[74:75], v[12:13], v[52:53]
	v_fma_f64 v[74:75], v[10:11], v[50:51], -v[74:75]
	v_mul_f64 v[10:11], v[10:11], v[52:53]
	v_fmac_f64_e32 v[10:11], v[12:13], v[50:51]
	v_add_f64 v[60:61], v[60:61], v[10:11]
	ds_read_b128 v[10:13], v63 offset:8432
	v_add_f64 v[58:59], v[58:59], v[74:75]
	s_waitcnt lgkmcnt(0)
	v_mul_f64 v[74:75], v[12:13], v[48:49]
	v_mul_f64 v[48:49], v[10:11], v[48:49]
	v_fma_f64 v[74:75], v[10:11], v[46:47], -v[74:75]
	v_fmac_f64_e32 v[48:49], v[12:13], v[46:47]
	v_add_f64 v[46:47], v[6:7], v[74:75]
	v_add_f64 v[48:49], v[8:9], v[48:49]
	v_mul_f64 v[6:7], v[12:13], v[52:53]
	v_mul_f64 v[8:9], v[10:11], v[52:53]
	v_fma_f64 v[6:7], v[10:11], v[50:51], -v[6:7]
	v_fmac_f64_e32 v[8:9], v[12:13], v[50:51]
	v_add_f64 v[50:51], v[2:3], v[6:7]
	v_add_f64 v[52:53], v[4:5], v[8:9]
	ds_read_b128 v[2:5], v63 offset:256
	ds_read_b128 v[6:9], v68 offset:8192
	s_waitcnt lgkmcnt(0)
	v_mul_f64 v[10:11], v[4:5], v[8:9]
	v_mul_f64 v[12:13], v[2:3], v[8:9]
	v_fma_f64 v[10:11], v[2:3], v[6:7], -v[10:11]
	v_fmac_f64_e32 v[12:13], v[4:5], v[6:7]
	v_add_f64 v[54:55], v[54:55], v[10:11]
	v_add_f64 v[56:57], v[56:57], v[12:13]
	ds_read_b128 v[10:13], v73 offset:8192
	s_waitcnt lgkmcnt(0)
	v_mul_f64 v[74:75], v[4:5], v[12:13]
	v_fma_f64 v[74:75], v[2:3], v[10:11], -v[74:75]
	v_mul_f64 v[2:3], v[2:3], v[12:13]
	v_fmac_f64_e32 v[2:3], v[4:5], v[10:11]
	v_add_f64 v[60:61], v[60:61], v[2:3]
	ds_read_b128 v[2:5], v63 offset:8448
	v_add_f64 v[58:59], v[58:59], v[74:75]
	s_waitcnt lgkmcnt(0)
	v_mul_f64 v[74:75], v[4:5], v[8:9]
	v_fma_f64 v[74:75], v[2:3], v[6:7], -v[74:75]
	v_mul_f64 v[8:9], v[2:3], v[8:9]
	v_fmac_f64_e32 v[8:9], v[4:5], v[6:7]
	v_add_f64 v[6:7], v[46:47], v[74:75]
	v_mul_f64 v[46:47], v[4:5], v[12:13]
	v_mul_f64 v[12:13], v[2:3], v[12:13]
	v_fma_f64 v[46:47], v[2:3], v[10:11], -v[46:47]
	v_fmac_f64_e32 v[12:13], v[4:5], v[10:11]
	v_add_f64 v[8:9], v[48:49], v[8:9]
	v_add_f64 v[2:3], v[50:51], v[46:47]
	v_add_f64 v[4:5], v[52:53], v[12:13]
	ds_read_b128 v[10:13], v63 offset:272
	ds_read_b128 v[46:49], v68 offset:8704
	s_waitcnt lgkmcnt(0)
	v_mul_f64 v[50:51], v[12:13], v[48:49]
	v_mul_f64 v[52:53], v[10:11], v[48:49]
	v_fma_f64 v[50:51], v[10:11], v[46:47], -v[50:51]
	v_fmac_f64_e32 v[52:53], v[12:13], v[46:47]
	v_add_f64 v[54:55], v[54:55], v[50:51]
	v_add_f64 v[56:57], v[56:57], v[52:53]
	ds_read_b128 v[50:53], v73 offset:8704
	s_waitcnt lgkmcnt(0)
	v_mul_f64 v[74:75], v[12:13], v[52:53]
	v_fma_f64 v[74:75], v[10:11], v[50:51], -v[74:75]
	v_mul_f64 v[10:11], v[10:11], v[52:53]
	v_fmac_f64_e32 v[10:11], v[12:13], v[50:51]
	v_add_f64 v[60:61], v[60:61], v[10:11]
	ds_read_b128 v[10:13], v63 offset:8464
	v_add_f64 v[58:59], v[58:59], v[74:75]
	s_waitcnt lgkmcnt(0)
	v_mul_f64 v[74:75], v[12:13], v[48:49]
	v_mul_f64 v[48:49], v[10:11], v[48:49]
	v_fma_f64 v[74:75], v[10:11], v[46:47], -v[74:75]
	v_fmac_f64_e32 v[48:49], v[12:13], v[46:47]
	v_add_f64 v[46:47], v[6:7], v[74:75]
	v_add_f64 v[48:49], v[8:9], v[48:49]
	v_mul_f64 v[6:7], v[12:13], v[52:53]
	v_mul_f64 v[8:9], v[10:11], v[52:53]
	v_fma_f64 v[6:7], v[10:11], v[50:51], -v[6:7]
	v_fmac_f64_e32 v[8:9], v[12:13], v[50:51]
	v_add_f64 v[50:51], v[2:3], v[6:7]
	v_add_f64 v[52:53], v[4:5], v[8:9]
	ds_read_b128 v[2:5], v63 offset:288
	ds_read_b128 v[6:9], v68 offset:9216
	s_waitcnt lgkmcnt(0)
	v_mul_f64 v[10:11], v[4:5], v[8:9]
	v_mul_f64 v[12:13], v[2:3], v[8:9]
	v_fma_f64 v[10:11], v[2:3], v[6:7], -v[10:11]
	v_fmac_f64_e32 v[12:13], v[4:5], v[6:7]
	v_add_f64 v[54:55], v[54:55], v[10:11]
	v_add_f64 v[56:57], v[56:57], v[12:13]
	ds_read_b128 v[10:13], v73 offset:9216
	s_waitcnt lgkmcnt(0)
	v_mul_f64 v[74:75], v[4:5], v[12:13]
	v_fma_f64 v[74:75], v[2:3], v[10:11], -v[74:75]
	v_mul_f64 v[2:3], v[2:3], v[12:13]
	v_fmac_f64_e32 v[2:3], v[4:5], v[10:11]
	v_add_f64 v[60:61], v[60:61], v[2:3]
	ds_read_b128 v[2:5], v63 offset:8480
	v_add_f64 v[58:59], v[58:59], v[74:75]
	s_waitcnt lgkmcnt(0)
	v_mul_f64 v[74:75], v[4:5], v[8:9]
	v_fma_f64 v[74:75], v[2:3], v[6:7], -v[74:75]
	v_mul_f64 v[8:9], v[2:3], v[8:9]
	v_fmac_f64_e32 v[8:9], v[4:5], v[6:7]
	v_add_f64 v[6:7], v[46:47], v[74:75]
	v_mul_f64 v[46:47], v[4:5], v[12:13]
	v_mul_f64 v[12:13], v[2:3], v[12:13]
	v_fma_f64 v[46:47], v[2:3], v[10:11], -v[46:47]
	v_fmac_f64_e32 v[12:13], v[4:5], v[10:11]
	v_add_f64 v[8:9], v[48:49], v[8:9]
	v_add_f64 v[2:3], v[50:51], v[46:47]
	v_add_f64 v[4:5], v[52:53], v[12:13]
	ds_read_b128 v[10:13], v63 offset:304
	ds_read_b128 v[46:49], v68 offset:9728
	s_waitcnt lgkmcnt(0)
	v_mul_f64 v[50:51], v[12:13], v[48:49]
	v_mul_f64 v[52:53], v[10:11], v[48:49]
	v_fma_f64 v[50:51], v[10:11], v[46:47], -v[50:51]
	v_fmac_f64_e32 v[52:53], v[12:13], v[46:47]
	v_add_f64 v[54:55], v[54:55], v[50:51]
	v_add_f64 v[56:57], v[56:57], v[52:53]
	ds_read_b128 v[50:53], v73 offset:9728
	s_waitcnt lgkmcnt(0)
	v_mul_f64 v[74:75], v[12:13], v[52:53]
	v_fma_f64 v[74:75], v[10:11], v[50:51], -v[74:75]
	v_mul_f64 v[10:11], v[10:11], v[52:53]
	v_fmac_f64_e32 v[10:11], v[12:13], v[50:51]
	v_add_f64 v[60:61], v[60:61], v[10:11]
	ds_read_b128 v[10:13], v63 offset:8496
	v_add_f64 v[58:59], v[58:59], v[74:75]
	s_waitcnt lgkmcnt(0)
	v_mul_f64 v[74:75], v[12:13], v[48:49]
	v_mul_f64 v[48:49], v[10:11], v[48:49]
	v_fma_f64 v[74:75], v[10:11], v[46:47], -v[74:75]
	v_fmac_f64_e32 v[48:49], v[12:13], v[46:47]
	v_add_f64 v[46:47], v[6:7], v[74:75]
	v_add_f64 v[48:49], v[8:9], v[48:49]
	v_mul_f64 v[6:7], v[12:13], v[52:53]
	v_mul_f64 v[8:9], v[10:11], v[52:53]
	v_fma_f64 v[6:7], v[10:11], v[50:51], -v[6:7]
	v_fmac_f64_e32 v[8:9], v[12:13], v[50:51]
	v_add_f64 v[50:51], v[2:3], v[6:7]
	v_add_f64 v[52:53], v[4:5], v[8:9]
	ds_read_b128 v[2:5], v63 offset:320
	ds_read_b128 v[6:9], v68 offset:10240
	s_waitcnt lgkmcnt(0)
	v_mul_f64 v[10:11], v[4:5], v[8:9]
	v_mul_f64 v[12:13], v[2:3], v[8:9]
	v_fma_f64 v[10:11], v[2:3], v[6:7], -v[10:11]
	v_fmac_f64_e32 v[12:13], v[4:5], v[6:7]
	v_add_f64 v[54:55], v[54:55], v[10:11]
	v_add_f64 v[56:57], v[56:57], v[12:13]
	ds_read_b128 v[10:13], v73 offset:10240
	s_waitcnt lgkmcnt(0)
	v_mul_f64 v[74:75], v[4:5], v[12:13]
	v_fma_f64 v[74:75], v[2:3], v[10:11], -v[74:75]
	v_mul_f64 v[2:3], v[2:3], v[12:13]
	v_fmac_f64_e32 v[2:3], v[4:5], v[10:11]
	v_add_f64 v[60:61], v[60:61], v[2:3]
	ds_read_b128 v[2:5], v63 offset:8512
	v_add_f64 v[58:59], v[58:59], v[74:75]
	s_waitcnt lgkmcnt(0)
	v_mul_f64 v[74:75], v[4:5], v[8:9]
	v_fma_f64 v[74:75], v[2:3], v[6:7], -v[74:75]
	v_mul_f64 v[8:9], v[2:3], v[8:9]
	v_fmac_f64_e32 v[8:9], v[4:5], v[6:7]
	v_add_f64 v[6:7], v[46:47], v[74:75]
	v_mul_f64 v[46:47], v[4:5], v[12:13]
	v_mul_f64 v[12:13], v[2:3], v[12:13]
	v_fma_f64 v[46:47], v[2:3], v[10:11], -v[46:47]
	v_fmac_f64_e32 v[12:13], v[4:5], v[10:11]
	v_add_f64 v[8:9], v[48:49], v[8:9]
	v_add_f64 v[2:3], v[50:51], v[46:47]
	v_add_f64 v[4:5], v[52:53], v[12:13]
	ds_read_b128 v[10:13], v63 offset:336
	ds_read_b128 v[46:49], v68 offset:10752
	s_waitcnt lgkmcnt(0)
	v_mul_f64 v[50:51], v[12:13], v[48:49]
	v_mul_f64 v[52:53], v[10:11], v[48:49]
	v_fma_f64 v[50:51], v[10:11], v[46:47], -v[50:51]
	v_fmac_f64_e32 v[52:53], v[12:13], v[46:47]
	v_add_f64 v[54:55], v[54:55], v[50:51]
	v_add_f64 v[56:57], v[56:57], v[52:53]
	ds_read_b128 v[50:53], v73 offset:10752
	s_waitcnt lgkmcnt(0)
	v_mul_f64 v[74:75], v[12:13], v[52:53]
	v_fma_f64 v[74:75], v[10:11], v[50:51], -v[74:75]
	v_mul_f64 v[10:11], v[10:11], v[52:53]
	v_fmac_f64_e32 v[10:11], v[12:13], v[50:51]
	v_add_f64 v[60:61], v[60:61], v[10:11]
	ds_read_b128 v[10:13], v63 offset:8528
	v_add_f64 v[58:59], v[58:59], v[74:75]
	s_waitcnt lgkmcnt(0)
	v_mul_f64 v[74:75], v[12:13], v[48:49]
	v_mul_f64 v[48:49], v[10:11], v[48:49]
	v_fma_f64 v[74:75], v[10:11], v[46:47], -v[74:75]
	v_fmac_f64_e32 v[48:49], v[12:13], v[46:47]
	v_add_f64 v[46:47], v[6:7], v[74:75]
	v_add_f64 v[48:49], v[8:9], v[48:49]
	v_mul_f64 v[6:7], v[12:13], v[52:53]
	v_mul_f64 v[8:9], v[10:11], v[52:53]
	v_fma_f64 v[6:7], v[10:11], v[50:51], -v[6:7]
	v_fmac_f64_e32 v[8:9], v[12:13], v[50:51]
	v_add_f64 v[50:51], v[2:3], v[6:7]
	v_add_f64 v[52:53], v[4:5], v[8:9]
	ds_read_b128 v[2:5], v63 offset:352
	ds_read_b128 v[6:9], v68 offset:11264
	s_waitcnt lgkmcnt(0)
	v_mul_f64 v[10:11], v[4:5], v[8:9]
	v_mul_f64 v[12:13], v[2:3], v[8:9]
	v_fma_f64 v[10:11], v[2:3], v[6:7], -v[10:11]
	v_fmac_f64_e32 v[12:13], v[4:5], v[6:7]
	v_add_f64 v[54:55], v[54:55], v[10:11]
	v_add_f64 v[56:57], v[56:57], v[12:13]
	ds_read_b128 v[10:13], v73 offset:11264
	s_waitcnt lgkmcnt(0)
	v_mul_f64 v[74:75], v[4:5], v[12:13]
	v_fma_f64 v[74:75], v[2:3], v[10:11], -v[74:75]
	v_mul_f64 v[2:3], v[2:3], v[12:13]
	v_fmac_f64_e32 v[2:3], v[4:5], v[10:11]
	v_add_f64 v[60:61], v[60:61], v[2:3]
	ds_read_b128 v[2:5], v63 offset:8544
	v_add_f64 v[58:59], v[58:59], v[74:75]
	s_waitcnt lgkmcnt(0)
	v_mul_f64 v[74:75], v[4:5], v[8:9]
	v_fma_f64 v[74:75], v[2:3], v[6:7], -v[74:75]
	v_mul_f64 v[8:9], v[2:3], v[8:9]
	v_fmac_f64_e32 v[8:9], v[4:5], v[6:7]
	v_add_f64 v[6:7], v[46:47], v[74:75]
	v_mul_f64 v[46:47], v[4:5], v[12:13]
	v_mul_f64 v[12:13], v[2:3], v[12:13]
	v_fma_f64 v[46:47], v[2:3], v[10:11], -v[46:47]
	v_fmac_f64_e32 v[12:13], v[4:5], v[10:11]
	v_add_f64 v[8:9], v[48:49], v[8:9]
	v_add_f64 v[2:3], v[50:51], v[46:47]
	v_add_f64 v[4:5], v[52:53], v[12:13]
	ds_read_b128 v[10:13], v63 offset:368
	ds_read_b128 v[46:49], v68 offset:11776
	s_waitcnt lgkmcnt(0)
	v_mul_f64 v[50:51], v[12:13], v[48:49]
	v_mul_f64 v[52:53], v[10:11], v[48:49]
	v_fma_f64 v[50:51], v[10:11], v[46:47], -v[50:51]
	v_fmac_f64_e32 v[52:53], v[12:13], v[46:47]
	v_add_f64 v[54:55], v[54:55], v[50:51]
	v_add_f64 v[56:57], v[56:57], v[52:53]
	ds_read_b128 v[50:53], v73 offset:11776
	s_waitcnt lgkmcnt(0)
	v_mul_f64 v[74:75], v[12:13], v[52:53]
	v_fma_f64 v[74:75], v[10:11], v[50:51], -v[74:75]
	v_mul_f64 v[10:11], v[10:11], v[52:53]
	v_fmac_f64_e32 v[10:11], v[12:13], v[50:51]
	v_add_f64 v[60:61], v[60:61], v[10:11]
	ds_read_b128 v[10:13], v63 offset:8560
	v_add_f64 v[58:59], v[58:59], v[74:75]
	s_waitcnt lgkmcnt(0)
	v_mul_f64 v[74:75], v[12:13], v[48:49]
	v_mul_f64 v[48:49], v[10:11], v[48:49]
	v_fma_f64 v[74:75], v[10:11], v[46:47], -v[74:75]
	v_fmac_f64_e32 v[48:49], v[12:13], v[46:47]
	v_add_f64 v[46:47], v[6:7], v[74:75]
	v_add_f64 v[48:49], v[8:9], v[48:49]
	v_mul_f64 v[6:7], v[12:13], v[52:53]
	v_mul_f64 v[8:9], v[10:11], v[52:53]
	v_fma_f64 v[6:7], v[10:11], v[50:51], -v[6:7]
	v_fmac_f64_e32 v[8:9], v[12:13], v[50:51]
	v_add_f64 v[50:51], v[2:3], v[6:7]
	v_add_f64 v[52:53], v[4:5], v[8:9]
	ds_read_b128 v[2:5], v63 offset:384
	ds_read_b128 v[6:9], v68 offset:12288
	s_waitcnt lgkmcnt(0)
	v_mul_f64 v[10:11], v[4:5], v[8:9]
	v_mul_f64 v[12:13], v[2:3], v[8:9]
	v_fma_f64 v[10:11], v[2:3], v[6:7], -v[10:11]
	v_fmac_f64_e32 v[12:13], v[4:5], v[6:7]
	v_add_f64 v[54:55], v[54:55], v[10:11]
	v_add_f64 v[56:57], v[56:57], v[12:13]
	ds_read_b128 v[10:13], v73 offset:12288
	s_waitcnt lgkmcnt(0)
	v_mul_f64 v[74:75], v[4:5], v[12:13]
	v_fma_f64 v[74:75], v[2:3], v[10:11], -v[74:75]
	v_mul_f64 v[2:3], v[2:3], v[12:13]
	v_fmac_f64_e32 v[2:3], v[4:5], v[10:11]
	v_add_f64 v[60:61], v[60:61], v[2:3]
	ds_read_b128 v[2:5], v63 offset:8576
	v_add_f64 v[58:59], v[58:59], v[74:75]
	s_waitcnt lgkmcnt(0)
	v_mul_f64 v[74:75], v[4:5], v[8:9]
	v_fma_f64 v[74:75], v[2:3], v[6:7], -v[74:75]
	v_mul_f64 v[8:9], v[2:3], v[8:9]
	v_fmac_f64_e32 v[8:9], v[4:5], v[6:7]
	v_add_f64 v[6:7], v[46:47], v[74:75]
	v_mul_f64 v[46:47], v[4:5], v[12:13]
	v_mul_f64 v[12:13], v[2:3], v[12:13]
	v_fma_f64 v[46:47], v[2:3], v[10:11], -v[46:47]
	v_fmac_f64_e32 v[12:13], v[4:5], v[10:11]
	v_add_f64 v[8:9], v[48:49], v[8:9]
	v_add_f64 v[2:3], v[50:51], v[46:47]
	v_add_f64 v[4:5], v[52:53], v[12:13]
	ds_read_b128 v[10:13], v63 offset:400
	ds_read_b128 v[46:49], v68 offset:12800
	s_waitcnt lgkmcnt(0)
	v_mul_f64 v[50:51], v[12:13], v[48:49]
	v_mul_f64 v[52:53], v[10:11], v[48:49]
	v_fma_f64 v[50:51], v[10:11], v[46:47], -v[50:51]
	v_fmac_f64_e32 v[52:53], v[12:13], v[46:47]
	v_add_f64 v[54:55], v[54:55], v[50:51]
	v_add_f64 v[56:57], v[56:57], v[52:53]
	ds_read_b128 v[50:53], v73 offset:12800
	s_waitcnt lgkmcnt(0)
	v_mul_f64 v[74:75], v[12:13], v[52:53]
	v_fma_f64 v[74:75], v[10:11], v[50:51], -v[74:75]
	v_mul_f64 v[10:11], v[10:11], v[52:53]
	v_fmac_f64_e32 v[10:11], v[12:13], v[50:51]
	v_add_f64 v[60:61], v[60:61], v[10:11]
	ds_read_b128 v[10:13], v63 offset:8592
	v_add_f64 v[58:59], v[58:59], v[74:75]
	s_waitcnt lgkmcnt(0)
	v_mul_f64 v[74:75], v[12:13], v[48:49]
	v_mul_f64 v[48:49], v[10:11], v[48:49]
	v_fma_f64 v[74:75], v[10:11], v[46:47], -v[74:75]
	v_fmac_f64_e32 v[48:49], v[12:13], v[46:47]
	v_add_f64 v[46:47], v[6:7], v[74:75]
	v_add_f64 v[48:49], v[8:9], v[48:49]
	v_mul_f64 v[6:7], v[12:13], v[52:53]
	v_mul_f64 v[8:9], v[10:11], v[52:53]
	v_fma_f64 v[6:7], v[10:11], v[50:51], -v[6:7]
	v_fmac_f64_e32 v[8:9], v[12:13], v[50:51]
	v_add_f64 v[50:51], v[2:3], v[6:7]
	v_add_f64 v[52:53], v[4:5], v[8:9]
	ds_read_b128 v[2:5], v63 offset:416
	ds_read_b128 v[6:9], v68 offset:13312
	s_waitcnt lgkmcnt(0)
	v_mul_f64 v[10:11], v[4:5], v[8:9]
	v_mul_f64 v[12:13], v[2:3], v[8:9]
	v_fma_f64 v[10:11], v[2:3], v[6:7], -v[10:11]
	v_fmac_f64_e32 v[12:13], v[4:5], v[6:7]
	v_add_f64 v[54:55], v[54:55], v[10:11]
	v_add_f64 v[56:57], v[56:57], v[12:13]
	ds_read_b128 v[10:13], v73 offset:13312
	s_waitcnt lgkmcnt(0)
	v_mul_f64 v[74:75], v[4:5], v[12:13]
	v_fma_f64 v[74:75], v[2:3], v[10:11], -v[74:75]
	v_mul_f64 v[2:3], v[2:3], v[12:13]
	v_fmac_f64_e32 v[2:3], v[4:5], v[10:11]
	v_add_f64 v[60:61], v[60:61], v[2:3]
	ds_read_b128 v[2:5], v63 offset:8608
	v_add_f64 v[58:59], v[58:59], v[74:75]
	s_waitcnt lgkmcnt(0)
	v_mul_f64 v[74:75], v[4:5], v[8:9]
	v_fma_f64 v[74:75], v[2:3], v[6:7], -v[74:75]
	v_mul_f64 v[8:9], v[2:3], v[8:9]
	v_fmac_f64_e32 v[8:9], v[4:5], v[6:7]
	v_add_f64 v[6:7], v[46:47], v[74:75]
	v_mul_f64 v[46:47], v[4:5], v[12:13]
	v_mul_f64 v[12:13], v[2:3], v[12:13]
	v_fma_f64 v[46:47], v[2:3], v[10:11], -v[46:47]
	v_fmac_f64_e32 v[12:13], v[4:5], v[10:11]
	v_add_f64 v[8:9], v[48:49], v[8:9]
	v_add_f64 v[2:3], v[50:51], v[46:47]
	v_add_f64 v[4:5], v[52:53], v[12:13]
	ds_read_b128 v[10:13], v63 offset:432
	ds_read_b128 v[46:49], v68 offset:13824
	s_waitcnt lgkmcnt(0)
	v_mul_f64 v[50:51], v[12:13], v[48:49]
	v_mul_f64 v[52:53], v[10:11], v[48:49]
	v_fma_f64 v[50:51], v[10:11], v[46:47], -v[50:51]
	v_fmac_f64_e32 v[52:53], v[12:13], v[46:47]
	v_add_f64 v[54:55], v[54:55], v[50:51]
	v_add_f64 v[56:57], v[56:57], v[52:53]
	ds_read_b128 v[50:53], v73 offset:13824
	s_waitcnt lgkmcnt(0)
	v_mul_f64 v[74:75], v[12:13], v[52:53]
	v_fma_f64 v[74:75], v[10:11], v[50:51], -v[74:75]
	v_mul_f64 v[10:11], v[10:11], v[52:53]
	v_fmac_f64_e32 v[10:11], v[12:13], v[50:51]
	v_add_f64 v[60:61], v[60:61], v[10:11]
	ds_read_b128 v[10:13], v63 offset:8624
	v_add_f64 v[58:59], v[58:59], v[74:75]
	s_waitcnt lgkmcnt(0)
	v_mul_f64 v[74:75], v[12:13], v[48:49]
	v_mul_f64 v[48:49], v[10:11], v[48:49]
	v_fma_f64 v[74:75], v[10:11], v[46:47], -v[74:75]
	v_fmac_f64_e32 v[48:49], v[12:13], v[46:47]
	v_add_f64 v[46:47], v[6:7], v[74:75]
	v_add_f64 v[48:49], v[8:9], v[48:49]
	v_mul_f64 v[6:7], v[12:13], v[52:53]
	v_mul_f64 v[8:9], v[10:11], v[52:53]
	v_fma_f64 v[6:7], v[10:11], v[50:51], -v[6:7]
	v_fmac_f64_e32 v[8:9], v[12:13], v[50:51]
	v_add_f64 v[50:51], v[2:3], v[6:7]
	v_add_f64 v[52:53], v[4:5], v[8:9]
	ds_read_b128 v[2:5], v63 offset:448
	ds_read_b128 v[6:9], v68 offset:14336
	s_waitcnt lgkmcnt(0)
	v_mul_f64 v[10:11], v[4:5], v[8:9]
	v_mul_f64 v[12:13], v[2:3], v[8:9]
	v_fma_f64 v[10:11], v[2:3], v[6:7], -v[10:11]
	v_fmac_f64_e32 v[12:13], v[4:5], v[6:7]
	v_add_f64 v[54:55], v[54:55], v[10:11]
	v_add_f64 v[56:57], v[56:57], v[12:13]
	ds_read_b128 v[10:13], v73 offset:14336
	s_waitcnt lgkmcnt(0)
	v_mul_f64 v[74:75], v[4:5], v[12:13]
	v_fma_f64 v[74:75], v[2:3], v[10:11], -v[74:75]
	v_mul_f64 v[2:3], v[2:3], v[12:13]
	v_fmac_f64_e32 v[2:3], v[4:5], v[10:11]
	v_add_f64 v[60:61], v[60:61], v[2:3]
	ds_read_b128 v[2:5], v63 offset:8640
	v_add_f64 v[58:59], v[58:59], v[74:75]
	s_waitcnt lgkmcnt(0)
	v_mul_f64 v[74:75], v[4:5], v[8:9]
	v_fma_f64 v[74:75], v[2:3], v[6:7], -v[74:75]
	v_mul_f64 v[8:9], v[2:3], v[8:9]
	v_fmac_f64_e32 v[8:9], v[4:5], v[6:7]
	v_add_f64 v[6:7], v[46:47], v[74:75]
	v_mul_f64 v[46:47], v[4:5], v[12:13]
	v_mul_f64 v[12:13], v[2:3], v[12:13]
	v_fma_f64 v[46:47], v[2:3], v[10:11], -v[46:47]
	v_fmac_f64_e32 v[12:13], v[4:5], v[10:11]
	v_add_f64 v[8:9], v[48:49], v[8:9]
	v_add_f64 v[2:3], v[50:51], v[46:47]
	v_add_f64 v[4:5], v[52:53], v[12:13]
	ds_read_b128 v[10:13], v63 offset:464
	ds_read_b128 v[46:49], v68 offset:14848
	s_waitcnt lgkmcnt(0)
	v_mul_f64 v[50:51], v[12:13], v[48:49]
	v_mul_f64 v[52:53], v[10:11], v[48:49]
	v_fma_f64 v[50:51], v[10:11], v[46:47], -v[50:51]
	v_fmac_f64_e32 v[52:53], v[12:13], v[46:47]
	v_add_f64 v[54:55], v[54:55], v[50:51]
	v_add_f64 v[56:57], v[56:57], v[52:53]
	ds_read_b128 v[50:53], v73 offset:14848
	s_waitcnt lgkmcnt(0)
	v_mul_f64 v[74:75], v[12:13], v[52:53]
	v_fma_f64 v[74:75], v[10:11], v[50:51], -v[74:75]
	v_mul_f64 v[10:11], v[10:11], v[52:53]
	v_fmac_f64_e32 v[10:11], v[12:13], v[50:51]
	v_add_f64 v[60:61], v[60:61], v[10:11]
	ds_read_b128 v[10:13], v63 offset:8656
	v_add_f64 v[58:59], v[58:59], v[74:75]
	s_waitcnt lgkmcnt(0)
	v_mul_f64 v[74:75], v[12:13], v[48:49]
	v_mul_f64 v[48:49], v[10:11], v[48:49]
	v_fma_f64 v[74:75], v[10:11], v[46:47], -v[74:75]
	v_fmac_f64_e32 v[48:49], v[12:13], v[46:47]
	v_add_f64 v[46:47], v[6:7], v[74:75]
	v_add_f64 v[48:49], v[8:9], v[48:49]
	v_mul_f64 v[6:7], v[12:13], v[52:53]
	v_mul_f64 v[8:9], v[10:11], v[52:53]
	v_fma_f64 v[6:7], v[10:11], v[50:51], -v[6:7]
	v_fmac_f64_e32 v[8:9], v[12:13], v[50:51]
	v_add_f64 v[50:51], v[2:3], v[6:7]
	v_add_f64 v[52:53], v[4:5], v[8:9]
	ds_read_b128 v[2:5], v63 offset:480
	ds_read_b128 v[6:9], v68 offset:15360
	s_waitcnt lgkmcnt(0)
	v_mul_f64 v[10:11], v[4:5], v[8:9]
	v_mul_f64 v[12:13], v[2:3], v[8:9]
	v_fma_f64 v[10:11], v[2:3], v[6:7], -v[10:11]
	v_fmac_f64_e32 v[12:13], v[4:5], v[6:7]
	v_add_f64 v[54:55], v[54:55], v[10:11]
	v_add_f64 v[56:57], v[56:57], v[12:13]
	ds_read_b128 v[10:13], v73 offset:15360
	s_waitcnt lgkmcnt(0)
	v_mul_f64 v[74:75], v[4:5], v[12:13]
	v_fma_f64 v[74:75], v[2:3], v[10:11], -v[74:75]
	v_mul_f64 v[2:3], v[2:3], v[12:13]
	v_fmac_f64_e32 v[2:3], v[4:5], v[10:11]
	v_add_f64 v[80:81], v[60:61], v[2:3]
	ds_read_b128 v[2:5], v63 offset:8672
	v_add_f64 v[78:79], v[58:59], v[74:75]
	s_waitcnt lgkmcnt(0)
	v_mul_f64 v[58:59], v[4:5], v[8:9]
	v_fma_f64 v[58:59], v[2:3], v[6:7], -v[58:59]
	v_mul_f64 v[8:9], v[2:3], v[8:9]
	v_fmac_f64_e32 v[8:9], v[4:5], v[6:7]
	v_add_f64 v[6:7], v[46:47], v[58:59]
	v_mul_f64 v[46:47], v[4:5], v[12:13]
	v_mul_f64 v[12:13], v[2:3], v[12:13]
	v_fma_f64 v[46:47], v[2:3], v[10:11], -v[46:47]
	v_fmac_f64_e32 v[12:13], v[4:5], v[10:11]
	v_add_f64 v[8:9], v[48:49], v[8:9]
	v_add_f64 v[2:3], v[50:51], v[46:47]
	;; [unrolled: 1-line block ×3, first 2 shown]
	ds_read_b128 v[10:13], v63 offset:496
	ds_read_b128 v[46:49], v68 offset:15872
	;; [unrolled: 1-line block ×3, first 2 shown]
	s_waitcnt lgkmcnt(1)
	v_mul_f64 v[50:51], v[12:13], v[48:49]
	v_fma_f64 v[50:51], v[10:11], v[46:47], -v[50:51]
	v_add_f64 v[58:59], v[54:55], v[50:51]
	s_waitcnt lgkmcnt(0)
	v_mul_f64 v[50:51], v[12:13], v[76:77]
	v_mul_f64 v[52:53], v[10:11], v[48:49]
	v_fma_f64 v[50:51], v[10:11], v[74:75], -v[50:51]
	v_mul_f64 v[10:11], v[10:11], v[76:77]
	v_fmac_f64_e32 v[52:53], v[12:13], v[46:47]
	v_fmac_f64_e32 v[10:11], v[12:13], v[74:75]
	v_add_f64 v[60:61], v[56:57], v[52:53]
	v_add_f64 v[56:57], v[80:81], v[10:11]
	ds_read_b128 v[10:13], v63 offset:8688
	v_add_f64 v[52:53], v[78:79], v[50:51]
	s_waitcnt lgkmcnt(0)
	s_barrier
	v_mul_f64 v[50:51], v[12:13], v[48:49]
	v_fma_f64 v[50:51], v[10:11], v[46:47], -v[50:51]
	v_mul_f64 v[48:49], v[10:11], v[48:49]
	v_add_f64 v[50:51], v[6:7], v[50:51]
	v_mul_f64 v[6:7], v[12:13], v[76:77]
	v_fmac_f64_e32 v[48:49], v[12:13], v[46:47]
	v_fma_f64 v[6:7], v[10:11], v[74:75], -v[6:7]
	v_add_f64 v[54:55], v[8:9], v[48:49]
	v_add_f64 v[48:49], v[2:3], v[6:7]
	v_mov_b32_e32 v2, s31
	v_addc_co_u32_e64 v45, s[10:11], v45, v2, s[10:11]
	v_add_co_u32_e64 v32, s[10:11], s26, v32
	v_mov_b32_e32 v2, s27
	v_mul_f64 v[8:9], v[10:11], v[76:77]
	v_addc_co_u32_e64 v33, s[10:11], v33, v2, s[10:11]
	v_fmac_f64_e32 v[8:9], v[12:13], v[74:75]
	v_add_co_u32_e64 v34, s[10:11], s26, v34
	v_add_f64 v[46:47], v[4:5], v[8:9]
	v_addc_co_u32_e64 v35, s[10:11], v35, v2, s[10:11]
	s_cbranch_scc1 .LBB127_55
.LBB127_7:                              ;   Parent Loop BB127_4 Depth=1
                                        ; =>  This Inner Loop Header: Depth=2
	v_mov_b32_e32 v2, s49
	v_add_co_u32_e64 v6, s[10:11], s48, v20
	v_addc_co_u32_e64 v7, s[10:11], v21, v2, s[10:11]
	v_add_co_u32_e64 v4, s[10:11], v32, v30
	v_addc_co_u32_e64 v5, s[10:11], v33, v31, s[10:11]
	v_cmp_eq_u64_e64 s[10:11], s[48:49], v[26:27]
	s_and_b64 s[54:55], s[24:25], s[10:11]
	v_cmp_lt_i64_e64 s[10:11], v[6:7], v[24:25]
	v_cmp_le_i64_e64 s[12:13], s[50:51], v[6:7]
	s_or_b64 s[14:15], s[16:17], s[10:11]
	s_or_b64 s[14:15], s[12:13], s[14:15]
	;; [unrolled: 1-line block ×3, first 2 shown]
	s_xor_b64 s[14:15], s[14:15], -1
	s_and_saveexec_b64 s[18:19], s[14:15]
	s_xor_b64 s[14:15], exec, s[18:19]
	s_cbranch_execz .LBB127_9
; %bb.8:                                ;   in Loop: Header=BB127_7 Depth=2
	global_load_dwordx4 v[8:11], v[4:5], off offset:-256
	s_waitcnt vmcnt(0)
	ds_write2_b64 v64, v[8:9], v[10:11] offset1:1
.LBB127_9:                              ;   in Loop: Header=BB127_7 Depth=2
	s_or_saveexec_b64 s[14:15], s[14:15]
	s_xor_b64 s[52:53], s[54:55], -1
	s_xor_b64 exec, exec, s[14:15]
	s_cbranch_execz .LBB127_15
; %bb.10:                               ;   in Loop: Header=BB127_7 Depth=2
	s_and_saveexec_b64 s[18:19], s[52:53]
	s_xor_b64 s[18:19], exec, s[18:19]
	s_cbranch_execz .LBB127_12
; %bb.11:                               ;   in Loop: Header=BB127_7 Depth=2
	v_mov_b32_e32 v8, v0
	v_mov_b32_e32 v9, v0
	v_mov_b32_e32 v10, v0
	v_mov_b32_e32 v11, v0
	ds_write_b128 v64, v[8:11]
.LBB127_12:                             ;   in Loop: Header=BB127_7 Depth=2
	s_andn2_saveexec_b64 s[18:19], s[18:19]
	s_cbranch_execz .LBB127_14
; %bb.13:                               ;   in Loop: Header=BB127_7 Depth=2
	v_mov_b32_e32 v2, v0
	v_mov_b32_e32 v3, v0
	ds_write_b128 v64, v[0:3]
.LBB127_14:                             ;   in Loop: Header=BB127_7 Depth=2
	s_or_b64 exec, exec, s[18:19]
.LBB127_15:                             ;   in Loop: Header=BB127_7 Depth=2
	s_or_b64 exec, exec, s[14:15]
	v_add_co_u32_e64 v2, s[14:15], 16, v6
	v_addc_co_u32_e64 v3, s[14:15], 0, v7, s[14:15]
	v_cmp_eq_u64_e64 s[14:15], s[48:49], v[42:43]
	v_cmp_lt_i64_e64 s[18:19], v[2:3], v[24:25]
	s_and_b64 s[56:57], s[24:25], s[14:15]
	v_cmp_le_i64_e64 s[14:15], s[50:51], v[2:3]
	s_or_b64 s[18:19], s[16:17], s[18:19]
	s_or_b64 s[18:19], s[14:15], s[18:19]
	;; [unrolled: 1-line block ×3, first 2 shown]
	s_xor_b64 s[18:19], s[18:19], -1
	s_and_saveexec_b64 s[58:59], s[18:19]
	s_xor_b64 s[58:59], exec, s[58:59]
	s_cbranch_execz .LBB127_17
; %bb.16:                               ;   in Loop: Header=BB127_7 Depth=2
	v_add_co_u32_e64 v2, s[18:19], v34, v30
	v_addc_co_u32_e64 v3, s[18:19], v35, v31, s[18:19]
	global_load_dwordx4 v[8:11], v[2:3], off
	s_waitcnt vmcnt(0)
	ds_write2_b64 v65, v[8:9], v[10:11] offset1:1
.LBB127_17:                             ;   in Loop: Header=BB127_7 Depth=2
	s_andn2_saveexec_b64 s[18:19], s[58:59]
	s_cbranch_execz .LBB127_23
; %bb.18:                               ;   in Loop: Header=BB127_7 Depth=2
	s_xor_b64 s[56:57], s[56:57], -1
	s_and_saveexec_b64 s[58:59], s[56:57]
	s_xor_b64 s[56:57], exec, s[58:59]
	s_cbranch_execz .LBB127_20
; %bb.19:                               ;   in Loop: Header=BB127_7 Depth=2
	v_mov_b32_e32 v8, v0
	v_mov_b32_e32 v9, v0
	;; [unrolled: 1-line block ×4, first 2 shown]
	ds_write_b128 v65, v[8:11]
.LBB127_20:                             ;   in Loop: Header=BB127_7 Depth=2
	s_andn2_saveexec_b64 s[56:57], s[56:57]
	s_cbranch_execz .LBB127_22
; %bb.21:                               ;   in Loop: Header=BB127_7 Depth=2
	v_mov_b32_e32 v2, v0
	v_mov_b32_e32 v3, v0
	ds_write_b128 v65, v[0:3]
.LBB127_22:                             ;   in Loop: Header=BB127_7 Depth=2
	s_or_b64 exec, exec, s[56:57]
.LBB127_23:                             ;   in Loop: Header=BB127_7 Depth=2
	s_or_b64 exec, exec, s[18:19]
	v_cmp_eq_u64_e64 s[18:19], s[48:49], v[40:41]
	s_and_b64 s[56:57], s[24:25], s[18:19]
	v_cmp_lt_i64_e64 s[18:19], v[6:7], v[38:39]
	s_or_b64 s[18:19], s[8:9], s[18:19]
	s_or_b64 s[18:19], s[18:19], s[56:57]
	;; [unrolled: 1-line block ×3, first 2 shown]
	s_xor_b64 s[12:13], s[12:13], -1
	s_and_saveexec_b64 s[18:19], s[12:13]
	s_xor_b64 s[12:13], exec, s[18:19]
	s_cbranch_execz .LBB127_25
; %bb.24:                               ;   in Loop: Header=BB127_7 Depth=2
	global_load_dwordx4 v[2:5], v[4:5], off
	s_waitcnt vmcnt(0)
	ds_write2_b64 v66, v[2:3], v[4:5] offset1:1
.LBB127_25:                             ;   in Loop: Header=BB127_7 Depth=2
	s_andn2_saveexec_b64 s[12:13], s[12:13]
	s_cbranch_execz .LBB127_31
; %bb.26:                               ;   in Loop: Header=BB127_7 Depth=2
	s_xor_b64 s[18:19], s[56:57], -1
	s_and_saveexec_b64 s[56:57], s[18:19]
	s_xor_b64 s[18:19], exec, s[56:57]
	s_cbranch_execz .LBB127_28
; %bb.27:                               ;   in Loop: Header=BB127_7 Depth=2
	v_mov_b32_e32 v2, v0
	v_mov_b32_e32 v3, v0
	;; [unrolled: 1-line block ×4, first 2 shown]
	ds_write_b128 v66, v[2:5]
.LBB127_28:                             ;   in Loop: Header=BB127_7 Depth=2
	s_andn2_saveexec_b64 s[18:19], s[18:19]
	s_cbranch_execz .LBB127_30
; %bb.29:                               ;   in Loop: Header=BB127_7 Depth=2
	v_mov_b32_e32 v2, v0
	v_mov_b32_e32 v3, v0
	ds_write_b128 v66, v[0:3]
.LBB127_30:                             ;   in Loop: Header=BB127_7 Depth=2
	s_or_b64 exec, exec, s[18:19]
.LBB127_31:                             ;   in Loop: Header=BB127_7 Depth=2
	s_or_b64 exec, exec, s[12:13]
	s_or_b64 s[10:11], s[8:9], s[10:11]
	s_or_b64 s[10:11], s[14:15], s[10:11]
	;; [unrolled: 1-line block ×3, first 2 shown]
	s_xor_b64 s[10:11], s[10:11], -1
	s_and_saveexec_b64 s[12:13], s[10:11]
	s_xor_b64 s[12:13], exec, s[12:13]
	s_cbranch_execz .LBB127_33
; %bb.32:                               ;   in Loop: Header=BB127_7 Depth=2
	v_add_co_u32_e64 v2, s[10:11], v34, v30
	v_addc_co_u32_e64 v3, s[10:11], v35, v31, s[10:11]
	global_load_dwordx4 v[2:5], v[2:3], off offset:256
	s_waitcnt vmcnt(0)
	ds_write2_b64 v67, v[2:3], v[4:5] offset1:1
.LBB127_33:                             ;   in Loop: Header=BB127_7 Depth=2
	s_andn2_saveexec_b64 s[10:11], s[12:13]
	s_cbranch_execz .LBB127_39
; %bb.34:                               ;   in Loop: Header=BB127_7 Depth=2
	s_and_saveexec_b64 s[12:13], s[52:53]
	s_xor_b64 s[12:13], exec, s[12:13]
	s_cbranch_execz .LBB127_36
; %bb.35:                               ;   in Loop: Header=BB127_7 Depth=2
	v_mov_b32_e32 v2, v0
	v_mov_b32_e32 v3, v0
	;; [unrolled: 1-line block ×4, first 2 shown]
	ds_write_b128 v67, v[2:5]
.LBB127_36:                             ;   in Loop: Header=BB127_7 Depth=2
	s_andn2_saveexec_b64 s[12:13], s[12:13]
	s_cbranch_execz .LBB127_38
; %bb.37:                               ;   in Loop: Header=BB127_7 Depth=2
	v_mov_b32_e32 v2, v0
	v_mov_b32_e32 v3, v0
	ds_write_b128 v67, v[0:3]
.LBB127_38:                             ;   in Loop: Header=BB127_7 Depth=2
	s_or_b64 exec, exec, s[12:13]
.LBB127_39:                             ;   in Loop: Header=BB127_7 Depth=2
	s_or_b64 exec, exec, s[10:11]
	v_mov_b32_e32 v3, s49
	v_add_co_u32_e64 v2, s[10:11], s48, v22
	v_addc_co_u32_e64 v3, s[10:11], v23, v3, s[10:11]
	v_add_co_u32_e64 v4, s[10:11], v44, v28
	v_addc_co_u32_e64 v5, s[10:11], v45, v29, s[10:11]
	v_cmp_le_i64_e64 s[10:11], s[50:51], v[2:3]
	s_or_b64 s[12:13], s[10:11], vcc
	s_xor_b64 s[12:13], s[12:13], -1
	s_and_saveexec_b64 s[14:15], s[12:13]
	s_xor_b64 s[12:13], exec, s[14:15]
	s_cbranch_execz .LBB127_41
; %bb.40:                               ;   in Loop: Header=BB127_7 Depth=2
	global_load_dwordx4 v[6:9], v[4:5], off offset:-256
	s_waitcnt vmcnt(0)
	ds_write2_b64 v69, v[6:7], v[8:9] offset1:1
.LBB127_41:                             ;   in Loop: Header=BB127_7 Depth=2
	s_andn2_saveexec_b64 s[12:13], s[12:13]
	s_cbranch_execz .LBB127_43
; %bb.42:                               ;   in Loop: Header=BB127_7 Depth=2
	v_mov_b32_e32 v6, v0
	v_mov_b32_e32 v7, v0
	;; [unrolled: 1-line block ×4, first 2 shown]
	ds_write_b128 v69, v[6:9]
.LBB127_43:                             ;   in Loop: Header=BB127_7 Depth=2
	s_or_b64 exec, exec, s[12:13]
	s_or_b64 s[10:11], s[10:11], s[0:1]
	s_xor_b64 s[10:11], s[10:11], -1
	s_and_saveexec_b64 s[12:13], s[10:11]
	s_xor_b64 s[10:11], exec, s[12:13]
	s_cbranch_execz .LBB127_45
; %bb.44:                               ;   in Loop: Header=BB127_7 Depth=2
	global_load_dwordx4 v[4:7], v[4:5], off
	s_waitcnt vmcnt(0)
	ds_write2_b64 v70, v[4:5], v[6:7] offset1:1
.LBB127_45:                             ;   in Loop: Header=BB127_7 Depth=2
	s_andn2_saveexec_b64 s[10:11], s[10:11]
	s_cbranch_execz .LBB127_47
; %bb.46:                               ;   in Loop: Header=BB127_7 Depth=2
	v_mov_b32_e32 v4, v0
	v_mov_b32_e32 v5, v0
	;; [unrolled: 1-line block ×4, first 2 shown]
	ds_write_b128 v70, v[4:7]
.LBB127_47:                             ;   in Loop: Header=BB127_7 Depth=2
	s_or_b64 exec, exec, s[10:11]
	v_cmp_le_i64_e64 s[10:11], s[34:35], v[2:3]
	s_or_b64 s[12:13], s[10:11], vcc
	s_xor_b64 s[12:13], s[12:13], -1
	s_and_saveexec_b64 s[14:15], s[12:13]
	s_xor_b64 s[14:15], exec, s[14:15]
	s_cbranch_execz .LBB127_49
; %bb.48:                               ;   in Loop: Header=BB127_7 Depth=2
	v_add_co_u32_e64 v2, s[12:13], v44, v36
	v_addc_co_u32_e64 v3, s[12:13], v45, v37, s[12:13]
	global_load_dwordx4 v[2:5], v[2:3], off offset:-256
	s_waitcnt vmcnt(0)
	ds_write2_b64 v71, v[2:3], v[4:5] offset1:1
.LBB127_49:                             ;   in Loop: Header=BB127_7 Depth=2
	s_andn2_saveexec_b64 s[12:13], s[14:15]
	s_cbranch_execz .LBB127_51
; %bb.50:                               ;   in Loop: Header=BB127_7 Depth=2
	v_mov_b32_e32 v2, v0
	v_mov_b32_e32 v3, v0
	;; [unrolled: 1-line block ×4, first 2 shown]
	ds_write_b128 v71, v[2:5]
.LBB127_51:                             ;   in Loop: Header=BB127_7 Depth=2
	s_or_b64 exec, exec, s[12:13]
	s_or_b64 s[10:11], s[10:11], s[0:1]
	s_xor_b64 s[10:11], s[10:11], -1
	s_and_saveexec_b64 s[12:13], s[10:11]
	s_xor_b64 s[12:13], exec, s[12:13]
	s_cbranch_execz .LBB127_53
; %bb.52:                               ;   in Loop: Header=BB127_7 Depth=2
	v_add_co_u32_e64 v2, s[10:11], v44, v36
	v_addc_co_u32_e64 v3, s[10:11], v45, v37, s[10:11]
	global_load_dwordx4 v[2:5], v[2:3], off
	s_waitcnt vmcnt(0)
	ds_write2_b64 v72, v[2:3], v[4:5] offset1:1
.LBB127_53:                             ;   in Loop: Header=BB127_7 Depth=2
	s_andn2_saveexec_b64 s[10:11], s[12:13]
	s_cbranch_execz .LBB127_6
; %bb.54:                               ;   in Loop: Header=BB127_7 Depth=2
	v_mov_b32_e32 v2, v0
	v_mov_b32_e32 v3, v0
	;; [unrolled: 1-line block ×4, first 2 shown]
	ds_write_b128 v72, v[2:5]
	s_branch .LBB127_6
.LBB127_55:                             ;   in Loop: Header=BB127_4 Depth=1
	v_mul_lo_u32 v4, v25, s40
	v_mul_lo_u32 v5, v24, s41
	v_mad_u64_u32 v[2:3], s[10:11], v24, s40, 0
	v_add3_u32 v3, v3, v5, v4
	v_lshlrev_b64 v[2:3], 4, v[2:3]
	v_mov_b32_e32 v4, s61
	v_add_co_u32_e64 v2, s[10:11], s60, v2
	v_cmp_gt_i32_e64 s[8:9], s50, v24
	v_addc_co_u32_e64 v3, s[10:11], v4, v3, s[10:11]
	s_and_b64 s[10:11], s[2:3], s[8:9]
	s_and_saveexec_b64 s[12:13], s[10:11]
	s_cbranch_execz .LBB127_57
; %bb.56:                               ;   in Loop: Header=BB127_4 Depth=1
	v_add_co_u32_e64 v8, s[10:11], v2, v14
	v_addc_co_u32_e64 v9, s[10:11], v3, v15, s[10:11]
	global_load_dwordx4 v[4:7], v[8:9], off
	v_mul_f64 v[10:11], s[46:47], v[60:61]
	v_mul_f64 v[12:13], s[44:45], v[60:61]
	v_fma_f64 v[10:11], s[44:45], v[58:59], -v[10:11]
	v_fmac_f64_e32 v[12:13], s[46:47], v[58:59]
	s_waitcnt vmcnt(0)
	v_add_f64 v[4:5], v[4:5], v[10:11]
	v_add_f64 v[6:7], v[6:7], v[12:13]
	global_store_dwordx4 v[8:9], v[4:7], off
.LBB127_57:                             ;   in Loop: Header=BB127_4 Depth=1
	s_or_b64 exec, exec, s[12:13]
	s_and_b64 s[8:9], s[4:5], s[8:9]
	s_and_saveexec_b64 s[10:11], s[8:9]
	s_cbranch_execz .LBB127_59
; %bb.58:                               ;   in Loop: Header=BB127_4 Depth=1
	v_lshlrev_b64 v[4:5], 4, v[18:19]
	v_add_co_u32_e64 v6, s[8:9], v2, v4
	v_addc_co_u32_e64 v7, s[8:9], v3, v5, s[8:9]
	global_load_dwordx4 v[2:5], v[6:7], off
	v_mul_f64 v[8:9], s[46:47], v[56:57]
	v_mul_f64 v[10:11], s[44:45], v[56:57]
	v_fma_f64 v[8:9], s[44:45], v[52:53], -v[8:9]
	v_fmac_f64_e32 v[10:11], s[46:47], v[52:53]
	s_waitcnt vmcnt(0)
	v_add_f64 v[2:3], v[2:3], v[8:9]
	v_add_f64 v[4:5], v[4:5], v[10:11]
	global_store_dwordx4 v[6:7], v[2:5], off
.LBB127_59:                             ;   in Loop: Header=BB127_4 Depth=1
	s_or_b64 exec, exec, s[10:11]
	v_add_u32_e32 v2, 16, v24
	v_ashrrev_i32_e32 v3, 31, v2
	v_cmp_gt_i32_e64 s[8:9], s50, v2
	v_mul_lo_u32 v4, v3, s40
	v_mul_lo_u32 v5, v2, s41
	v_mad_u64_u32 v[2:3], s[10:11], v2, s40, 0
	v_add3_u32 v3, v3, v5, v4
	v_lshlrev_b64 v[2:3], 4, v[2:3]
	v_mov_b32_e32 v4, s61
	v_add_co_u32_e64 v2, s[10:11], s60, v2
	v_addc_co_u32_e64 v3, s[10:11], v4, v3, s[10:11]
	s_and_b64 s[10:11], s[2:3], s[8:9]
	s_and_saveexec_b64 s[12:13], s[10:11]
	s_cbranch_execz .LBB127_61
; %bb.60:                               ;   in Loop: Header=BB127_4 Depth=1
	v_add_co_u32_e64 v8, s[10:11], v2, v14
	v_addc_co_u32_e64 v9, s[10:11], v3, v15, s[10:11]
	global_load_dwordx4 v[4:7], v[8:9], off
	v_mul_f64 v[10:11], s[46:47], v[54:55]
	v_mul_f64 v[12:13], s[44:45], v[54:55]
	v_fma_f64 v[10:11], s[44:45], v[50:51], -v[10:11]
	v_fmac_f64_e32 v[12:13], s[46:47], v[50:51]
	s_waitcnt vmcnt(0)
	v_add_f64 v[4:5], v[4:5], v[10:11]
	v_add_f64 v[6:7], v[6:7], v[12:13]
	global_store_dwordx4 v[8:9], v[4:7], off
.LBB127_61:                             ;   in Loop: Header=BB127_4 Depth=1
	s_or_b64 exec, exec, s[12:13]
	s_and_b64 s[8:9], s[4:5], s[8:9]
	s_and_saveexec_b64 s[10:11], s[8:9]
	s_cbranch_execz .LBB127_3
; %bb.62:                               ;   in Loop: Header=BB127_4 Depth=1
	v_lshlrev_b64 v[4:5], 4, v[18:19]
	v_add_co_u32_e64 v6, s[8:9], v2, v4
	v_addc_co_u32_e64 v7, s[8:9], v3, v5, s[8:9]
	global_load_dwordx4 v[2:5], v[6:7], off
	v_mul_f64 v[8:9], s[46:47], v[46:47]
	v_mul_f64 v[10:11], s[44:45], v[46:47]
	v_fma_f64 v[8:9], s[44:45], v[48:49], -v[8:9]
	v_fmac_f64_e32 v[10:11], s[46:47], v[48:49]
	s_waitcnt vmcnt(0)
	v_add_f64 v[2:3], v[2:3], v[8:9]
	v_add_f64 v[4:5], v[4:5], v[10:11]
	global_store_dwordx4 v[6:7], v[2:5], off
	s_branch .LBB127_3
.LBB127_63:
	s_endpgm
	.section	.rodata,"a",@progbits
	.p2align	6, 0x0
	.amdhsa_kernel _ZL30rocblas_trmm_outofplace_kernelI19rocblas_complex_numIdELi32ELi2ELb0ELb1ELb1ELb0ES1_KS1_S1_Ev17rocblas_diagonal_iiT6_lPT7_lllS6_lllPT8_llli
		.amdhsa_group_segment_fixed_size 32768
		.amdhsa_private_segment_fixed_size 0
		.amdhsa_kernarg_size 400
		.amdhsa_user_sgpr_count 6
		.amdhsa_user_sgpr_private_segment_buffer 1
		.amdhsa_user_sgpr_dispatch_ptr 0
		.amdhsa_user_sgpr_queue_ptr 0
		.amdhsa_user_sgpr_kernarg_segment_ptr 1
		.amdhsa_user_sgpr_dispatch_id 0
		.amdhsa_user_sgpr_flat_scratch_init 0
		.amdhsa_user_sgpr_kernarg_preload_length 0
		.amdhsa_user_sgpr_kernarg_preload_offset 0
		.amdhsa_user_sgpr_private_segment_size 0
		.amdhsa_uses_dynamic_stack 0
		.amdhsa_system_sgpr_private_segment_wavefront_offset 0
		.amdhsa_system_sgpr_workgroup_id_x 1
		.amdhsa_system_sgpr_workgroup_id_y 1
		.amdhsa_system_sgpr_workgroup_id_z 1
		.amdhsa_system_sgpr_workgroup_info 0
		.amdhsa_system_vgpr_workitem_id 1
		.amdhsa_next_free_vgpr 90
		.amdhsa_next_free_sgpr 65
		.amdhsa_accum_offset 92
		.amdhsa_reserve_vcc 1
		.amdhsa_reserve_flat_scratch 0
		.amdhsa_float_round_mode_32 0
		.amdhsa_float_round_mode_16_64 0
		.amdhsa_float_denorm_mode_32 3
		.amdhsa_float_denorm_mode_16_64 3
		.amdhsa_dx10_clamp 1
		.amdhsa_ieee_mode 1
		.amdhsa_fp16_overflow 0
		.amdhsa_tg_split 0
		.amdhsa_exception_fp_ieee_invalid_op 0
		.amdhsa_exception_fp_denorm_src 0
		.amdhsa_exception_fp_ieee_div_zero 0
		.amdhsa_exception_fp_ieee_overflow 0
		.amdhsa_exception_fp_ieee_underflow 0
		.amdhsa_exception_fp_ieee_inexact 0
		.amdhsa_exception_int_div_zero 0
	.end_amdhsa_kernel
	.section	.text._ZL30rocblas_trmm_outofplace_kernelI19rocblas_complex_numIdELi32ELi2ELb0ELb1ELb1ELb0ES1_KS1_S1_Ev17rocblas_diagonal_iiT6_lPT7_lllS6_lllPT8_llli,"axG",@progbits,_ZL30rocblas_trmm_outofplace_kernelI19rocblas_complex_numIdELi32ELi2ELb0ELb1ELb1ELb0ES1_KS1_S1_Ev17rocblas_diagonal_iiT6_lPT7_lllS6_lllPT8_llli,comdat
.Lfunc_end127:
	.size	_ZL30rocblas_trmm_outofplace_kernelI19rocblas_complex_numIdELi32ELi2ELb0ELb1ELb1ELb0ES1_KS1_S1_Ev17rocblas_diagonal_iiT6_lPT7_lllS6_lllPT8_llli, .Lfunc_end127-_ZL30rocblas_trmm_outofplace_kernelI19rocblas_complex_numIdELi32ELi2ELb0ELb1ELb1ELb0ES1_KS1_S1_Ev17rocblas_diagonal_iiT6_lPT7_lllS6_lllPT8_llli
                                        ; -- End function
	.section	.AMDGPU.csdata,"",@progbits
; Kernel info:
; codeLenInByte = 9716
; NumSgprs: 69
; NumVgprs: 90
; NumAgprs: 0
; TotalNumVgprs: 90
; ScratchSize: 0
; MemoryBound: 0
; FloatMode: 240
; IeeeMode: 1
; LDSByteSize: 32768 bytes/workgroup (compile time only)
; SGPRBlocks: 8
; VGPRBlocks: 11
; NumSGPRsForWavesPerEU: 69
; NumVGPRsForWavesPerEU: 90
; AccumOffset: 92
; Occupancy: 5
; WaveLimiterHint : 0
; COMPUTE_PGM_RSRC2:SCRATCH_EN: 0
; COMPUTE_PGM_RSRC2:USER_SGPR: 6
; COMPUTE_PGM_RSRC2:TRAP_HANDLER: 0
; COMPUTE_PGM_RSRC2:TGID_X_EN: 1
; COMPUTE_PGM_RSRC2:TGID_Y_EN: 1
; COMPUTE_PGM_RSRC2:TGID_Z_EN: 1
; COMPUTE_PGM_RSRC2:TIDIG_COMP_CNT: 1
; COMPUTE_PGM_RSRC3_GFX90A:ACCUM_OFFSET: 22
; COMPUTE_PGM_RSRC3_GFX90A:TG_SPLIT: 0
	.section	.text._ZL30rocblas_trmm_outofplace_kernelI19rocblas_complex_numIdELi32ELi2ELb0ELb0ELb1ELb1EPKS1_S2_S1_Ev17rocblas_diagonal_iiT6_lPT7_lllS7_lllPT8_llli,"axG",@progbits,_ZL30rocblas_trmm_outofplace_kernelI19rocblas_complex_numIdELi32ELi2ELb0ELb0ELb1ELb1EPKS1_S2_S1_Ev17rocblas_diagonal_iiT6_lPT7_lllS7_lllPT8_llli,comdat
	.globl	_ZL30rocblas_trmm_outofplace_kernelI19rocblas_complex_numIdELi32ELi2ELb0ELb0ELb1ELb1EPKS1_S2_S1_Ev17rocblas_diagonal_iiT6_lPT7_lllS7_lllPT8_llli ; -- Begin function _ZL30rocblas_trmm_outofplace_kernelI19rocblas_complex_numIdELi32ELi2ELb0ELb0ELb1ELb1EPKS1_S2_S1_Ev17rocblas_diagonal_iiT6_lPT7_lllS7_lllPT8_llli
	.p2align	8
	.type	_ZL30rocblas_trmm_outofplace_kernelI19rocblas_complex_numIdELi32ELi2ELb0ELb0ELb1ELb1EPKS1_S2_S1_Ev17rocblas_diagonal_iiT6_lPT7_lllS7_lllPT8_llli,@function
_ZL30rocblas_trmm_outofplace_kernelI19rocblas_complex_numIdELi32ELi2ELb0ELb0ELb1ELb1EPKS1_S2_S1_Ev17rocblas_diagonal_iiT6_lPT7_lllS7_lllPT8_llli: ; @_ZL30rocblas_trmm_outofplace_kernelI19rocblas_complex_numIdELi32ELi2ELb0ELb0ELb1ELb1EPKS1_S2_S1_Ev17rocblas_diagonal_iiT6_lPT7_lllS7_lllPT8_llli
; %bb.0:
	s_load_dwordx16 s[12:27], s[4:5], 0x10
	s_waitcnt lgkmcnt(0)
	s_mul_i32 s0, s8, s15
	s_mul_hi_u32 s1, s8, s14
	s_add_i32 s1, s1, s0
	s_mul_i32 s0, s8, s14
	s_lshl_b64 s[0:1], s[0:1], 4
	s_add_u32 s0, s12, s0
	s_addc_u32 s1, s13, s1
	s_load_dwordx4 s[28:31], s[0:1], 0x0
	s_waitcnt lgkmcnt(0)
	v_cmp_eq_f64_e64 s[0:1], s[28:29], 0
	v_cmp_eq_f64_e64 s[2:3], s[30:31], 0
	s_and_b64 s[0:1], s[0:1], s[2:3]
	s_and_b64 vcc, exec, s[0:1]
	s_cbranch_vccnz .LBB128_63
; %bb.1:
	s_load_dwordx4 s[44:47], s[4:5], 0x0
	s_waitcnt lgkmcnt(0)
	s_add_i32 s0, s46, -1
	s_ashr_i32 s1, s0, 31
	s_lshr_b32 s1, s1, 27
	s_add_i32 s0, s0, s1
	s_ashr_i32 s33, s0, 5
	s_cmp_gt_i32 s7, s33
	s_cbranch_scc1 .LBB128_63
; %bb.2:
	s_mul_i32 s0, s8, s23
	s_mul_hi_u32 s1, s8, s22
	s_add_i32 s1, s1, s0
	s_mul_i32 s0, s8, s22
	s_load_dwordx4 s[48:51], s[4:5], 0x70
	s_load_dword s52, s[4:5], 0x8c
	s_lshl_b64 s[12:13], s[0:1], 4
	s_add_u32 s0, s16, s12
	s_load_dwordx8 s[36:43], s[4:5], 0x50
	s_addc_u32 s1, s17, s13
	s_lshl_b64 s[14:15], s[18:19], 4
	s_add_u32 s2, s0, s14
	s_addc_u32 s3, s1, s15
	s_waitcnt lgkmcnt(0)
	s_mul_i32 s0, s8, s51
	s_mul_hi_u32 s1, s8, s50
	s_add_i32 s1, s1, s0
	s_mul_i32 s0, s8, s50
	s_lshl_b64 s[0:1], s[0:1], 4
	s_add_u32 s4, s40, s0
	s_addc_u32 s5, s41, s1
	s_lshl_b64 s[0:1], s[42:43], 4
	s_add_u32 s50, s4, s0
	v_and_b32_e32 v16, 0x3ff, v0
	s_addc_u32 s51, s5, s1
	v_mad_u64_u32 v[4:5], s[0:1], v16, s20, 0
	v_mov_b32_e32 v6, v5
	v_mad_u64_u32 v[6:7], s[0:1], v16, s21, v[6:7]
	v_mov_b32_e32 v5, v6
	v_lshlrev_b64 v[4:5], 4, v[4:5]
	v_mov_b32_e32 v1, s3
	v_add_co_u32_e32 v18, vcc, s2, v4
	s_cmpk_eq_i32 s44, 0x84
	v_lshl_add_u32 v2, s6, 5, v16
	v_addc_co_u32_e32 v19, vcc, v1, v5, vcc
	s_cselect_b64 s[22:23], -1, 0
	s_ashr_i32 s0, s45, 31
	v_ashrrev_i32_e32 v3, 31, v2
	v_mov_b32_e32 v1, s0
	v_sub_co_u32_e32 v4, vcc, s45, v2
	v_bfe_u32 v14, v0, 10, 10
	v_subb_co_u32_e32 v5, vcc, v1, v3, vcc
	v_sub_co_u32_e64 v75, s[10:11], 0, v16
	v_cmp_gt_i64_e32 vcc, 1, v[4:5]
	v_cmp_gt_i64_e64 s[0:1], 17, v[4:5]
	v_subb_co_u32_e64 v76, s[10:11], 0, 0, s[10:11]
	v_mad_u64_u32 v[4:5], s[10:11], s36, v14, 0
	v_mov_b32_e32 v6, v5
	s_ashr_i32 s47, s46, 31
	s_lshl_b64 s[34:35], s[20:21], 9
	s_lshl_b64 s[40:41], s[36:37], 9
	v_mad_u64_u32 v[6:7], s[10:11], s37, v14, v[6:7]
	s_add_u32 s42, s46, -16
	s_mul_i32 s9, s39, s8
	s_mul_hi_u32 s10, s38, s8
	s_addc_u32 s43, s47, -1
	s_add_i32 s9, s10, s9
	s_mul_i32 s8, s38, s8
	s_lshl_b32 s6, s52, 5
	s_lshl_b64 s[8:9], s[8:9], 4
	s_lshl_b64 s[10:11], s[26:27], 4
	s_add_u32 s8, s8, s10
	s_addc_u32 s9, s9, s11
	s_add_u32 s8, s24, s8
	v_lshlrev_b64 v[26:27], 4, v[2:3]
	s_addc_u32 s9, s25, s9
	v_cmp_gt_i32_e64 s[2:3], s45, v2
	v_add_u32_e32 v20, 16, v2
	v_mov_b32_e32 v2, s9
	v_add_co_u32_e64 v3, s[8:9], s8, v26
	s_movk_i32 s18, 0x100
	v_addc_co_u32_e64 v2, s[8:9], v2, v27, s[8:9]
	v_add_co_u32_e64 v28, s[8:9], s18, v3
	v_addc_co_u32_e64 v29, s[8:9], 0, v2, s[8:9]
	v_mov_b32_e32 v2, 0x100
	v_lshl_add_u32 v3, v14, 4, v2
	v_mad_u64_u32 v[30:31], s[8:9], s36, v3, 0
	v_mov_b32_e32 v2, v31
	v_mad_u64_u32 v[2:3], s[8:9], s37, v3, v[2:3]
	s_add_u32 s8, s16, s14
	s_addc_u32 s9, s17, s15
	s_add_u32 s8, s8, s12
	v_lshlrev_b32_e32 v1, 4, v16
	v_lshlrev_b32_e32 v17, 9, v14
	s_addc_u32 s9, s9, s13
	v_add_u32_e32 v68, v17, v1
	v_or_b32_e32 v69, 0x4000, v1
	v_add_u32_e32 v74, 0x4100, v1
	v_mov_b32_e32 v15, v2
	v_add_u32_e32 v1, 0x100, v1
	v_pk_mov_b32 v[2:3], s[8:9], s[8:9] op_sel:[0,1]
	v_mad_u64_u32 v[32:33], s[8:9], s20, v1, v[2:3]
	v_mov_b32_e32 v2, v33
	v_add_u32_e32 v70, v69, v17
	v_mov_b32_e32 v5, v6
	v_mad_u64_u32 v[2:3], s[8:9], s21, v1, v[2:3]
	v_mov_b32_e32 v0, 0
	v_add_u32_e32 v71, 0x100, v70
	v_add_u32_e32 v72, 0x2000, v70
	;; [unrolled: 1-line block ×3, first 2 shown]
	v_cmp_gt_i32_e64 s[4:5], s45, v20
	v_ashrrev_i32_e32 v21, 31, v20
	v_lshl_add_u32 v22, s7, 5, v14
	v_lshlrev_b64 v[24:25], 4, v[4:5]
	v_mov_b32_e32 v33, v2
	v_mov_b32_e32 v1, 0x3ff00000
	s_branch .LBB128_4
.LBB128_3:                              ;   in Loop: Header=BB128_4 Depth=1
	s_or_b64 exec, exec, s[10:11]
	s_add_i32 s7, s52, s7
	s_cmp_le_i32 s7, s33
	v_add_u32_e32 v22, s6, v22
	s_cbranch_scc0 .LBB128_63
.LBB128_4:                              ; =>This Loop Header: Depth=1
                                        ;     Child Loop BB128_7 Depth 2
	s_lshl_b32 s44, s7, 5
	v_add_u32_e32 v34, s44, v14
	v_pk_mov_b32 v[64:65], 0, 0
	v_ashrrev_i32_e32 v35, 31, v34
	s_cmp_lt_i32 s7, 0
	v_pk_mov_b32 v[66:67], v[64:65], v[64:65] op_sel:[0,1]
	v_pk_mov_b32 v[58:59], v[64:65], v[64:65] op_sel:[0,1]
	;; [unrolled: 1-line block ×7, first 2 shown]
	s_cbranch_scc1 .LBB128_55
; %bb.5:                                ;   in Loop: Header=BB128_4 Depth=1
	v_ashrrev_i32_e32 v23, 31, v22
	v_add_co_u32_e64 v36, s[8:9], v75, v22
	v_addc_co_u32_e64 v37, s[8:9], v76, v23, s[8:9]
	v_add_co_u32_e64 v42, s[10:11], 16, v36
	v_add_co_u32_e64 v40, s[8:9], 16, v34
	v_addc_co_u32_e64 v43, s[10:11], 0, v37, s[10:11]
	v_addc_co_u32_e64 v41, s[8:9], 0, v35, s[8:9]
	v_add_co_u32_e64 v44, s[10:11], -16, v36
	v_pk_mov_b32 v[52:53], 0, 0
	v_lshlrev_b64 v[38:39], 4, v[22:23]
	v_cmp_le_i32_e64 s[16:17], s46, v34
	v_cmp_le_i64_e64 s[8:9], s[46:47], v[40:41]
	v_addc_co_u32_e64 v45, s[10:11], -1, v37, s[10:11]
	s_mov_b64 s[20:21], 0
	v_pk_mov_b32 v[46:47], v[32:33], v[32:33] op_sel:[0,1]
	v_pk_mov_b32 v[48:49], v[18:19], v[18:19] op_sel:[0,1]
	v_pk_mov_b32 v[50:51], v[28:29], v[28:29] op_sel:[0,1]
	v_pk_mov_b32 v[54:55], v[52:53], v[52:53] op_sel:[0,1]
	v_pk_mov_b32 v[60:61], v[52:53], v[52:53] op_sel:[0,1]
	v_pk_mov_b32 v[56:57], v[52:53], v[52:53] op_sel:[0,1]
	v_pk_mov_b32 v[62:63], v[52:53], v[52:53] op_sel:[0,1]
	v_pk_mov_b32 v[58:59], v[52:53], v[52:53] op_sel:[0,1]
	v_pk_mov_b32 v[66:67], v[52:53], v[52:53] op_sel:[0,1]
	v_pk_mov_b32 v[64:65], v[52:53], v[52:53] op_sel:[0,1]
	s_branch .LBB128_7
.LBB128_6:                              ;   in Loop: Header=BB128_7 Depth=2
	s_or_b64 exec, exec, s[10:11]
	s_waitcnt lgkmcnt(0)
	s_barrier
	ds_read_b128 v[78:81], v17
	ds_read_b128 v[10:13], v17 offset:16
	ds_read_b128 v[6:9], v17 offset:32
	;; [unrolled: 1-line block ×3, first 2 shown]
	ds_read_b128 v[82:85], v69
	v_add_co_u32_e64 v50, s[10:11], s40, v50
	s_add_u32 s20, s20, 32
	s_addc_u32 s21, s21, 0
	s_waitcnt lgkmcnt(0)
	v_mul_f64 v[86:87], v[80:81], v[84:85]
	v_mul_f64 v[88:89], v[78:79], v[84:85]
	v_fma_f64 v[86:87], v[78:79], v[82:83], -v[86:87]
	v_fmac_f64_e32 v[88:89], v[80:81], v[82:83]
	v_add_f64 v[86:87], v[64:65], v[86:87]
	v_add_f64 v[88:89], v[66:67], v[88:89]
	ds_read_b128 v[64:67], v74
	s_sub_i32 s12, s20, 32
	s_cmp_ge_i32 s12, s44
	s_waitcnt lgkmcnt(0)
	v_mul_f64 v[90:91], v[80:81], v[66:67]
	v_fma_f64 v[90:91], v[78:79], v[64:65], -v[90:91]
	v_mul_f64 v[78:79], v[78:79], v[66:67]
	v_fmac_f64_e32 v[78:79], v[80:81], v[64:65]
	v_add_f64 v[92:93], v[62:63], v[78:79]
	ds_read_b128 v[78:81], v17 offset:8192
	v_add_f64 v[90:91], v[58:59], v[90:91]
	s_waitcnt lgkmcnt(0)
	v_mul_f64 v[58:59], v[80:81], v[84:85]
	v_mul_f64 v[62:63], v[78:79], v[84:85]
	v_fma_f64 v[58:59], v[78:79], v[82:83], -v[58:59]
	v_fmac_f64_e32 v[62:63], v[80:81], v[82:83]
	v_add_f64 v[56:57], v[56:57], v[58:59]
	v_add_f64 v[58:59], v[60:61], v[62:63]
	v_mul_f64 v[60:61], v[80:81], v[66:67]
	v_mul_f64 v[62:63], v[78:79], v[66:67]
	v_fma_f64 v[60:61], v[78:79], v[64:65], -v[60:61]
	v_fmac_f64_e32 v[62:63], v[80:81], v[64:65]
	v_add_f64 v[54:55], v[54:55], v[60:61]
	v_add_f64 v[52:53], v[52:53], v[62:63]
	ds_read_b128 v[60:63], v69 offset:512
	s_waitcnt lgkmcnt(0)
	v_mul_f64 v[64:65], v[12:13], v[62:63]
	v_mul_f64 v[66:67], v[10:11], v[62:63]
	v_fma_f64 v[64:65], v[10:11], v[60:61], -v[64:65]
	v_fmac_f64_e32 v[66:67], v[12:13], v[60:61]
	v_add_f64 v[78:79], v[86:87], v[64:65]
	v_add_f64 v[80:81], v[88:89], v[66:67]
	ds_read_b128 v[64:67], v74 offset:512
	s_waitcnt lgkmcnt(0)
	v_mul_f64 v[82:83], v[12:13], v[66:67]
	v_fma_f64 v[82:83], v[10:11], v[64:65], -v[82:83]
	v_mul_f64 v[10:11], v[10:11], v[66:67]
	v_fmac_f64_e32 v[10:11], v[12:13], v[64:65]
	v_add_f64 v[84:85], v[92:93], v[10:11]
	ds_read_b128 v[10:13], v17 offset:8208
	v_add_f64 v[82:83], v[90:91], v[82:83]
	s_waitcnt lgkmcnt(0)
	v_mul_f64 v[86:87], v[12:13], v[62:63]
	v_mul_f64 v[62:63], v[10:11], v[62:63]
	v_fma_f64 v[86:87], v[10:11], v[60:61], -v[86:87]
	v_fmac_f64_e32 v[62:63], v[12:13], v[60:61]
	v_mul_f64 v[60:61], v[12:13], v[66:67]
	v_fma_f64 v[60:61], v[10:11], v[64:65], -v[60:61]
	v_mul_f64 v[10:11], v[10:11], v[66:67]
	v_fmac_f64_e32 v[10:11], v[12:13], v[64:65]
	v_add_f64 v[58:59], v[58:59], v[62:63]
	v_add_f64 v[62:63], v[52:53], v[10:11]
	ds_read_b128 v[10:13], v69 offset:1024
	v_add_f64 v[60:61], v[54:55], v[60:61]
	v_add_f64 v[56:57], v[56:57], v[86:87]
	s_waitcnt lgkmcnt(0)
	v_mul_f64 v[52:53], v[8:9], v[12:13]
	v_mul_f64 v[54:55], v[6:7], v[12:13]
	v_fma_f64 v[52:53], v[6:7], v[10:11], -v[52:53]
	v_fmac_f64_e32 v[54:55], v[8:9], v[10:11]
	v_add_f64 v[64:65], v[78:79], v[52:53]
	v_add_f64 v[66:67], v[80:81], v[54:55]
	ds_read_b128 v[52:55], v74 offset:1024
	s_waitcnt lgkmcnt(0)
	v_mul_f64 v[78:79], v[8:9], v[54:55]
	v_fma_f64 v[78:79], v[6:7], v[52:53], -v[78:79]
	v_mul_f64 v[6:7], v[6:7], v[54:55]
	v_fmac_f64_e32 v[6:7], v[8:9], v[52:53]
	v_add_f64 v[80:81], v[84:85], v[6:7]
	ds_read_b128 v[6:9], v17 offset:8224
	v_add_f64 v[78:79], v[82:83], v[78:79]
	s_waitcnt lgkmcnt(0)
	v_mul_f64 v[82:83], v[8:9], v[12:13]
	v_fma_f64 v[82:83], v[6:7], v[10:11], -v[82:83]
	v_mul_f64 v[12:13], v[6:7], v[12:13]
	v_fmac_f64_e32 v[12:13], v[8:9], v[10:11]
	v_add_f64 v[10:11], v[56:57], v[82:83]
	v_mul_f64 v[56:57], v[8:9], v[54:55]
	v_mul_f64 v[54:55], v[6:7], v[54:55]
	v_fmac_f64_e32 v[54:55], v[8:9], v[52:53]
	v_fma_f64 v[56:57], v[6:7], v[52:53], -v[56:57]
	v_add_f64 v[8:9], v[62:63], v[54:55]
	ds_read_b128 v[52:55], v69 offset:1536
	v_add_f64 v[12:13], v[58:59], v[12:13]
	v_add_f64 v[6:7], v[60:61], v[56:57]
	s_waitcnt lgkmcnt(0)
	v_mul_f64 v[56:57], v[4:5], v[54:55]
	v_mul_f64 v[58:59], v[2:3], v[54:55]
	v_fma_f64 v[56:57], v[2:3], v[52:53], -v[56:57]
	v_fmac_f64_e32 v[58:59], v[4:5], v[52:53]
	v_add_f64 v[60:61], v[64:65], v[56:57]
	v_add_f64 v[62:63], v[66:67], v[58:59]
	ds_read_b128 v[56:59], v74 offset:1536
	s_waitcnt lgkmcnt(0)
	v_mul_f64 v[64:65], v[4:5], v[58:59]
	v_fma_f64 v[64:65], v[2:3], v[56:57], -v[64:65]
	v_mul_f64 v[2:3], v[2:3], v[58:59]
	v_fmac_f64_e32 v[2:3], v[4:5], v[56:57]
	v_add_f64 v[66:67], v[80:81], v[2:3]
	ds_read_b128 v[2:5], v17 offset:8240
	v_add_f64 v[64:65], v[78:79], v[64:65]
	s_waitcnt lgkmcnt(0)
	v_mul_f64 v[78:79], v[4:5], v[54:55]
	v_fma_f64 v[78:79], v[2:3], v[52:53], -v[78:79]
	v_mul_f64 v[54:55], v[2:3], v[54:55]
	v_fmac_f64_e32 v[54:55], v[4:5], v[52:53]
	v_add_f64 v[52:53], v[10:11], v[78:79]
	v_mul_f64 v[10:11], v[4:5], v[58:59]
	v_fma_f64 v[10:11], v[2:3], v[56:57], -v[10:11]
	v_mul_f64 v[2:3], v[2:3], v[58:59]
	v_fmac_f64_e32 v[2:3], v[4:5], v[56:57]
	v_add_f64 v[56:57], v[6:7], v[10:11]
	v_add_f64 v[58:59], v[8:9], v[2:3]
	ds_read_b128 v[2:5], v17 offset:64
	ds_read_b128 v[6:9], v69 offset:2048
	v_add_f64 v[54:55], v[12:13], v[54:55]
	s_waitcnt lgkmcnt(0)
	v_mul_f64 v[10:11], v[4:5], v[8:9]
	v_mul_f64 v[12:13], v[2:3], v[8:9]
	v_fma_f64 v[10:11], v[2:3], v[6:7], -v[10:11]
	v_fmac_f64_e32 v[12:13], v[4:5], v[6:7]
	v_add_f64 v[60:61], v[60:61], v[10:11]
	v_add_f64 v[62:63], v[62:63], v[12:13]
	ds_read_b128 v[10:13], v74 offset:2048
	s_waitcnt lgkmcnt(0)
	v_mul_f64 v[78:79], v[4:5], v[12:13]
	v_fma_f64 v[78:79], v[2:3], v[10:11], -v[78:79]
	v_mul_f64 v[2:3], v[2:3], v[12:13]
	v_fmac_f64_e32 v[2:3], v[4:5], v[10:11]
	v_add_f64 v[66:67], v[66:67], v[2:3]
	ds_read_b128 v[2:5], v17 offset:8256
	v_add_f64 v[64:65], v[64:65], v[78:79]
	s_waitcnt lgkmcnt(0)
	v_mul_f64 v[78:79], v[4:5], v[8:9]
	v_fma_f64 v[78:79], v[2:3], v[6:7], -v[78:79]
	v_mul_f64 v[8:9], v[2:3], v[8:9]
	v_fmac_f64_e32 v[8:9], v[4:5], v[6:7]
	v_add_f64 v[6:7], v[52:53], v[78:79]
	v_mul_f64 v[52:53], v[4:5], v[12:13]
	v_mul_f64 v[12:13], v[2:3], v[12:13]
	v_fma_f64 v[52:53], v[2:3], v[10:11], -v[52:53]
	v_fmac_f64_e32 v[12:13], v[4:5], v[10:11]
	v_add_f64 v[8:9], v[54:55], v[8:9]
	v_add_f64 v[2:3], v[56:57], v[52:53]
	v_add_f64 v[4:5], v[58:59], v[12:13]
	ds_read_b128 v[10:13], v17 offset:80
	ds_read_b128 v[52:55], v69 offset:2560
	s_waitcnt lgkmcnt(0)
	v_mul_f64 v[56:57], v[12:13], v[54:55]
	v_mul_f64 v[58:59], v[10:11], v[54:55]
	v_fma_f64 v[56:57], v[10:11], v[52:53], -v[56:57]
	v_fmac_f64_e32 v[58:59], v[12:13], v[52:53]
	v_add_f64 v[60:61], v[60:61], v[56:57]
	v_add_f64 v[62:63], v[62:63], v[58:59]
	ds_read_b128 v[56:59], v74 offset:2560
	s_waitcnt lgkmcnt(0)
	v_mul_f64 v[78:79], v[12:13], v[58:59]
	v_fma_f64 v[78:79], v[10:11], v[56:57], -v[78:79]
	v_mul_f64 v[10:11], v[10:11], v[58:59]
	v_fmac_f64_e32 v[10:11], v[12:13], v[56:57]
	v_add_f64 v[66:67], v[66:67], v[10:11]
	ds_read_b128 v[10:13], v17 offset:8272
	v_add_f64 v[64:65], v[64:65], v[78:79]
	s_waitcnt lgkmcnt(0)
	v_mul_f64 v[78:79], v[12:13], v[54:55]
	v_mul_f64 v[54:55], v[10:11], v[54:55]
	v_fma_f64 v[78:79], v[10:11], v[52:53], -v[78:79]
	v_fmac_f64_e32 v[54:55], v[12:13], v[52:53]
	v_add_f64 v[52:53], v[6:7], v[78:79]
	v_add_f64 v[54:55], v[8:9], v[54:55]
	v_mul_f64 v[6:7], v[12:13], v[58:59]
	v_mul_f64 v[8:9], v[10:11], v[58:59]
	v_fma_f64 v[6:7], v[10:11], v[56:57], -v[6:7]
	v_fmac_f64_e32 v[8:9], v[12:13], v[56:57]
	v_add_f64 v[56:57], v[2:3], v[6:7]
	v_add_f64 v[58:59], v[4:5], v[8:9]
	ds_read_b128 v[2:5], v17 offset:96
	ds_read_b128 v[6:9], v69 offset:3072
	s_waitcnt lgkmcnt(0)
	v_mul_f64 v[10:11], v[4:5], v[8:9]
	v_mul_f64 v[12:13], v[2:3], v[8:9]
	v_fma_f64 v[10:11], v[2:3], v[6:7], -v[10:11]
	v_fmac_f64_e32 v[12:13], v[4:5], v[6:7]
	v_add_f64 v[60:61], v[60:61], v[10:11]
	v_add_f64 v[62:63], v[62:63], v[12:13]
	ds_read_b128 v[10:13], v74 offset:3072
	s_waitcnt lgkmcnt(0)
	v_mul_f64 v[78:79], v[4:5], v[12:13]
	v_fma_f64 v[78:79], v[2:3], v[10:11], -v[78:79]
	v_mul_f64 v[2:3], v[2:3], v[12:13]
	v_fmac_f64_e32 v[2:3], v[4:5], v[10:11]
	v_add_f64 v[66:67], v[66:67], v[2:3]
	ds_read_b128 v[2:5], v17 offset:8288
	v_add_f64 v[64:65], v[64:65], v[78:79]
	s_waitcnt lgkmcnt(0)
	v_mul_f64 v[78:79], v[4:5], v[8:9]
	v_fma_f64 v[78:79], v[2:3], v[6:7], -v[78:79]
	v_mul_f64 v[8:9], v[2:3], v[8:9]
	v_fmac_f64_e32 v[8:9], v[4:5], v[6:7]
	v_add_f64 v[6:7], v[52:53], v[78:79]
	v_mul_f64 v[52:53], v[4:5], v[12:13]
	v_mul_f64 v[12:13], v[2:3], v[12:13]
	v_fma_f64 v[52:53], v[2:3], v[10:11], -v[52:53]
	v_fmac_f64_e32 v[12:13], v[4:5], v[10:11]
	v_add_f64 v[8:9], v[54:55], v[8:9]
	v_add_f64 v[2:3], v[56:57], v[52:53]
	v_add_f64 v[4:5], v[58:59], v[12:13]
	ds_read_b128 v[10:13], v17 offset:112
	ds_read_b128 v[52:55], v69 offset:3584
	s_waitcnt lgkmcnt(0)
	v_mul_f64 v[56:57], v[12:13], v[54:55]
	v_mul_f64 v[58:59], v[10:11], v[54:55]
	v_fma_f64 v[56:57], v[10:11], v[52:53], -v[56:57]
	v_fmac_f64_e32 v[58:59], v[12:13], v[52:53]
	v_add_f64 v[60:61], v[60:61], v[56:57]
	v_add_f64 v[62:63], v[62:63], v[58:59]
	ds_read_b128 v[56:59], v74 offset:3584
	s_waitcnt lgkmcnt(0)
	v_mul_f64 v[78:79], v[12:13], v[58:59]
	v_fma_f64 v[78:79], v[10:11], v[56:57], -v[78:79]
	v_mul_f64 v[10:11], v[10:11], v[58:59]
	v_fmac_f64_e32 v[10:11], v[12:13], v[56:57]
	v_add_f64 v[66:67], v[66:67], v[10:11]
	ds_read_b128 v[10:13], v17 offset:8304
	v_add_f64 v[64:65], v[64:65], v[78:79]
	s_waitcnt lgkmcnt(0)
	v_mul_f64 v[78:79], v[12:13], v[54:55]
	v_mul_f64 v[54:55], v[10:11], v[54:55]
	v_fma_f64 v[78:79], v[10:11], v[52:53], -v[78:79]
	v_fmac_f64_e32 v[54:55], v[12:13], v[52:53]
	v_add_f64 v[52:53], v[6:7], v[78:79]
	v_add_f64 v[54:55], v[8:9], v[54:55]
	v_mul_f64 v[6:7], v[12:13], v[58:59]
	v_mul_f64 v[8:9], v[10:11], v[58:59]
	v_fma_f64 v[6:7], v[10:11], v[56:57], -v[6:7]
	v_fmac_f64_e32 v[8:9], v[12:13], v[56:57]
	v_add_f64 v[56:57], v[2:3], v[6:7]
	v_add_f64 v[58:59], v[4:5], v[8:9]
	ds_read_b128 v[2:5], v17 offset:128
	ds_read_b128 v[6:9], v69 offset:4096
	;; [unrolled: 62-line block ×13, first 2 shown]
	s_waitcnt lgkmcnt(0)
	v_mul_f64 v[10:11], v[4:5], v[8:9]
	v_mul_f64 v[12:13], v[2:3], v[8:9]
	v_fma_f64 v[10:11], v[2:3], v[6:7], -v[10:11]
	v_fmac_f64_e32 v[12:13], v[4:5], v[6:7]
	v_add_f64 v[60:61], v[60:61], v[10:11]
	v_add_f64 v[62:63], v[62:63], v[12:13]
	ds_read_b128 v[10:13], v74 offset:15360
	s_waitcnt lgkmcnt(0)
	v_mul_f64 v[78:79], v[4:5], v[12:13]
	v_fma_f64 v[78:79], v[2:3], v[10:11], -v[78:79]
	v_mul_f64 v[2:3], v[2:3], v[12:13]
	v_fmac_f64_e32 v[2:3], v[4:5], v[10:11]
	v_add_f64 v[84:85], v[66:67], v[2:3]
	ds_read_b128 v[2:5], v17 offset:8672
	v_add_f64 v[82:83], v[64:65], v[78:79]
	s_waitcnt lgkmcnt(0)
	v_mul_f64 v[64:65], v[4:5], v[8:9]
	v_fma_f64 v[64:65], v[2:3], v[6:7], -v[64:65]
	v_mul_f64 v[8:9], v[2:3], v[8:9]
	v_fmac_f64_e32 v[8:9], v[4:5], v[6:7]
	v_add_f64 v[6:7], v[52:53], v[64:65]
	v_mul_f64 v[52:53], v[4:5], v[12:13]
	v_mul_f64 v[12:13], v[2:3], v[12:13]
	v_fma_f64 v[52:53], v[2:3], v[10:11], -v[52:53]
	v_fmac_f64_e32 v[12:13], v[4:5], v[10:11]
	v_add_f64 v[8:9], v[54:55], v[8:9]
	v_add_f64 v[2:3], v[56:57], v[52:53]
	;; [unrolled: 1-line block ×3, first 2 shown]
	ds_read_b128 v[10:13], v17 offset:496
	ds_read_b128 v[52:55], v69 offset:15872
	;; [unrolled: 1-line block ×3, first 2 shown]
	s_waitcnt lgkmcnt(1)
	v_mul_f64 v[56:57], v[12:13], v[54:55]
	v_fma_f64 v[56:57], v[10:11], v[52:53], -v[56:57]
	v_add_f64 v[64:65], v[60:61], v[56:57]
	s_waitcnt lgkmcnt(0)
	v_mul_f64 v[56:57], v[12:13], v[80:81]
	v_mul_f64 v[58:59], v[10:11], v[54:55]
	v_fma_f64 v[56:57], v[10:11], v[78:79], -v[56:57]
	v_mul_f64 v[10:11], v[10:11], v[80:81]
	v_fmac_f64_e32 v[58:59], v[12:13], v[52:53]
	v_fmac_f64_e32 v[10:11], v[12:13], v[78:79]
	v_add_f64 v[66:67], v[62:63], v[58:59]
	v_add_f64 v[62:63], v[84:85], v[10:11]
	ds_read_b128 v[10:13], v17 offset:8688
	v_add_f64 v[58:59], v[82:83], v[56:57]
	s_waitcnt lgkmcnt(0)
	s_barrier
	v_mul_f64 v[56:57], v[12:13], v[54:55]
	v_fma_f64 v[56:57], v[10:11], v[52:53], -v[56:57]
	v_mul_f64 v[54:55], v[10:11], v[54:55]
	v_add_f64 v[56:57], v[6:7], v[56:57]
	v_mul_f64 v[6:7], v[12:13], v[80:81]
	v_fmac_f64_e32 v[54:55], v[12:13], v[52:53]
	v_fma_f64 v[6:7], v[10:11], v[78:79], -v[6:7]
	v_add_f64 v[60:61], v[8:9], v[54:55]
	v_add_f64 v[54:55], v[2:3], v[6:7]
	v_mov_b32_e32 v2, s41
	v_addc_co_u32_e64 v51, s[10:11], v51, v2, s[10:11]
	v_add_co_u32_e64 v48, s[10:11], s34, v48
	v_mov_b32_e32 v2, s35
	v_mul_f64 v[8:9], v[10:11], v[80:81]
	v_addc_co_u32_e64 v49, s[10:11], v49, v2, s[10:11]
	v_fmac_f64_e32 v[8:9], v[12:13], v[78:79]
	v_add_co_u32_e64 v46, s[10:11], s34, v46
	v_add_f64 v[52:53], v[4:5], v[8:9]
	v_addc_co_u32_e64 v47, s[10:11], v47, v2, s[10:11]
	s_cbranch_scc1 .LBB128_55
.LBB128_7:                              ;   Parent Loop BB128_4 Depth=1
                                        ; =>  This Inner Loop Header: Depth=2
	v_mov_b32_e32 v2, s21
	v_add_co_u32_e64 v6, s[10:11], s20, v16
	v_addc_co_u32_e64 v7, s[10:11], 0, v2, s[10:11]
	v_add_co_u32_e64 v4, s[10:11], v48, v38
	v_addc_co_u32_e64 v5, s[10:11], v49, v39, s[10:11]
	v_cmp_eq_u64_e64 s[10:11], s[20:21], v[36:37]
	s_and_b64 s[26:27], s[22:23], s[10:11]
	v_cmp_gt_i64_e64 s[10:11], v[6:7], v[34:35]
	s_or_b64 s[14:15], s[16:17], s[10:11]
	v_cmp_le_i64_e64 s[12:13], s[46:47], v[6:7]
	s_or_b64 s[14:15], s[14:15], s[26:27]
	s_or_b64 s[14:15], s[12:13], s[14:15]
	s_xor_b64 s[14:15], s[14:15], -1
	s_and_saveexec_b64 s[18:19], s[14:15]
	s_xor_b64 s[14:15], exec, s[18:19]
	s_cbranch_execz .LBB128_9
; %bb.8:                                ;   in Loop: Header=BB128_7 Depth=2
	global_load_dwordx4 v[8:11], v[4:5], off
	s_waitcnt vmcnt(0)
	v_xor_b32_e32 v11, 0x80000000, v11
	ds_write_b128 v68, v[8:11]
.LBB128_9:                              ;   in Loop: Header=BB128_7 Depth=2
	s_or_saveexec_b64 s[14:15], s[14:15]
	s_xor_b64 s[24:25], s[26:27], -1
	s_xor_b64 exec, exec, s[14:15]
	s_cbranch_execz .LBB128_15
; %bb.10:                               ;   in Loop: Header=BB128_7 Depth=2
	s_and_saveexec_b64 s[18:19], s[24:25]
	s_xor_b64 s[18:19], exec, s[18:19]
	s_cbranch_execz .LBB128_12
; %bb.11:                               ;   in Loop: Header=BB128_7 Depth=2
	v_mov_b32_e32 v8, v0
	v_mov_b32_e32 v9, v0
	;; [unrolled: 1-line block ×4, first 2 shown]
	ds_write_b128 v68, v[8:11]
.LBB128_12:                             ;   in Loop: Header=BB128_7 Depth=2
	s_andn2_saveexec_b64 s[18:19], s[18:19]
	s_cbranch_execz .LBB128_14
; %bb.13:                               ;   in Loop: Header=BB128_7 Depth=2
	v_mov_b32_e32 v2, v0
	v_mov_b32_e32 v3, v0
	ds_write_b128 v68, v[0:3]
.LBB128_14:                             ;   in Loop: Header=BB128_7 Depth=2
	s_or_b64 exec, exec, s[18:19]
.LBB128_15:                             ;   in Loop: Header=BB128_7 Depth=2
	s_or_b64 exec, exec, s[14:15]
	v_add_co_u32_e64 v2, s[14:15], 16, v6
	v_addc_co_u32_e64 v3, s[14:15], 0, v7, s[14:15]
	v_cmp_eq_u64_e64 s[14:15], s[20:21], v[44:45]
	v_cmp_gt_i64_e64 s[18:19], v[2:3], v[34:35]
	s_and_b64 s[36:37], s[22:23], s[14:15]
	s_or_b64 s[18:19], s[16:17], s[18:19]
	v_cmp_le_i64_e64 s[14:15], s[46:47], v[2:3]
	s_or_b64 s[18:19], s[18:19], s[36:37]
	s_or_b64 s[18:19], s[14:15], s[18:19]
	s_xor_b64 s[18:19], s[18:19], -1
	s_and_saveexec_b64 s[38:39], s[18:19]
	s_xor_b64 s[38:39], exec, s[38:39]
	s_cbranch_execz .LBB128_17
; %bb.16:                               ;   in Loop: Header=BB128_7 Depth=2
	v_add_co_u32_e64 v2, s[18:19], v46, v38
	v_addc_co_u32_e64 v3, s[18:19], v47, v39, s[18:19]
	global_load_dwordx4 v[8:11], v[2:3], off
	s_waitcnt vmcnt(0)
	v_xor_b32_e32 v11, 0x80000000, v11
	ds_write_b128 v68, v[8:11] offset:256
.LBB128_17:                             ;   in Loop: Header=BB128_7 Depth=2
	s_andn2_saveexec_b64 s[18:19], s[38:39]
	s_cbranch_execz .LBB128_23
; %bb.18:                               ;   in Loop: Header=BB128_7 Depth=2
	s_xor_b64 s[36:37], s[36:37], -1
	s_and_saveexec_b64 s[38:39], s[36:37]
	s_xor_b64 s[36:37], exec, s[38:39]
	s_cbranch_execz .LBB128_20
; %bb.19:                               ;   in Loop: Header=BB128_7 Depth=2
	v_mov_b32_e32 v8, v0
	v_mov_b32_e32 v9, v0
	v_mov_b32_e32 v10, v0
	v_mov_b32_e32 v11, v0
	ds_write_b128 v68, v[8:11] offset:256
.LBB128_20:                             ;   in Loop: Header=BB128_7 Depth=2
	s_andn2_saveexec_b64 s[36:37], s[36:37]
	s_cbranch_execz .LBB128_22
; %bb.21:                               ;   in Loop: Header=BB128_7 Depth=2
	v_mov_b32_e32 v2, v0
	v_mov_b32_e32 v3, v0
	ds_write_b128 v68, v[0:3] offset:256
.LBB128_22:                             ;   in Loop: Header=BB128_7 Depth=2
	s_or_b64 exec, exec, s[36:37]
.LBB128_23:                             ;   in Loop: Header=BB128_7 Depth=2
	s_or_b64 exec, exec, s[18:19]
	v_cmp_eq_u64_e64 s[18:19], s[20:21], v[42:43]
	s_and_b64 s[36:37], s[22:23], s[18:19]
	v_cmp_gt_i64_e64 s[18:19], v[6:7], v[40:41]
	s_or_b64 s[18:19], s[8:9], s[18:19]
	s_or_b64 s[18:19], s[18:19], s[36:37]
	;; [unrolled: 1-line block ×3, first 2 shown]
	s_xor_b64 s[12:13], s[12:13], -1
	s_and_saveexec_b64 s[18:19], s[12:13]
	s_xor_b64 s[12:13], exec, s[18:19]
	s_cbranch_execz .LBB128_25
; %bb.24:                               ;   in Loop: Header=BB128_7 Depth=2
	global_load_dwordx4 v[2:5], v[4:5], off offset:256
	s_waitcnt vmcnt(0)
	v_xor_b32_e32 v5, 0x80000000, v5
	ds_write_b128 v68, v[2:5] offset:8192
.LBB128_25:                             ;   in Loop: Header=BB128_7 Depth=2
	s_andn2_saveexec_b64 s[12:13], s[12:13]
	s_cbranch_execz .LBB128_31
; %bb.26:                               ;   in Loop: Header=BB128_7 Depth=2
	s_xor_b64 s[18:19], s[36:37], -1
	s_and_saveexec_b64 s[36:37], s[18:19]
	s_xor_b64 s[18:19], exec, s[36:37]
	s_cbranch_execz .LBB128_28
; %bb.27:                               ;   in Loop: Header=BB128_7 Depth=2
	v_mov_b32_e32 v2, v0
	v_mov_b32_e32 v3, v0
	;; [unrolled: 1-line block ×4, first 2 shown]
	ds_write_b128 v68, v[2:5] offset:8192
.LBB128_28:                             ;   in Loop: Header=BB128_7 Depth=2
	s_andn2_saveexec_b64 s[18:19], s[18:19]
	s_cbranch_execz .LBB128_30
; %bb.29:                               ;   in Loop: Header=BB128_7 Depth=2
	v_mov_b32_e32 v2, v0
	v_mov_b32_e32 v3, v0
	ds_write_b128 v68, v[0:3] offset:8192
.LBB128_30:                             ;   in Loop: Header=BB128_7 Depth=2
	s_or_b64 exec, exec, s[18:19]
.LBB128_31:                             ;   in Loop: Header=BB128_7 Depth=2
	s_or_b64 exec, exec, s[12:13]
	s_or_b64 s[10:11], s[8:9], s[10:11]
	s_or_b64 s[10:11], s[10:11], s[26:27]
	s_or_b64 s[10:11], s[14:15], s[10:11]
	s_xor_b64 s[10:11], s[10:11], -1
	s_and_saveexec_b64 s[12:13], s[10:11]
	s_xor_b64 s[12:13], exec, s[12:13]
	s_cbranch_execz .LBB128_33
; %bb.32:                               ;   in Loop: Header=BB128_7 Depth=2
	v_add_co_u32_e64 v2, s[10:11], v46, v38
	v_addc_co_u32_e64 v3, s[10:11], v47, v39, s[10:11]
	global_load_dwordx4 v[2:5], v[2:3], off offset:256
	s_waitcnt vmcnt(0)
	v_xor_b32_e32 v5, 0x80000000, v5
	ds_write_b128 v68, v[2:5] offset:8448
.LBB128_33:                             ;   in Loop: Header=BB128_7 Depth=2
	s_andn2_saveexec_b64 s[10:11], s[12:13]
	s_cbranch_execz .LBB128_39
; %bb.34:                               ;   in Loop: Header=BB128_7 Depth=2
	s_and_saveexec_b64 s[12:13], s[24:25]
	s_xor_b64 s[12:13], exec, s[12:13]
	s_cbranch_execz .LBB128_36
; %bb.35:                               ;   in Loop: Header=BB128_7 Depth=2
	v_mov_b32_e32 v2, v0
	v_mov_b32_e32 v3, v0
	;; [unrolled: 1-line block ×4, first 2 shown]
	ds_write_b128 v68, v[2:5] offset:8448
.LBB128_36:                             ;   in Loop: Header=BB128_7 Depth=2
	s_andn2_saveexec_b64 s[12:13], s[12:13]
	s_cbranch_execz .LBB128_38
; %bb.37:                               ;   in Loop: Header=BB128_7 Depth=2
	v_mov_b32_e32 v2, v0
	v_mov_b32_e32 v3, v0
	ds_write_b128 v68, v[0:3] offset:8448
.LBB128_38:                             ;   in Loop: Header=BB128_7 Depth=2
	s_or_b64 exec, exec, s[12:13]
.LBB128_39:                             ;   in Loop: Header=BB128_7 Depth=2
	s_or_b64 exec, exec, s[10:11]
	v_mov_b32_e32 v3, s21
	v_add_co_u32_e64 v2, s[10:11], s20, v14
	v_addc_co_u32_e64 v3, s[10:11], 0, v3, s[10:11]
	v_add_co_u32_e64 v4, s[10:11], v50, v24
	v_addc_co_u32_e64 v5, s[10:11], v51, v25, s[10:11]
	v_cmp_le_i64_e64 s[10:11], s[46:47], v[2:3]
	s_or_b64 s[12:13], s[10:11], vcc
	s_xor_b64 s[12:13], s[12:13], -1
	s_and_saveexec_b64 s[14:15], s[12:13]
	s_xor_b64 s[12:13], exec, s[14:15]
	s_cbranch_execz .LBB128_41
; %bb.40:                               ;   in Loop: Header=BB128_7 Depth=2
	global_load_dwordx4 v[6:9], v[4:5], off offset:-256
	s_waitcnt vmcnt(0)
	ds_write2_b64 v70, v[6:7], v[8:9] offset1:1
.LBB128_41:                             ;   in Loop: Header=BB128_7 Depth=2
	s_andn2_saveexec_b64 s[12:13], s[12:13]
	s_cbranch_execz .LBB128_43
; %bb.42:                               ;   in Loop: Header=BB128_7 Depth=2
	v_mov_b32_e32 v6, v0
	v_mov_b32_e32 v7, v0
	;; [unrolled: 1-line block ×4, first 2 shown]
	ds_write_b128 v70, v[6:9]
.LBB128_43:                             ;   in Loop: Header=BB128_7 Depth=2
	s_or_b64 exec, exec, s[12:13]
	s_or_b64 s[10:11], s[10:11], s[0:1]
	s_xor_b64 s[10:11], s[10:11], -1
	s_and_saveexec_b64 s[12:13], s[10:11]
	s_xor_b64 s[10:11], exec, s[12:13]
	s_cbranch_execz .LBB128_45
; %bb.44:                               ;   in Loop: Header=BB128_7 Depth=2
	global_load_dwordx4 v[4:7], v[4:5], off
	s_waitcnt vmcnt(0)
	ds_write2_b64 v71, v[4:5], v[6:7] offset1:1
.LBB128_45:                             ;   in Loop: Header=BB128_7 Depth=2
	s_andn2_saveexec_b64 s[10:11], s[10:11]
	s_cbranch_execz .LBB128_47
; %bb.46:                               ;   in Loop: Header=BB128_7 Depth=2
	v_mov_b32_e32 v4, v0
	v_mov_b32_e32 v5, v0
	;; [unrolled: 1-line block ×4, first 2 shown]
	ds_write_b128 v71, v[4:7]
.LBB128_47:                             ;   in Loop: Header=BB128_7 Depth=2
	s_or_b64 exec, exec, s[10:11]
	v_cmp_le_i64_e64 s[10:11], s[42:43], v[2:3]
	s_or_b64 s[12:13], s[10:11], vcc
	s_xor_b64 s[12:13], s[12:13], -1
	s_and_saveexec_b64 s[14:15], s[12:13]
	s_xor_b64 s[14:15], exec, s[14:15]
	s_cbranch_execz .LBB128_49
; %bb.48:                               ;   in Loop: Header=BB128_7 Depth=2
	v_add_co_u32_e64 v2, s[12:13], v50, v30
	v_addc_co_u32_e64 v3, s[12:13], v51, v15, s[12:13]
	global_load_dwordx4 v[2:5], v[2:3], off offset:-256
	s_waitcnt vmcnt(0)
	ds_write2_b64 v72, v[2:3], v[4:5] offset1:1
.LBB128_49:                             ;   in Loop: Header=BB128_7 Depth=2
	s_andn2_saveexec_b64 s[12:13], s[14:15]
	s_cbranch_execz .LBB128_51
; %bb.50:                               ;   in Loop: Header=BB128_7 Depth=2
	v_mov_b32_e32 v2, v0
	v_mov_b32_e32 v3, v0
	;; [unrolled: 1-line block ×4, first 2 shown]
	ds_write_b128 v72, v[2:5]
.LBB128_51:                             ;   in Loop: Header=BB128_7 Depth=2
	s_or_b64 exec, exec, s[12:13]
	s_or_b64 s[10:11], s[10:11], s[0:1]
	s_xor_b64 s[10:11], s[10:11], -1
	s_and_saveexec_b64 s[12:13], s[10:11]
	s_xor_b64 s[12:13], exec, s[12:13]
	s_cbranch_execz .LBB128_53
; %bb.52:                               ;   in Loop: Header=BB128_7 Depth=2
	v_add_co_u32_e64 v2, s[10:11], v50, v30
	v_addc_co_u32_e64 v3, s[10:11], v51, v15, s[10:11]
	global_load_dwordx4 v[2:5], v[2:3], off
	s_waitcnt vmcnt(0)
	ds_write2_b64 v73, v[2:3], v[4:5] offset1:1
.LBB128_53:                             ;   in Loop: Header=BB128_7 Depth=2
	s_andn2_saveexec_b64 s[10:11], s[12:13]
	s_cbranch_execz .LBB128_6
; %bb.54:                               ;   in Loop: Header=BB128_7 Depth=2
	v_mov_b32_e32 v2, v0
	v_mov_b32_e32 v3, v0
	;; [unrolled: 1-line block ×4, first 2 shown]
	ds_write_b128 v73, v[2:5]
	s_branch .LBB128_6
.LBB128_55:                             ;   in Loop: Header=BB128_4 Depth=1
	v_mul_lo_u32 v4, v35, s48
	v_mul_lo_u32 v5, v34, s49
	v_mad_u64_u32 v[2:3], s[10:11], v34, s48, 0
	v_add3_u32 v3, v3, v5, v4
	v_lshlrev_b64 v[2:3], 4, v[2:3]
	v_mov_b32_e32 v4, s51
	v_add_co_u32_e64 v2, s[10:11], s50, v2
	v_cmp_gt_i32_e64 s[8:9], s46, v34
	v_addc_co_u32_e64 v3, s[10:11], v4, v3, s[10:11]
	s_and_b64 s[10:11], s[2:3], s[8:9]
	s_and_saveexec_b64 s[12:13], s[10:11]
	s_cbranch_execz .LBB128_57
; %bb.56:                               ;   in Loop: Header=BB128_4 Depth=1
	v_add_co_u32_e64 v8, s[10:11], v2, v26
	v_addc_co_u32_e64 v9, s[10:11], v3, v27, s[10:11]
	global_load_dwordx4 v[4:7], v[8:9], off
	v_mul_f64 v[10:11], s[30:31], v[66:67]
	v_mul_f64 v[12:13], s[28:29], v[66:67]
	v_fma_f64 v[10:11], s[28:29], v[64:65], -v[10:11]
	v_fmac_f64_e32 v[12:13], s[30:31], v[64:65]
	s_waitcnt vmcnt(0)
	v_add_f64 v[4:5], v[4:5], v[10:11]
	v_add_f64 v[6:7], v[6:7], v[12:13]
	global_store_dwordx4 v[8:9], v[4:7], off
.LBB128_57:                             ;   in Loop: Header=BB128_4 Depth=1
	s_or_b64 exec, exec, s[12:13]
	s_and_b64 s[8:9], s[4:5], s[8:9]
	s_and_saveexec_b64 s[10:11], s[8:9]
	s_cbranch_execz .LBB128_59
; %bb.58:                               ;   in Loop: Header=BB128_4 Depth=1
	v_lshlrev_b64 v[4:5], 4, v[20:21]
	v_add_co_u32_e64 v6, s[8:9], v2, v4
	v_addc_co_u32_e64 v7, s[8:9], v3, v5, s[8:9]
	global_load_dwordx4 v[2:5], v[6:7], off
	v_mul_f64 v[8:9], s[30:31], v[62:63]
	v_mul_f64 v[10:11], s[28:29], v[62:63]
	v_fma_f64 v[8:9], s[28:29], v[58:59], -v[8:9]
	v_fmac_f64_e32 v[10:11], s[30:31], v[58:59]
	s_waitcnt vmcnt(0)
	v_add_f64 v[2:3], v[2:3], v[8:9]
	v_add_f64 v[4:5], v[4:5], v[10:11]
	global_store_dwordx4 v[6:7], v[2:5], off
.LBB128_59:                             ;   in Loop: Header=BB128_4 Depth=1
	s_or_b64 exec, exec, s[10:11]
	v_add_u32_e32 v2, 16, v34
	v_ashrrev_i32_e32 v3, 31, v2
	v_cmp_gt_i32_e64 s[8:9], s46, v2
	v_mul_lo_u32 v4, v3, s48
	v_mul_lo_u32 v5, v2, s49
	v_mad_u64_u32 v[2:3], s[10:11], v2, s48, 0
	v_add3_u32 v3, v3, v5, v4
	v_lshlrev_b64 v[2:3], 4, v[2:3]
	v_mov_b32_e32 v4, s51
	v_add_co_u32_e64 v2, s[10:11], s50, v2
	v_addc_co_u32_e64 v3, s[10:11], v4, v3, s[10:11]
	s_and_b64 s[10:11], s[2:3], s[8:9]
	s_and_saveexec_b64 s[12:13], s[10:11]
	s_cbranch_execz .LBB128_61
; %bb.60:                               ;   in Loop: Header=BB128_4 Depth=1
	v_add_co_u32_e64 v8, s[10:11], v2, v26
	v_addc_co_u32_e64 v9, s[10:11], v3, v27, s[10:11]
	global_load_dwordx4 v[4:7], v[8:9], off
	v_mul_f64 v[10:11], s[30:31], v[60:61]
	v_mul_f64 v[12:13], s[28:29], v[60:61]
	v_fma_f64 v[10:11], s[28:29], v[56:57], -v[10:11]
	v_fmac_f64_e32 v[12:13], s[30:31], v[56:57]
	s_waitcnt vmcnt(0)
	v_add_f64 v[4:5], v[4:5], v[10:11]
	v_add_f64 v[6:7], v[6:7], v[12:13]
	global_store_dwordx4 v[8:9], v[4:7], off
.LBB128_61:                             ;   in Loop: Header=BB128_4 Depth=1
	s_or_b64 exec, exec, s[12:13]
	s_and_b64 s[8:9], s[4:5], s[8:9]
	s_and_saveexec_b64 s[10:11], s[8:9]
	s_cbranch_execz .LBB128_3
; %bb.62:                               ;   in Loop: Header=BB128_4 Depth=1
	v_lshlrev_b64 v[4:5], 4, v[20:21]
	v_add_co_u32_e64 v6, s[8:9], v2, v4
	v_addc_co_u32_e64 v7, s[8:9], v3, v5, s[8:9]
	global_load_dwordx4 v[2:5], v[6:7], off
	v_mul_f64 v[8:9], s[30:31], v[52:53]
	v_mul_f64 v[10:11], s[28:29], v[52:53]
	v_fma_f64 v[8:9], s[28:29], v[54:55], -v[8:9]
	v_fmac_f64_e32 v[10:11], s[30:31], v[54:55]
	s_waitcnt vmcnt(0)
	v_add_f64 v[2:3], v[2:3], v[8:9]
	v_add_f64 v[4:5], v[4:5], v[10:11]
	global_store_dwordx4 v[6:7], v[2:5], off
	s_branch .LBB128_3
.LBB128_63:
	s_endpgm
	.section	.rodata,"a",@progbits
	.p2align	6, 0x0
	.amdhsa_kernel _ZL30rocblas_trmm_outofplace_kernelI19rocblas_complex_numIdELi32ELi2ELb0ELb0ELb1ELb1EPKS1_S2_S1_Ev17rocblas_diagonal_iiT6_lPT7_lllS7_lllPT8_llli
		.amdhsa_group_segment_fixed_size 32768
		.amdhsa_private_segment_fixed_size 0
		.amdhsa_kernarg_size 392
		.amdhsa_user_sgpr_count 6
		.amdhsa_user_sgpr_private_segment_buffer 1
		.amdhsa_user_sgpr_dispatch_ptr 0
		.amdhsa_user_sgpr_queue_ptr 0
		.amdhsa_user_sgpr_kernarg_segment_ptr 1
		.amdhsa_user_sgpr_dispatch_id 0
		.amdhsa_user_sgpr_flat_scratch_init 0
		.amdhsa_user_sgpr_kernarg_preload_length 0
		.amdhsa_user_sgpr_kernarg_preload_offset 0
		.amdhsa_user_sgpr_private_segment_size 0
		.amdhsa_uses_dynamic_stack 0
		.amdhsa_system_sgpr_private_segment_wavefront_offset 0
		.amdhsa_system_sgpr_workgroup_id_x 1
		.amdhsa_system_sgpr_workgroup_id_y 1
		.amdhsa_system_sgpr_workgroup_id_z 1
		.amdhsa_system_sgpr_workgroup_info 0
		.amdhsa_system_vgpr_workitem_id 1
		.amdhsa_next_free_vgpr 94
		.amdhsa_next_free_sgpr 53
		.amdhsa_accum_offset 96
		.amdhsa_reserve_vcc 1
		.amdhsa_reserve_flat_scratch 0
		.amdhsa_float_round_mode_32 0
		.amdhsa_float_round_mode_16_64 0
		.amdhsa_float_denorm_mode_32 3
		.amdhsa_float_denorm_mode_16_64 3
		.amdhsa_dx10_clamp 1
		.amdhsa_ieee_mode 1
		.amdhsa_fp16_overflow 0
		.amdhsa_tg_split 0
		.amdhsa_exception_fp_ieee_invalid_op 0
		.amdhsa_exception_fp_denorm_src 0
		.amdhsa_exception_fp_ieee_div_zero 0
		.amdhsa_exception_fp_ieee_overflow 0
		.amdhsa_exception_fp_ieee_underflow 0
		.amdhsa_exception_fp_ieee_inexact 0
		.amdhsa_exception_int_div_zero 0
	.end_amdhsa_kernel
	.section	.text._ZL30rocblas_trmm_outofplace_kernelI19rocblas_complex_numIdELi32ELi2ELb0ELb0ELb1ELb1EPKS1_S2_S1_Ev17rocblas_diagonal_iiT6_lPT7_lllS7_lllPT8_llli,"axG",@progbits,_ZL30rocblas_trmm_outofplace_kernelI19rocblas_complex_numIdELi32ELi2ELb0ELb0ELb1ELb1EPKS1_S2_S1_Ev17rocblas_diagonal_iiT6_lPT7_lllS7_lllPT8_llli,comdat
.Lfunc_end128:
	.size	_ZL30rocblas_trmm_outofplace_kernelI19rocblas_complex_numIdELi32ELi2ELb0ELb0ELb1ELb1EPKS1_S2_S1_Ev17rocblas_diagonal_iiT6_lPT7_lllS7_lllPT8_llli, .Lfunc_end128-_ZL30rocblas_trmm_outofplace_kernelI19rocblas_complex_numIdELi32ELi2ELb0ELb0ELb1ELb1EPKS1_S2_S1_Ev17rocblas_diagonal_iiT6_lPT7_lllS7_lllPT8_llli
                                        ; -- End function
	.section	.AMDGPU.csdata,"",@progbits
; Kernel info:
; codeLenInByte = 9760
; NumSgprs: 57
; NumVgprs: 94
; NumAgprs: 0
; TotalNumVgprs: 94
; ScratchSize: 0
; MemoryBound: 0
; FloatMode: 240
; IeeeMode: 1
; LDSByteSize: 32768 bytes/workgroup (compile time only)
; SGPRBlocks: 7
; VGPRBlocks: 11
; NumSGPRsForWavesPerEU: 57
; NumVGPRsForWavesPerEU: 94
; AccumOffset: 96
; Occupancy: 5
; WaveLimiterHint : 0
; COMPUTE_PGM_RSRC2:SCRATCH_EN: 0
; COMPUTE_PGM_RSRC2:USER_SGPR: 6
; COMPUTE_PGM_RSRC2:TRAP_HANDLER: 0
; COMPUTE_PGM_RSRC2:TGID_X_EN: 1
; COMPUTE_PGM_RSRC2:TGID_Y_EN: 1
; COMPUTE_PGM_RSRC2:TGID_Z_EN: 1
; COMPUTE_PGM_RSRC2:TIDIG_COMP_CNT: 1
; COMPUTE_PGM_RSRC3_GFX90A:ACCUM_OFFSET: 23
; COMPUTE_PGM_RSRC3_GFX90A:TG_SPLIT: 0
	.section	.text._ZL30rocblas_trmm_outofplace_kernelI19rocblas_complex_numIdELi32ELi2ELb0ELb0ELb1ELb1ES1_KS1_S1_Ev17rocblas_diagonal_iiT6_lPT7_lllS6_lllPT8_llli,"axG",@progbits,_ZL30rocblas_trmm_outofplace_kernelI19rocblas_complex_numIdELi32ELi2ELb0ELb0ELb1ELb1ES1_KS1_S1_Ev17rocblas_diagonal_iiT6_lPT7_lllS6_lllPT8_llli,comdat
	.globl	_ZL30rocblas_trmm_outofplace_kernelI19rocblas_complex_numIdELi32ELi2ELb0ELb0ELb1ELb1ES1_KS1_S1_Ev17rocblas_diagonal_iiT6_lPT7_lllS6_lllPT8_llli ; -- Begin function _ZL30rocblas_trmm_outofplace_kernelI19rocblas_complex_numIdELi32ELi2ELb0ELb0ELb1ELb1ES1_KS1_S1_Ev17rocblas_diagonal_iiT6_lPT7_lllS6_lllPT8_llli
	.p2align	8
	.type	_ZL30rocblas_trmm_outofplace_kernelI19rocblas_complex_numIdELi32ELi2ELb0ELb0ELb1ELb1ES1_KS1_S1_Ev17rocblas_diagonal_iiT6_lPT7_lllS6_lllPT8_llli,@function
_ZL30rocblas_trmm_outofplace_kernelI19rocblas_complex_numIdELi32ELi2ELb0ELb0ELb1ELb1ES1_KS1_S1_Ev17rocblas_diagonal_iiT6_lPT7_lllS6_lllPT8_llli: ; @_ZL30rocblas_trmm_outofplace_kernelI19rocblas_complex_numIdELi32ELi2ELb0ELb0ELb1ELb1ES1_KS1_S1_Ev17rocblas_diagonal_iiT6_lPT7_lllS6_lllPT8_llli
; %bb.0:
	s_load_dwordx4 s[28:31], s[4:5], 0x10
	s_waitcnt lgkmcnt(0)
	v_cmp_eq_f64_e64 s[0:1], s[28:29], 0
	v_cmp_eq_f64_e64 s[2:3], s[30:31], 0
	s_and_b64 s[0:1], s[0:1], s[2:3]
	s_and_b64 vcc, exec, s[0:1]
	s_cbranch_vccnz .LBB129_63
; %bb.1:
	s_load_dwordx4 s[44:47], s[4:5], 0x0
	s_waitcnt lgkmcnt(0)
	s_add_i32 s0, s46, -1
	s_ashr_i32 s1, s0, 31
	s_lshr_b32 s1, s1, 27
	s_add_i32 s0, s0, s1
	s_ashr_i32 s33, s0, 5
	s_cmp_gt_i32 s7, s33
	s_cbranch_scc1 .LBB129_63
; %bb.2:
	s_load_dwordx16 s[12:27], s[4:5], 0x28
	s_load_dwordx8 s[36:43], s[4:5], 0x68
	v_and_b32_e32 v16, 0x3ff, v0
	v_lshl_add_u32 v2, s6, 5, v16
	v_ashrrev_i32_e32 v3, 31, v2
	s_waitcnt lgkmcnt(0)
	s_mul_i32 s1, s8, s19
	s_mul_hi_u32 s2, s8, s18
	s_mul_i32 s0, s8, s18
	s_add_i32 s1, s2, s1
	s_lshl_b64 s[18:19], s[0:1], 4
	s_add_u32 s0, s12, s18
	s_addc_u32 s1, s13, s19
	s_lshl_b64 s[14:15], s[14:15], 4
	s_add_u32 s2, s0, s14
	s_addc_u32 s3, s1, s15
	s_mul_i32 s0, s8, s43
	s_mul_hi_u32 s1, s8, s42
	s_add_i32 s1, s1, s0
	s_mul_i32 s0, s8, s42
	s_lshl_b64 s[0:1], s[0:1], 4
	s_add_u32 s9, s36, s0
	s_addc_u32 s10, s37, s1
	s_lshl_b64 s[0:1], s[38:39], 4
	s_add_u32 s48, s9, s0
	s_addc_u32 s49, s10, s1
	v_mad_u64_u32 v[4:5], s[0:1], v16, s16, 0
	v_mov_b32_e32 v6, v5
	v_mad_u64_u32 v[6:7], s[0:1], v16, s17, v[6:7]
	v_mov_b32_e32 v5, v6
	v_lshlrev_b64 v[4:5], 4, v[4:5]
	v_mov_b32_e32 v1, s3
	v_add_co_u32_e32 v18, vcc, s2, v4
	s_cmpk_eq_i32 s44, 0x84
	v_addc_co_u32_e32 v19, vcc, v1, v5, vcc
	s_cselect_b64 s[34:35], -1, 0
	s_ashr_i32 s0, s45, 31
	v_mov_b32_e32 v1, s0
	v_sub_co_u32_e32 v4, vcc, s45, v2
	v_bfe_u32 v14, v0, 10, 10
	v_subb_co_u32_e32 v5, vcc, v1, v3, vcc
	v_sub_co_u32_e64 v75, s[10:11], 0, v16
	s_load_dword s6, s[4:5], 0x94
	v_cmp_gt_i64_e32 vcc, 1, v[4:5]
	v_cmp_gt_i64_e64 s[0:1], 17, v[4:5]
	v_subb_co_u32_e64 v76, s[10:11], 0, 0, s[10:11]
	v_mad_u64_u32 v[4:5], s[10:11], s24, v14, 0
	v_mov_b32_e32 v6, v5
	s_ashr_i32 s47, s46, 31
	s_lshl_b64 s[36:37], s[16:17], 9
	s_lshl_b64 s[38:39], s[24:25], 9
	v_mad_u64_u32 v[6:7], s[10:11], s25, v14, v[6:7]
	s_add_u32 s42, s46, -16
	s_mul_i32 s9, s27, s8
	s_mul_hi_u32 s10, s26, s8
	s_addc_u32 s43, s47, -1
	s_add_i32 s9, s10, s9
	s_mul_i32 s8, s26, s8
	s_waitcnt lgkmcnt(0)
	s_lshl_b32 s50, s6, 5
	s_lshl_b64 s[8:9], s[8:9], 4
	s_lshl_b64 s[10:11], s[22:23], 4
	s_add_u32 s8, s8, s10
	s_addc_u32 s9, s9, s11
	s_add_u32 s8, s20, s8
	v_lshlrev_b64 v[26:27], 4, v[2:3]
	s_addc_u32 s9, s21, s9
	v_cmp_gt_i32_e64 s[2:3], s45, v2
	v_add_u32_e32 v20, 16, v2
	v_mov_b32_e32 v2, s9
	v_add_co_u32_e64 v3, s[8:9], s8, v26
	s_movk_i32 s44, 0x100
	v_addc_co_u32_e64 v2, s[8:9], v2, v27, s[8:9]
	v_add_co_u32_e64 v28, s[8:9], s44, v3
	v_addc_co_u32_e64 v29, s[8:9], 0, v2, s[8:9]
	v_mov_b32_e32 v2, 0x100
	v_lshl_add_u32 v3, v14, 4, v2
	v_mad_u64_u32 v[30:31], s[8:9], s24, v3, 0
	v_mov_b32_e32 v2, v31
	v_mad_u64_u32 v[2:3], s[8:9], s25, v3, v[2:3]
	s_add_u32 s8, s12, s14
	s_addc_u32 s9, s13, s15
	s_add_u32 s8, s8, s18
	v_lshlrev_b32_e32 v1, 4, v16
	v_lshlrev_b32_e32 v17, 9, v14
	s_addc_u32 s9, s9, s19
	v_add_u32_e32 v68, v17, v1
	v_or_b32_e32 v69, 0x4000, v1
	v_add_u32_e32 v74, 0x4100, v1
	v_mov_b32_e32 v15, v2
	v_add_u32_e32 v1, 0x100, v1
	v_pk_mov_b32 v[2:3], s[8:9], s[8:9] op_sel:[0,1]
	v_mad_u64_u32 v[32:33], s[8:9], s16, v1, v[2:3]
	v_mov_b32_e32 v2, v33
	v_add_u32_e32 v70, v69, v17
	v_mov_b32_e32 v5, v6
	v_mad_u64_u32 v[2:3], s[8:9], s17, v1, v[2:3]
	v_mov_b32_e32 v0, 0
	v_add_u32_e32 v71, 0x100, v70
	v_add_u32_e32 v72, 0x2000, v70
	;; [unrolled: 1-line block ×3, first 2 shown]
	v_cmp_gt_i32_e64 s[4:5], s45, v20
	v_ashrrev_i32_e32 v21, 31, v20
	v_lshl_add_u32 v22, s7, 5, v14
	v_lshlrev_b64 v[24:25], 4, v[4:5]
	v_mov_b32_e32 v33, v2
	v_mov_b32_e32 v1, 0x3ff00000
	s_branch .LBB129_4
.LBB129_3:                              ;   in Loop: Header=BB129_4 Depth=1
	s_or_b64 exec, exec, s[10:11]
	s_add_i32 s7, s6, s7
	s_cmp_le_i32 s7, s33
	v_add_u32_e32 v22, s50, v22
	s_cbranch_scc0 .LBB129_63
.LBB129_4:                              ; =>This Loop Header: Depth=1
                                        ;     Child Loop BB129_7 Depth 2
	s_lshl_b32 s51, s7, 5
	v_add_u32_e32 v34, s51, v14
	v_pk_mov_b32 v[64:65], 0, 0
	v_ashrrev_i32_e32 v35, 31, v34
	s_cmp_lt_i32 s7, 0
	v_pk_mov_b32 v[66:67], v[64:65], v[64:65] op_sel:[0,1]
	v_pk_mov_b32 v[58:59], v[64:65], v[64:65] op_sel:[0,1]
	;; [unrolled: 1-line block ×7, first 2 shown]
	s_cbranch_scc1 .LBB129_55
; %bb.5:                                ;   in Loop: Header=BB129_4 Depth=1
	v_ashrrev_i32_e32 v23, 31, v22
	v_add_co_u32_e64 v36, s[8:9], v75, v22
	v_addc_co_u32_e64 v37, s[8:9], v76, v23, s[8:9]
	v_add_co_u32_e64 v42, s[10:11], 16, v36
	v_add_co_u32_e64 v40, s[8:9], 16, v34
	v_addc_co_u32_e64 v43, s[10:11], 0, v37, s[10:11]
	v_addc_co_u32_e64 v41, s[8:9], 0, v35, s[8:9]
	v_add_co_u32_e64 v44, s[10:11], -16, v36
	v_pk_mov_b32 v[52:53], 0, 0
	v_lshlrev_b64 v[38:39], 4, v[22:23]
	v_cmp_le_i32_e64 s[16:17], s46, v34
	v_cmp_le_i64_e64 s[8:9], s[46:47], v[40:41]
	v_addc_co_u32_e64 v45, s[10:11], -1, v37, s[10:11]
	s_mov_b64 s[20:21], 0
	v_pk_mov_b32 v[46:47], v[32:33], v[32:33] op_sel:[0,1]
	v_pk_mov_b32 v[48:49], v[18:19], v[18:19] op_sel:[0,1]
	;; [unrolled: 1-line block ×10, first 2 shown]
	s_branch .LBB129_7
.LBB129_6:                              ;   in Loop: Header=BB129_7 Depth=2
	s_or_b64 exec, exec, s[10:11]
	s_waitcnt lgkmcnt(0)
	s_barrier
	ds_read_b128 v[78:81], v17
	ds_read_b128 v[10:13], v17 offset:16
	ds_read_b128 v[6:9], v17 offset:32
	;; [unrolled: 1-line block ×3, first 2 shown]
	ds_read_b128 v[82:85], v69
	v_add_co_u32_e64 v50, s[10:11], s38, v50
	s_add_u32 s20, s20, 32
	s_addc_u32 s21, s21, 0
	s_waitcnt lgkmcnt(0)
	v_mul_f64 v[86:87], v[80:81], v[84:85]
	v_mul_f64 v[88:89], v[78:79], v[84:85]
	v_fma_f64 v[86:87], v[78:79], v[82:83], -v[86:87]
	v_fmac_f64_e32 v[88:89], v[80:81], v[82:83]
	v_add_f64 v[86:87], v[64:65], v[86:87]
	v_add_f64 v[88:89], v[66:67], v[88:89]
	ds_read_b128 v[64:67], v74
	s_sub_i32 s12, s20, 32
	s_cmp_ge_i32 s12, s51
	s_waitcnt lgkmcnt(0)
	v_mul_f64 v[90:91], v[80:81], v[66:67]
	v_fma_f64 v[90:91], v[78:79], v[64:65], -v[90:91]
	v_mul_f64 v[78:79], v[78:79], v[66:67]
	v_fmac_f64_e32 v[78:79], v[80:81], v[64:65]
	v_add_f64 v[92:93], v[62:63], v[78:79]
	ds_read_b128 v[78:81], v17 offset:8192
	v_add_f64 v[90:91], v[58:59], v[90:91]
	s_waitcnt lgkmcnt(0)
	v_mul_f64 v[58:59], v[80:81], v[84:85]
	v_mul_f64 v[62:63], v[78:79], v[84:85]
	v_fma_f64 v[58:59], v[78:79], v[82:83], -v[58:59]
	v_fmac_f64_e32 v[62:63], v[80:81], v[82:83]
	v_add_f64 v[56:57], v[56:57], v[58:59]
	v_add_f64 v[58:59], v[60:61], v[62:63]
	v_mul_f64 v[60:61], v[80:81], v[66:67]
	v_mul_f64 v[62:63], v[78:79], v[66:67]
	v_fma_f64 v[60:61], v[78:79], v[64:65], -v[60:61]
	v_fmac_f64_e32 v[62:63], v[80:81], v[64:65]
	v_add_f64 v[54:55], v[54:55], v[60:61]
	v_add_f64 v[52:53], v[52:53], v[62:63]
	ds_read_b128 v[60:63], v69 offset:512
	s_waitcnt lgkmcnt(0)
	v_mul_f64 v[64:65], v[12:13], v[62:63]
	v_mul_f64 v[66:67], v[10:11], v[62:63]
	v_fma_f64 v[64:65], v[10:11], v[60:61], -v[64:65]
	v_fmac_f64_e32 v[66:67], v[12:13], v[60:61]
	v_add_f64 v[78:79], v[86:87], v[64:65]
	v_add_f64 v[80:81], v[88:89], v[66:67]
	ds_read_b128 v[64:67], v74 offset:512
	s_waitcnt lgkmcnt(0)
	v_mul_f64 v[82:83], v[12:13], v[66:67]
	v_fma_f64 v[82:83], v[10:11], v[64:65], -v[82:83]
	v_mul_f64 v[10:11], v[10:11], v[66:67]
	v_fmac_f64_e32 v[10:11], v[12:13], v[64:65]
	v_add_f64 v[84:85], v[92:93], v[10:11]
	ds_read_b128 v[10:13], v17 offset:8208
	v_add_f64 v[82:83], v[90:91], v[82:83]
	s_waitcnt lgkmcnt(0)
	v_mul_f64 v[86:87], v[12:13], v[62:63]
	v_mul_f64 v[62:63], v[10:11], v[62:63]
	v_fma_f64 v[86:87], v[10:11], v[60:61], -v[86:87]
	v_fmac_f64_e32 v[62:63], v[12:13], v[60:61]
	v_mul_f64 v[60:61], v[12:13], v[66:67]
	v_fma_f64 v[60:61], v[10:11], v[64:65], -v[60:61]
	v_mul_f64 v[10:11], v[10:11], v[66:67]
	v_fmac_f64_e32 v[10:11], v[12:13], v[64:65]
	v_add_f64 v[58:59], v[58:59], v[62:63]
	v_add_f64 v[62:63], v[52:53], v[10:11]
	ds_read_b128 v[10:13], v69 offset:1024
	v_add_f64 v[60:61], v[54:55], v[60:61]
	v_add_f64 v[56:57], v[56:57], v[86:87]
	s_waitcnt lgkmcnt(0)
	v_mul_f64 v[52:53], v[8:9], v[12:13]
	v_mul_f64 v[54:55], v[6:7], v[12:13]
	v_fma_f64 v[52:53], v[6:7], v[10:11], -v[52:53]
	v_fmac_f64_e32 v[54:55], v[8:9], v[10:11]
	v_add_f64 v[64:65], v[78:79], v[52:53]
	v_add_f64 v[66:67], v[80:81], v[54:55]
	ds_read_b128 v[52:55], v74 offset:1024
	s_waitcnt lgkmcnt(0)
	v_mul_f64 v[78:79], v[8:9], v[54:55]
	v_fma_f64 v[78:79], v[6:7], v[52:53], -v[78:79]
	v_mul_f64 v[6:7], v[6:7], v[54:55]
	v_fmac_f64_e32 v[6:7], v[8:9], v[52:53]
	v_add_f64 v[80:81], v[84:85], v[6:7]
	ds_read_b128 v[6:9], v17 offset:8224
	v_add_f64 v[78:79], v[82:83], v[78:79]
	s_waitcnt lgkmcnt(0)
	v_mul_f64 v[82:83], v[8:9], v[12:13]
	v_fma_f64 v[82:83], v[6:7], v[10:11], -v[82:83]
	v_mul_f64 v[12:13], v[6:7], v[12:13]
	v_fmac_f64_e32 v[12:13], v[8:9], v[10:11]
	v_add_f64 v[10:11], v[56:57], v[82:83]
	v_mul_f64 v[56:57], v[8:9], v[54:55]
	v_mul_f64 v[54:55], v[6:7], v[54:55]
	v_fmac_f64_e32 v[54:55], v[8:9], v[52:53]
	v_fma_f64 v[56:57], v[6:7], v[52:53], -v[56:57]
	v_add_f64 v[8:9], v[62:63], v[54:55]
	ds_read_b128 v[52:55], v69 offset:1536
	v_add_f64 v[12:13], v[58:59], v[12:13]
	v_add_f64 v[6:7], v[60:61], v[56:57]
	s_waitcnt lgkmcnt(0)
	v_mul_f64 v[56:57], v[4:5], v[54:55]
	v_mul_f64 v[58:59], v[2:3], v[54:55]
	v_fma_f64 v[56:57], v[2:3], v[52:53], -v[56:57]
	v_fmac_f64_e32 v[58:59], v[4:5], v[52:53]
	v_add_f64 v[60:61], v[64:65], v[56:57]
	v_add_f64 v[62:63], v[66:67], v[58:59]
	ds_read_b128 v[56:59], v74 offset:1536
	s_waitcnt lgkmcnt(0)
	v_mul_f64 v[64:65], v[4:5], v[58:59]
	v_fma_f64 v[64:65], v[2:3], v[56:57], -v[64:65]
	v_mul_f64 v[2:3], v[2:3], v[58:59]
	v_fmac_f64_e32 v[2:3], v[4:5], v[56:57]
	v_add_f64 v[66:67], v[80:81], v[2:3]
	ds_read_b128 v[2:5], v17 offset:8240
	v_add_f64 v[64:65], v[78:79], v[64:65]
	s_waitcnt lgkmcnt(0)
	v_mul_f64 v[78:79], v[4:5], v[54:55]
	v_fma_f64 v[78:79], v[2:3], v[52:53], -v[78:79]
	v_mul_f64 v[54:55], v[2:3], v[54:55]
	v_fmac_f64_e32 v[54:55], v[4:5], v[52:53]
	v_add_f64 v[52:53], v[10:11], v[78:79]
	v_mul_f64 v[10:11], v[4:5], v[58:59]
	v_fma_f64 v[10:11], v[2:3], v[56:57], -v[10:11]
	v_mul_f64 v[2:3], v[2:3], v[58:59]
	v_fmac_f64_e32 v[2:3], v[4:5], v[56:57]
	v_add_f64 v[56:57], v[6:7], v[10:11]
	v_add_f64 v[58:59], v[8:9], v[2:3]
	ds_read_b128 v[2:5], v17 offset:64
	ds_read_b128 v[6:9], v69 offset:2048
	v_add_f64 v[54:55], v[12:13], v[54:55]
	s_waitcnt lgkmcnt(0)
	v_mul_f64 v[10:11], v[4:5], v[8:9]
	v_mul_f64 v[12:13], v[2:3], v[8:9]
	v_fma_f64 v[10:11], v[2:3], v[6:7], -v[10:11]
	v_fmac_f64_e32 v[12:13], v[4:5], v[6:7]
	v_add_f64 v[60:61], v[60:61], v[10:11]
	v_add_f64 v[62:63], v[62:63], v[12:13]
	ds_read_b128 v[10:13], v74 offset:2048
	s_waitcnt lgkmcnt(0)
	v_mul_f64 v[78:79], v[4:5], v[12:13]
	v_fma_f64 v[78:79], v[2:3], v[10:11], -v[78:79]
	v_mul_f64 v[2:3], v[2:3], v[12:13]
	v_fmac_f64_e32 v[2:3], v[4:5], v[10:11]
	v_add_f64 v[66:67], v[66:67], v[2:3]
	ds_read_b128 v[2:5], v17 offset:8256
	v_add_f64 v[64:65], v[64:65], v[78:79]
	s_waitcnt lgkmcnt(0)
	v_mul_f64 v[78:79], v[4:5], v[8:9]
	v_fma_f64 v[78:79], v[2:3], v[6:7], -v[78:79]
	v_mul_f64 v[8:9], v[2:3], v[8:9]
	v_fmac_f64_e32 v[8:9], v[4:5], v[6:7]
	v_add_f64 v[6:7], v[52:53], v[78:79]
	v_mul_f64 v[52:53], v[4:5], v[12:13]
	v_mul_f64 v[12:13], v[2:3], v[12:13]
	v_fma_f64 v[52:53], v[2:3], v[10:11], -v[52:53]
	v_fmac_f64_e32 v[12:13], v[4:5], v[10:11]
	v_add_f64 v[8:9], v[54:55], v[8:9]
	v_add_f64 v[2:3], v[56:57], v[52:53]
	v_add_f64 v[4:5], v[58:59], v[12:13]
	ds_read_b128 v[10:13], v17 offset:80
	ds_read_b128 v[52:55], v69 offset:2560
	s_waitcnt lgkmcnt(0)
	v_mul_f64 v[56:57], v[12:13], v[54:55]
	v_mul_f64 v[58:59], v[10:11], v[54:55]
	v_fma_f64 v[56:57], v[10:11], v[52:53], -v[56:57]
	v_fmac_f64_e32 v[58:59], v[12:13], v[52:53]
	v_add_f64 v[60:61], v[60:61], v[56:57]
	v_add_f64 v[62:63], v[62:63], v[58:59]
	ds_read_b128 v[56:59], v74 offset:2560
	s_waitcnt lgkmcnt(0)
	v_mul_f64 v[78:79], v[12:13], v[58:59]
	v_fma_f64 v[78:79], v[10:11], v[56:57], -v[78:79]
	v_mul_f64 v[10:11], v[10:11], v[58:59]
	v_fmac_f64_e32 v[10:11], v[12:13], v[56:57]
	v_add_f64 v[66:67], v[66:67], v[10:11]
	ds_read_b128 v[10:13], v17 offset:8272
	v_add_f64 v[64:65], v[64:65], v[78:79]
	s_waitcnt lgkmcnt(0)
	v_mul_f64 v[78:79], v[12:13], v[54:55]
	v_mul_f64 v[54:55], v[10:11], v[54:55]
	v_fma_f64 v[78:79], v[10:11], v[52:53], -v[78:79]
	v_fmac_f64_e32 v[54:55], v[12:13], v[52:53]
	v_add_f64 v[52:53], v[6:7], v[78:79]
	v_add_f64 v[54:55], v[8:9], v[54:55]
	v_mul_f64 v[6:7], v[12:13], v[58:59]
	v_mul_f64 v[8:9], v[10:11], v[58:59]
	v_fma_f64 v[6:7], v[10:11], v[56:57], -v[6:7]
	v_fmac_f64_e32 v[8:9], v[12:13], v[56:57]
	v_add_f64 v[56:57], v[2:3], v[6:7]
	v_add_f64 v[58:59], v[4:5], v[8:9]
	ds_read_b128 v[2:5], v17 offset:96
	ds_read_b128 v[6:9], v69 offset:3072
	s_waitcnt lgkmcnt(0)
	v_mul_f64 v[10:11], v[4:5], v[8:9]
	v_mul_f64 v[12:13], v[2:3], v[8:9]
	v_fma_f64 v[10:11], v[2:3], v[6:7], -v[10:11]
	v_fmac_f64_e32 v[12:13], v[4:5], v[6:7]
	v_add_f64 v[60:61], v[60:61], v[10:11]
	v_add_f64 v[62:63], v[62:63], v[12:13]
	ds_read_b128 v[10:13], v74 offset:3072
	s_waitcnt lgkmcnt(0)
	v_mul_f64 v[78:79], v[4:5], v[12:13]
	v_fma_f64 v[78:79], v[2:3], v[10:11], -v[78:79]
	v_mul_f64 v[2:3], v[2:3], v[12:13]
	v_fmac_f64_e32 v[2:3], v[4:5], v[10:11]
	v_add_f64 v[66:67], v[66:67], v[2:3]
	ds_read_b128 v[2:5], v17 offset:8288
	v_add_f64 v[64:65], v[64:65], v[78:79]
	s_waitcnt lgkmcnt(0)
	v_mul_f64 v[78:79], v[4:5], v[8:9]
	v_fma_f64 v[78:79], v[2:3], v[6:7], -v[78:79]
	v_mul_f64 v[8:9], v[2:3], v[8:9]
	v_fmac_f64_e32 v[8:9], v[4:5], v[6:7]
	v_add_f64 v[6:7], v[52:53], v[78:79]
	v_mul_f64 v[52:53], v[4:5], v[12:13]
	v_mul_f64 v[12:13], v[2:3], v[12:13]
	v_fma_f64 v[52:53], v[2:3], v[10:11], -v[52:53]
	v_fmac_f64_e32 v[12:13], v[4:5], v[10:11]
	v_add_f64 v[8:9], v[54:55], v[8:9]
	v_add_f64 v[2:3], v[56:57], v[52:53]
	v_add_f64 v[4:5], v[58:59], v[12:13]
	ds_read_b128 v[10:13], v17 offset:112
	ds_read_b128 v[52:55], v69 offset:3584
	s_waitcnt lgkmcnt(0)
	v_mul_f64 v[56:57], v[12:13], v[54:55]
	v_mul_f64 v[58:59], v[10:11], v[54:55]
	v_fma_f64 v[56:57], v[10:11], v[52:53], -v[56:57]
	v_fmac_f64_e32 v[58:59], v[12:13], v[52:53]
	v_add_f64 v[60:61], v[60:61], v[56:57]
	v_add_f64 v[62:63], v[62:63], v[58:59]
	ds_read_b128 v[56:59], v74 offset:3584
	s_waitcnt lgkmcnt(0)
	v_mul_f64 v[78:79], v[12:13], v[58:59]
	v_fma_f64 v[78:79], v[10:11], v[56:57], -v[78:79]
	v_mul_f64 v[10:11], v[10:11], v[58:59]
	v_fmac_f64_e32 v[10:11], v[12:13], v[56:57]
	v_add_f64 v[66:67], v[66:67], v[10:11]
	ds_read_b128 v[10:13], v17 offset:8304
	v_add_f64 v[64:65], v[64:65], v[78:79]
	s_waitcnt lgkmcnt(0)
	v_mul_f64 v[78:79], v[12:13], v[54:55]
	v_mul_f64 v[54:55], v[10:11], v[54:55]
	v_fma_f64 v[78:79], v[10:11], v[52:53], -v[78:79]
	v_fmac_f64_e32 v[54:55], v[12:13], v[52:53]
	v_add_f64 v[52:53], v[6:7], v[78:79]
	v_add_f64 v[54:55], v[8:9], v[54:55]
	v_mul_f64 v[6:7], v[12:13], v[58:59]
	v_mul_f64 v[8:9], v[10:11], v[58:59]
	v_fma_f64 v[6:7], v[10:11], v[56:57], -v[6:7]
	v_fmac_f64_e32 v[8:9], v[12:13], v[56:57]
	v_add_f64 v[56:57], v[2:3], v[6:7]
	v_add_f64 v[58:59], v[4:5], v[8:9]
	ds_read_b128 v[2:5], v17 offset:128
	ds_read_b128 v[6:9], v69 offset:4096
	;; [unrolled: 62-line block ×13, first 2 shown]
	s_waitcnt lgkmcnt(0)
	v_mul_f64 v[10:11], v[4:5], v[8:9]
	v_mul_f64 v[12:13], v[2:3], v[8:9]
	v_fma_f64 v[10:11], v[2:3], v[6:7], -v[10:11]
	v_fmac_f64_e32 v[12:13], v[4:5], v[6:7]
	v_add_f64 v[60:61], v[60:61], v[10:11]
	v_add_f64 v[62:63], v[62:63], v[12:13]
	ds_read_b128 v[10:13], v74 offset:15360
	s_waitcnt lgkmcnt(0)
	v_mul_f64 v[78:79], v[4:5], v[12:13]
	v_fma_f64 v[78:79], v[2:3], v[10:11], -v[78:79]
	v_mul_f64 v[2:3], v[2:3], v[12:13]
	v_fmac_f64_e32 v[2:3], v[4:5], v[10:11]
	v_add_f64 v[84:85], v[66:67], v[2:3]
	ds_read_b128 v[2:5], v17 offset:8672
	v_add_f64 v[82:83], v[64:65], v[78:79]
	s_waitcnt lgkmcnt(0)
	v_mul_f64 v[64:65], v[4:5], v[8:9]
	v_fma_f64 v[64:65], v[2:3], v[6:7], -v[64:65]
	v_mul_f64 v[8:9], v[2:3], v[8:9]
	v_fmac_f64_e32 v[8:9], v[4:5], v[6:7]
	v_add_f64 v[6:7], v[52:53], v[64:65]
	v_mul_f64 v[52:53], v[4:5], v[12:13]
	v_mul_f64 v[12:13], v[2:3], v[12:13]
	v_fma_f64 v[52:53], v[2:3], v[10:11], -v[52:53]
	v_fmac_f64_e32 v[12:13], v[4:5], v[10:11]
	v_add_f64 v[8:9], v[54:55], v[8:9]
	v_add_f64 v[2:3], v[56:57], v[52:53]
	;; [unrolled: 1-line block ×3, first 2 shown]
	ds_read_b128 v[10:13], v17 offset:496
	ds_read_b128 v[52:55], v69 offset:15872
	;; [unrolled: 1-line block ×3, first 2 shown]
	s_waitcnt lgkmcnt(1)
	v_mul_f64 v[56:57], v[12:13], v[54:55]
	v_fma_f64 v[56:57], v[10:11], v[52:53], -v[56:57]
	v_add_f64 v[64:65], v[60:61], v[56:57]
	s_waitcnt lgkmcnt(0)
	v_mul_f64 v[56:57], v[12:13], v[80:81]
	v_mul_f64 v[58:59], v[10:11], v[54:55]
	v_fma_f64 v[56:57], v[10:11], v[78:79], -v[56:57]
	v_mul_f64 v[10:11], v[10:11], v[80:81]
	v_fmac_f64_e32 v[58:59], v[12:13], v[52:53]
	v_fmac_f64_e32 v[10:11], v[12:13], v[78:79]
	v_add_f64 v[66:67], v[62:63], v[58:59]
	v_add_f64 v[62:63], v[84:85], v[10:11]
	ds_read_b128 v[10:13], v17 offset:8688
	v_add_f64 v[58:59], v[82:83], v[56:57]
	s_waitcnt lgkmcnt(0)
	s_barrier
	v_mul_f64 v[56:57], v[12:13], v[54:55]
	v_fma_f64 v[56:57], v[10:11], v[52:53], -v[56:57]
	v_mul_f64 v[54:55], v[10:11], v[54:55]
	v_add_f64 v[56:57], v[6:7], v[56:57]
	v_mul_f64 v[6:7], v[12:13], v[80:81]
	v_fmac_f64_e32 v[54:55], v[12:13], v[52:53]
	v_fma_f64 v[6:7], v[10:11], v[78:79], -v[6:7]
	v_add_f64 v[60:61], v[8:9], v[54:55]
	v_add_f64 v[54:55], v[2:3], v[6:7]
	v_mov_b32_e32 v2, s39
	v_addc_co_u32_e64 v51, s[10:11], v51, v2, s[10:11]
	v_add_co_u32_e64 v48, s[10:11], s36, v48
	v_mov_b32_e32 v2, s37
	v_mul_f64 v[8:9], v[10:11], v[80:81]
	v_addc_co_u32_e64 v49, s[10:11], v49, v2, s[10:11]
	v_fmac_f64_e32 v[8:9], v[12:13], v[78:79]
	v_add_co_u32_e64 v46, s[10:11], s36, v46
	v_add_f64 v[52:53], v[4:5], v[8:9]
	v_addc_co_u32_e64 v47, s[10:11], v47, v2, s[10:11]
	s_cbranch_scc1 .LBB129_55
.LBB129_7:                              ;   Parent Loop BB129_4 Depth=1
                                        ; =>  This Inner Loop Header: Depth=2
	v_mov_b32_e32 v2, s21
	v_add_co_u32_e64 v6, s[10:11], s20, v16
	v_addc_co_u32_e64 v7, s[10:11], 0, v2, s[10:11]
	v_add_co_u32_e64 v4, s[10:11], v48, v38
	v_addc_co_u32_e64 v5, s[10:11], v49, v39, s[10:11]
	v_cmp_eq_u64_e64 s[10:11], s[20:21], v[36:37]
	s_and_b64 s[24:25], s[34:35], s[10:11]
	v_cmp_gt_i64_e64 s[10:11], v[6:7], v[34:35]
	s_or_b64 s[14:15], s[16:17], s[10:11]
	v_cmp_le_i64_e64 s[12:13], s[46:47], v[6:7]
	s_or_b64 s[14:15], s[14:15], s[24:25]
	s_or_b64 s[14:15], s[12:13], s[14:15]
	s_xor_b64 s[14:15], s[14:15], -1
	s_and_saveexec_b64 s[18:19], s[14:15]
	s_xor_b64 s[14:15], exec, s[18:19]
	s_cbranch_execz .LBB129_9
; %bb.8:                                ;   in Loop: Header=BB129_7 Depth=2
	global_load_dwordx4 v[8:11], v[4:5], off
	s_waitcnt vmcnt(0)
	v_xor_b32_e32 v11, 0x80000000, v11
	ds_write_b128 v68, v[8:11]
.LBB129_9:                              ;   in Loop: Header=BB129_7 Depth=2
	s_or_saveexec_b64 s[14:15], s[14:15]
	s_xor_b64 s[22:23], s[24:25], -1
	s_xor_b64 exec, exec, s[14:15]
	s_cbranch_execz .LBB129_15
; %bb.10:                               ;   in Loop: Header=BB129_7 Depth=2
	s_and_saveexec_b64 s[18:19], s[22:23]
	s_xor_b64 s[18:19], exec, s[18:19]
	s_cbranch_execz .LBB129_12
; %bb.11:                               ;   in Loop: Header=BB129_7 Depth=2
	v_mov_b32_e32 v8, v0
	v_mov_b32_e32 v9, v0
	;; [unrolled: 1-line block ×4, first 2 shown]
	ds_write_b128 v68, v[8:11]
.LBB129_12:                             ;   in Loop: Header=BB129_7 Depth=2
	s_andn2_saveexec_b64 s[18:19], s[18:19]
	s_cbranch_execz .LBB129_14
; %bb.13:                               ;   in Loop: Header=BB129_7 Depth=2
	v_mov_b32_e32 v2, v0
	v_mov_b32_e32 v3, v0
	ds_write_b128 v68, v[0:3]
.LBB129_14:                             ;   in Loop: Header=BB129_7 Depth=2
	s_or_b64 exec, exec, s[18:19]
.LBB129_15:                             ;   in Loop: Header=BB129_7 Depth=2
	s_or_b64 exec, exec, s[14:15]
	v_add_co_u32_e64 v2, s[14:15], 16, v6
	v_addc_co_u32_e64 v3, s[14:15], 0, v7, s[14:15]
	v_cmp_eq_u64_e64 s[14:15], s[20:21], v[44:45]
	v_cmp_gt_i64_e64 s[18:19], v[2:3], v[34:35]
	s_and_b64 s[26:27], s[34:35], s[14:15]
	s_or_b64 s[18:19], s[16:17], s[18:19]
	v_cmp_le_i64_e64 s[14:15], s[46:47], v[2:3]
	s_or_b64 s[18:19], s[18:19], s[26:27]
	s_or_b64 s[18:19], s[14:15], s[18:19]
	s_xor_b64 s[18:19], s[18:19], -1
	s_and_saveexec_b64 s[44:45], s[18:19]
	s_xor_b64 s[44:45], exec, s[44:45]
	s_cbranch_execz .LBB129_17
; %bb.16:                               ;   in Loop: Header=BB129_7 Depth=2
	v_add_co_u32_e64 v2, s[18:19], v46, v38
	v_addc_co_u32_e64 v3, s[18:19], v47, v39, s[18:19]
	global_load_dwordx4 v[8:11], v[2:3], off
	s_waitcnt vmcnt(0)
	v_xor_b32_e32 v11, 0x80000000, v11
	ds_write_b128 v68, v[8:11] offset:256
.LBB129_17:                             ;   in Loop: Header=BB129_7 Depth=2
	s_andn2_saveexec_b64 s[18:19], s[44:45]
	s_cbranch_execz .LBB129_23
; %bb.18:                               ;   in Loop: Header=BB129_7 Depth=2
	s_xor_b64 s[26:27], s[26:27], -1
	s_and_saveexec_b64 s[44:45], s[26:27]
	s_xor_b64 s[26:27], exec, s[44:45]
	s_cbranch_execz .LBB129_20
; %bb.19:                               ;   in Loop: Header=BB129_7 Depth=2
	v_mov_b32_e32 v8, v0
	v_mov_b32_e32 v9, v0
	;; [unrolled: 1-line block ×4, first 2 shown]
	ds_write_b128 v68, v[8:11] offset:256
.LBB129_20:                             ;   in Loop: Header=BB129_7 Depth=2
	s_andn2_saveexec_b64 s[26:27], s[26:27]
	s_cbranch_execz .LBB129_22
; %bb.21:                               ;   in Loop: Header=BB129_7 Depth=2
	v_mov_b32_e32 v2, v0
	v_mov_b32_e32 v3, v0
	ds_write_b128 v68, v[0:3] offset:256
.LBB129_22:                             ;   in Loop: Header=BB129_7 Depth=2
	s_or_b64 exec, exec, s[26:27]
.LBB129_23:                             ;   in Loop: Header=BB129_7 Depth=2
	s_or_b64 exec, exec, s[18:19]
	v_cmp_eq_u64_e64 s[18:19], s[20:21], v[42:43]
	s_and_b64 s[26:27], s[34:35], s[18:19]
	v_cmp_gt_i64_e64 s[18:19], v[6:7], v[40:41]
	s_or_b64 s[18:19], s[8:9], s[18:19]
	s_or_b64 s[18:19], s[18:19], s[26:27]
	;; [unrolled: 1-line block ×3, first 2 shown]
	s_xor_b64 s[12:13], s[12:13], -1
	s_and_saveexec_b64 s[18:19], s[12:13]
	s_xor_b64 s[12:13], exec, s[18:19]
	s_cbranch_execz .LBB129_25
; %bb.24:                               ;   in Loop: Header=BB129_7 Depth=2
	global_load_dwordx4 v[2:5], v[4:5], off offset:256
	s_waitcnt vmcnt(0)
	v_xor_b32_e32 v5, 0x80000000, v5
	ds_write_b128 v68, v[2:5] offset:8192
.LBB129_25:                             ;   in Loop: Header=BB129_7 Depth=2
	s_andn2_saveexec_b64 s[12:13], s[12:13]
	s_cbranch_execz .LBB129_31
; %bb.26:                               ;   in Loop: Header=BB129_7 Depth=2
	s_xor_b64 s[18:19], s[26:27], -1
	s_and_saveexec_b64 s[26:27], s[18:19]
	s_xor_b64 s[18:19], exec, s[26:27]
	s_cbranch_execz .LBB129_28
; %bb.27:                               ;   in Loop: Header=BB129_7 Depth=2
	v_mov_b32_e32 v2, v0
	v_mov_b32_e32 v3, v0
	;; [unrolled: 1-line block ×4, first 2 shown]
	ds_write_b128 v68, v[2:5] offset:8192
.LBB129_28:                             ;   in Loop: Header=BB129_7 Depth=2
	s_andn2_saveexec_b64 s[18:19], s[18:19]
	s_cbranch_execz .LBB129_30
; %bb.29:                               ;   in Loop: Header=BB129_7 Depth=2
	v_mov_b32_e32 v2, v0
	v_mov_b32_e32 v3, v0
	ds_write_b128 v68, v[0:3] offset:8192
.LBB129_30:                             ;   in Loop: Header=BB129_7 Depth=2
	s_or_b64 exec, exec, s[18:19]
.LBB129_31:                             ;   in Loop: Header=BB129_7 Depth=2
	s_or_b64 exec, exec, s[12:13]
	s_or_b64 s[10:11], s[8:9], s[10:11]
	s_or_b64 s[10:11], s[10:11], s[24:25]
	;; [unrolled: 1-line block ×3, first 2 shown]
	s_xor_b64 s[10:11], s[10:11], -1
	s_and_saveexec_b64 s[12:13], s[10:11]
	s_xor_b64 s[12:13], exec, s[12:13]
	s_cbranch_execz .LBB129_33
; %bb.32:                               ;   in Loop: Header=BB129_7 Depth=2
	v_add_co_u32_e64 v2, s[10:11], v46, v38
	v_addc_co_u32_e64 v3, s[10:11], v47, v39, s[10:11]
	global_load_dwordx4 v[2:5], v[2:3], off offset:256
	s_waitcnt vmcnt(0)
	v_xor_b32_e32 v5, 0x80000000, v5
	ds_write_b128 v68, v[2:5] offset:8448
.LBB129_33:                             ;   in Loop: Header=BB129_7 Depth=2
	s_andn2_saveexec_b64 s[10:11], s[12:13]
	s_cbranch_execz .LBB129_39
; %bb.34:                               ;   in Loop: Header=BB129_7 Depth=2
	s_and_saveexec_b64 s[12:13], s[22:23]
	s_xor_b64 s[12:13], exec, s[12:13]
	s_cbranch_execz .LBB129_36
; %bb.35:                               ;   in Loop: Header=BB129_7 Depth=2
	v_mov_b32_e32 v2, v0
	v_mov_b32_e32 v3, v0
	;; [unrolled: 1-line block ×4, first 2 shown]
	ds_write_b128 v68, v[2:5] offset:8448
.LBB129_36:                             ;   in Loop: Header=BB129_7 Depth=2
	s_andn2_saveexec_b64 s[12:13], s[12:13]
	s_cbranch_execz .LBB129_38
; %bb.37:                               ;   in Loop: Header=BB129_7 Depth=2
	v_mov_b32_e32 v2, v0
	v_mov_b32_e32 v3, v0
	ds_write_b128 v68, v[0:3] offset:8448
.LBB129_38:                             ;   in Loop: Header=BB129_7 Depth=2
	s_or_b64 exec, exec, s[12:13]
.LBB129_39:                             ;   in Loop: Header=BB129_7 Depth=2
	s_or_b64 exec, exec, s[10:11]
	v_mov_b32_e32 v3, s21
	v_add_co_u32_e64 v2, s[10:11], s20, v14
	v_addc_co_u32_e64 v3, s[10:11], 0, v3, s[10:11]
	v_add_co_u32_e64 v4, s[10:11], v50, v24
	v_addc_co_u32_e64 v5, s[10:11], v51, v25, s[10:11]
	v_cmp_le_i64_e64 s[10:11], s[46:47], v[2:3]
	s_or_b64 s[12:13], s[10:11], vcc
	s_xor_b64 s[12:13], s[12:13], -1
	s_and_saveexec_b64 s[14:15], s[12:13]
	s_xor_b64 s[12:13], exec, s[14:15]
	s_cbranch_execz .LBB129_41
; %bb.40:                               ;   in Loop: Header=BB129_7 Depth=2
	global_load_dwordx4 v[6:9], v[4:5], off offset:-256
	s_waitcnt vmcnt(0)
	ds_write2_b64 v70, v[6:7], v[8:9] offset1:1
.LBB129_41:                             ;   in Loop: Header=BB129_7 Depth=2
	s_andn2_saveexec_b64 s[12:13], s[12:13]
	s_cbranch_execz .LBB129_43
; %bb.42:                               ;   in Loop: Header=BB129_7 Depth=2
	v_mov_b32_e32 v6, v0
	v_mov_b32_e32 v7, v0
	;; [unrolled: 1-line block ×4, first 2 shown]
	ds_write_b128 v70, v[6:9]
.LBB129_43:                             ;   in Loop: Header=BB129_7 Depth=2
	s_or_b64 exec, exec, s[12:13]
	s_or_b64 s[10:11], s[10:11], s[0:1]
	s_xor_b64 s[10:11], s[10:11], -1
	s_and_saveexec_b64 s[12:13], s[10:11]
	s_xor_b64 s[10:11], exec, s[12:13]
	s_cbranch_execz .LBB129_45
; %bb.44:                               ;   in Loop: Header=BB129_7 Depth=2
	global_load_dwordx4 v[4:7], v[4:5], off
	s_waitcnt vmcnt(0)
	ds_write2_b64 v71, v[4:5], v[6:7] offset1:1
.LBB129_45:                             ;   in Loop: Header=BB129_7 Depth=2
	s_andn2_saveexec_b64 s[10:11], s[10:11]
	s_cbranch_execz .LBB129_47
; %bb.46:                               ;   in Loop: Header=BB129_7 Depth=2
	v_mov_b32_e32 v4, v0
	v_mov_b32_e32 v5, v0
	;; [unrolled: 1-line block ×4, first 2 shown]
	ds_write_b128 v71, v[4:7]
.LBB129_47:                             ;   in Loop: Header=BB129_7 Depth=2
	s_or_b64 exec, exec, s[10:11]
	v_cmp_le_i64_e64 s[10:11], s[42:43], v[2:3]
	s_or_b64 s[12:13], s[10:11], vcc
	s_xor_b64 s[12:13], s[12:13], -1
	s_and_saveexec_b64 s[14:15], s[12:13]
	s_xor_b64 s[14:15], exec, s[14:15]
	s_cbranch_execz .LBB129_49
; %bb.48:                               ;   in Loop: Header=BB129_7 Depth=2
	v_add_co_u32_e64 v2, s[12:13], v50, v30
	v_addc_co_u32_e64 v3, s[12:13], v51, v15, s[12:13]
	global_load_dwordx4 v[2:5], v[2:3], off offset:-256
	s_waitcnt vmcnt(0)
	ds_write2_b64 v72, v[2:3], v[4:5] offset1:1
.LBB129_49:                             ;   in Loop: Header=BB129_7 Depth=2
	s_andn2_saveexec_b64 s[12:13], s[14:15]
	s_cbranch_execz .LBB129_51
; %bb.50:                               ;   in Loop: Header=BB129_7 Depth=2
	v_mov_b32_e32 v2, v0
	v_mov_b32_e32 v3, v0
	;; [unrolled: 1-line block ×4, first 2 shown]
	ds_write_b128 v72, v[2:5]
.LBB129_51:                             ;   in Loop: Header=BB129_7 Depth=2
	s_or_b64 exec, exec, s[12:13]
	s_or_b64 s[10:11], s[10:11], s[0:1]
	s_xor_b64 s[10:11], s[10:11], -1
	s_and_saveexec_b64 s[12:13], s[10:11]
	s_xor_b64 s[12:13], exec, s[12:13]
	s_cbranch_execz .LBB129_53
; %bb.52:                               ;   in Loop: Header=BB129_7 Depth=2
	v_add_co_u32_e64 v2, s[10:11], v50, v30
	v_addc_co_u32_e64 v3, s[10:11], v51, v15, s[10:11]
	global_load_dwordx4 v[2:5], v[2:3], off
	s_waitcnt vmcnt(0)
	ds_write2_b64 v73, v[2:3], v[4:5] offset1:1
.LBB129_53:                             ;   in Loop: Header=BB129_7 Depth=2
	s_andn2_saveexec_b64 s[10:11], s[12:13]
	s_cbranch_execz .LBB129_6
; %bb.54:                               ;   in Loop: Header=BB129_7 Depth=2
	v_mov_b32_e32 v2, v0
	v_mov_b32_e32 v3, v0
	;; [unrolled: 1-line block ×4, first 2 shown]
	ds_write_b128 v73, v[2:5]
	s_branch .LBB129_6
.LBB129_55:                             ;   in Loop: Header=BB129_4 Depth=1
	v_mul_lo_u32 v4, v35, s40
	v_mul_lo_u32 v5, v34, s41
	v_mad_u64_u32 v[2:3], s[10:11], v34, s40, 0
	v_add3_u32 v3, v3, v5, v4
	v_lshlrev_b64 v[2:3], 4, v[2:3]
	v_mov_b32_e32 v4, s49
	v_add_co_u32_e64 v2, s[10:11], s48, v2
	v_cmp_gt_i32_e64 s[8:9], s46, v34
	v_addc_co_u32_e64 v3, s[10:11], v4, v3, s[10:11]
	s_and_b64 s[10:11], s[2:3], s[8:9]
	s_and_saveexec_b64 s[12:13], s[10:11]
	s_cbranch_execz .LBB129_57
; %bb.56:                               ;   in Loop: Header=BB129_4 Depth=1
	v_add_co_u32_e64 v8, s[10:11], v2, v26
	v_addc_co_u32_e64 v9, s[10:11], v3, v27, s[10:11]
	global_load_dwordx4 v[4:7], v[8:9], off
	v_mul_f64 v[10:11], s[30:31], v[66:67]
	v_mul_f64 v[12:13], s[28:29], v[66:67]
	v_fma_f64 v[10:11], s[28:29], v[64:65], -v[10:11]
	v_fmac_f64_e32 v[12:13], s[30:31], v[64:65]
	s_waitcnt vmcnt(0)
	v_add_f64 v[4:5], v[4:5], v[10:11]
	v_add_f64 v[6:7], v[6:7], v[12:13]
	global_store_dwordx4 v[8:9], v[4:7], off
.LBB129_57:                             ;   in Loop: Header=BB129_4 Depth=1
	s_or_b64 exec, exec, s[12:13]
	s_and_b64 s[8:9], s[4:5], s[8:9]
	s_and_saveexec_b64 s[10:11], s[8:9]
	s_cbranch_execz .LBB129_59
; %bb.58:                               ;   in Loop: Header=BB129_4 Depth=1
	v_lshlrev_b64 v[4:5], 4, v[20:21]
	v_add_co_u32_e64 v6, s[8:9], v2, v4
	v_addc_co_u32_e64 v7, s[8:9], v3, v5, s[8:9]
	global_load_dwordx4 v[2:5], v[6:7], off
	v_mul_f64 v[8:9], s[30:31], v[62:63]
	v_mul_f64 v[10:11], s[28:29], v[62:63]
	v_fma_f64 v[8:9], s[28:29], v[58:59], -v[8:9]
	v_fmac_f64_e32 v[10:11], s[30:31], v[58:59]
	s_waitcnt vmcnt(0)
	v_add_f64 v[2:3], v[2:3], v[8:9]
	v_add_f64 v[4:5], v[4:5], v[10:11]
	global_store_dwordx4 v[6:7], v[2:5], off
.LBB129_59:                             ;   in Loop: Header=BB129_4 Depth=1
	s_or_b64 exec, exec, s[10:11]
	v_add_u32_e32 v2, 16, v34
	v_ashrrev_i32_e32 v3, 31, v2
	v_cmp_gt_i32_e64 s[8:9], s46, v2
	v_mul_lo_u32 v4, v3, s40
	v_mul_lo_u32 v5, v2, s41
	v_mad_u64_u32 v[2:3], s[10:11], v2, s40, 0
	v_add3_u32 v3, v3, v5, v4
	v_lshlrev_b64 v[2:3], 4, v[2:3]
	v_mov_b32_e32 v4, s49
	v_add_co_u32_e64 v2, s[10:11], s48, v2
	v_addc_co_u32_e64 v3, s[10:11], v4, v3, s[10:11]
	s_and_b64 s[10:11], s[2:3], s[8:9]
	s_and_saveexec_b64 s[12:13], s[10:11]
	s_cbranch_execz .LBB129_61
; %bb.60:                               ;   in Loop: Header=BB129_4 Depth=1
	v_add_co_u32_e64 v8, s[10:11], v2, v26
	v_addc_co_u32_e64 v9, s[10:11], v3, v27, s[10:11]
	global_load_dwordx4 v[4:7], v[8:9], off
	v_mul_f64 v[10:11], s[30:31], v[60:61]
	v_mul_f64 v[12:13], s[28:29], v[60:61]
	v_fma_f64 v[10:11], s[28:29], v[56:57], -v[10:11]
	v_fmac_f64_e32 v[12:13], s[30:31], v[56:57]
	s_waitcnt vmcnt(0)
	v_add_f64 v[4:5], v[4:5], v[10:11]
	v_add_f64 v[6:7], v[6:7], v[12:13]
	global_store_dwordx4 v[8:9], v[4:7], off
.LBB129_61:                             ;   in Loop: Header=BB129_4 Depth=1
	s_or_b64 exec, exec, s[12:13]
	s_and_b64 s[8:9], s[4:5], s[8:9]
	s_and_saveexec_b64 s[10:11], s[8:9]
	s_cbranch_execz .LBB129_3
; %bb.62:                               ;   in Loop: Header=BB129_4 Depth=1
	v_lshlrev_b64 v[4:5], 4, v[20:21]
	v_add_co_u32_e64 v6, s[8:9], v2, v4
	v_addc_co_u32_e64 v7, s[8:9], v3, v5, s[8:9]
	global_load_dwordx4 v[2:5], v[6:7], off
	v_mul_f64 v[8:9], s[30:31], v[52:53]
	v_mul_f64 v[10:11], s[28:29], v[52:53]
	v_fma_f64 v[8:9], s[28:29], v[54:55], -v[8:9]
	v_fmac_f64_e32 v[10:11], s[30:31], v[54:55]
	s_waitcnt vmcnt(0)
	v_add_f64 v[2:3], v[2:3], v[8:9]
	v_add_f64 v[4:5], v[4:5], v[10:11]
	global_store_dwordx4 v[6:7], v[2:5], off
	s_branch .LBB129_3
.LBB129_63:
	s_endpgm
	.section	.rodata,"a",@progbits
	.p2align	6, 0x0
	.amdhsa_kernel _ZL30rocblas_trmm_outofplace_kernelI19rocblas_complex_numIdELi32ELi2ELb0ELb0ELb1ELb1ES1_KS1_S1_Ev17rocblas_diagonal_iiT6_lPT7_lllS6_lllPT8_llli
		.amdhsa_group_segment_fixed_size 32768
		.amdhsa_private_segment_fixed_size 0
		.amdhsa_kernarg_size 400
		.amdhsa_user_sgpr_count 6
		.amdhsa_user_sgpr_private_segment_buffer 1
		.amdhsa_user_sgpr_dispatch_ptr 0
		.amdhsa_user_sgpr_queue_ptr 0
		.amdhsa_user_sgpr_kernarg_segment_ptr 1
		.amdhsa_user_sgpr_dispatch_id 0
		.amdhsa_user_sgpr_flat_scratch_init 0
		.amdhsa_user_sgpr_kernarg_preload_length 0
		.amdhsa_user_sgpr_kernarg_preload_offset 0
		.amdhsa_user_sgpr_private_segment_size 0
		.amdhsa_uses_dynamic_stack 0
		.amdhsa_system_sgpr_private_segment_wavefront_offset 0
		.amdhsa_system_sgpr_workgroup_id_x 1
		.amdhsa_system_sgpr_workgroup_id_y 1
		.amdhsa_system_sgpr_workgroup_id_z 1
		.amdhsa_system_sgpr_workgroup_info 0
		.amdhsa_system_vgpr_workitem_id 1
		.amdhsa_next_free_vgpr 94
		.amdhsa_next_free_sgpr 52
		.amdhsa_accum_offset 96
		.amdhsa_reserve_vcc 1
		.amdhsa_reserve_flat_scratch 0
		.amdhsa_float_round_mode_32 0
		.amdhsa_float_round_mode_16_64 0
		.amdhsa_float_denorm_mode_32 3
		.amdhsa_float_denorm_mode_16_64 3
		.amdhsa_dx10_clamp 1
		.amdhsa_ieee_mode 1
		.amdhsa_fp16_overflow 0
		.amdhsa_tg_split 0
		.amdhsa_exception_fp_ieee_invalid_op 0
		.amdhsa_exception_fp_denorm_src 0
		.amdhsa_exception_fp_ieee_div_zero 0
		.amdhsa_exception_fp_ieee_overflow 0
		.amdhsa_exception_fp_ieee_underflow 0
		.amdhsa_exception_fp_ieee_inexact 0
		.amdhsa_exception_int_div_zero 0
	.end_amdhsa_kernel
	.section	.text._ZL30rocblas_trmm_outofplace_kernelI19rocblas_complex_numIdELi32ELi2ELb0ELb0ELb1ELb1ES1_KS1_S1_Ev17rocblas_diagonal_iiT6_lPT7_lllS6_lllPT8_llli,"axG",@progbits,_ZL30rocblas_trmm_outofplace_kernelI19rocblas_complex_numIdELi32ELi2ELb0ELb0ELb1ELb1ES1_KS1_S1_Ev17rocblas_diagonal_iiT6_lPT7_lllS6_lllPT8_llli,comdat
.Lfunc_end129:
	.size	_ZL30rocblas_trmm_outofplace_kernelI19rocblas_complex_numIdELi32ELi2ELb0ELb0ELb1ELb1ES1_KS1_S1_Ev17rocblas_diagonal_iiT6_lPT7_lllS6_lllPT8_llli, .Lfunc_end129-_ZL30rocblas_trmm_outofplace_kernelI19rocblas_complex_numIdELi32ELi2ELb0ELb0ELb1ELb1ES1_KS1_S1_Ev17rocblas_diagonal_iiT6_lPT7_lllS6_lllPT8_llli
                                        ; -- End function
	.section	.AMDGPU.csdata,"",@progbits
; Kernel info:
; codeLenInByte = 9724
; NumSgprs: 56
; NumVgprs: 94
; NumAgprs: 0
; TotalNumVgprs: 94
; ScratchSize: 0
; MemoryBound: 0
; FloatMode: 240
; IeeeMode: 1
; LDSByteSize: 32768 bytes/workgroup (compile time only)
; SGPRBlocks: 6
; VGPRBlocks: 11
; NumSGPRsForWavesPerEU: 56
; NumVGPRsForWavesPerEU: 94
; AccumOffset: 96
; Occupancy: 5
; WaveLimiterHint : 0
; COMPUTE_PGM_RSRC2:SCRATCH_EN: 0
; COMPUTE_PGM_RSRC2:USER_SGPR: 6
; COMPUTE_PGM_RSRC2:TRAP_HANDLER: 0
; COMPUTE_PGM_RSRC2:TGID_X_EN: 1
; COMPUTE_PGM_RSRC2:TGID_Y_EN: 1
; COMPUTE_PGM_RSRC2:TGID_Z_EN: 1
; COMPUTE_PGM_RSRC2:TIDIG_COMP_CNT: 1
; COMPUTE_PGM_RSRC3_GFX90A:ACCUM_OFFSET: 23
; COMPUTE_PGM_RSRC3_GFX90A:TG_SPLIT: 0
	.section	.text._ZL30rocblas_trmm_outofplace_kernelI19rocblas_complex_numIdELi32ELi2ELb0ELb1ELb1ELb1EPKS1_S2_S1_Ev17rocblas_diagonal_iiT6_lPT7_lllS7_lllPT8_llli,"axG",@progbits,_ZL30rocblas_trmm_outofplace_kernelI19rocblas_complex_numIdELi32ELi2ELb0ELb1ELb1ELb1EPKS1_S2_S1_Ev17rocblas_diagonal_iiT6_lPT7_lllS7_lllPT8_llli,comdat
	.globl	_ZL30rocblas_trmm_outofplace_kernelI19rocblas_complex_numIdELi32ELi2ELb0ELb1ELb1ELb1EPKS1_S2_S1_Ev17rocblas_diagonal_iiT6_lPT7_lllS7_lllPT8_llli ; -- Begin function _ZL30rocblas_trmm_outofplace_kernelI19rocblas_complex_numIdELi32ELi2ELb0ELb1ELb1ELb1EPKS1_S2_S1_Ev17rocblas_diagonal_iiT6_lPT7_lllS7_lllPT8_llli
	.p2align	8
	.type	_ZL30rocblas_trmm_outofplace_kernelI19rocblas_complex_numIdELi32ELi2ELb0ELb1ELb1ELb1EPKS1_S2_S1_Ev17rocblas_diagonal_iiT6_lPT7_lllS7_lllPT8_llli,@function
_ZL30rocblas_trmm_outofplace_kernelI19rocblas_complex_numIdELi32ELi2ELb0ELb1ELb1ELb1EPKS1_S2_S1_Ev17rocblas_diagonal_iiT6_lPT7_lllS7_lllPT8_llli: ; @_ZL30rocblas_trmm_outofplace_kernelI19rocblas_complex_numIdELi32ELi2ELb0ELb1ELb1ELb1EPKS1_S2_S1_Ev17rocblas_diagonal_iiT6_lPT7_lllS7_lllPT8_llli
; %bb.0:
	s_load_dwordx16 s[16:31], s[4:5], 0x10
	s_waitcnt lgkmcnt(0)
	s_mul_i32 s0, s8, s19
	s_mul_hi_u32 s1, s8, s18
	s_add_i32 s1, s1, s0
	s_mul_i32 s0, s8, s18
	s_lshl_b64 s[0:1], s[0:1], 4
	s_add_u32 s0, s16, s0
	s_addc_u32 s1, s17, s1
	s_load_dwordx4 s[44:47], s[0:1], 0x0
	s_waitcnt lgkmcnt(0)
	v_cmp_eq_f64_e64 s[0:1], s[44:45], 0
	v_cmp_eq_f64_e64 s[2:3], s[46:47], 0
	s_and_b64 s[0:1], s[0:1], s[2:3]
	s_and_b64 vcc, exec, s[0:1]
	s_cbranch_vccnz .LBB130_63
; %bb.1:
	s_load_dwordx4 s[48:51], s[4:5], 0x0
	s_waitcnt lgkmcnt(0)
	s_add_i32 s0, s50, -1
	s_ashr_i32 s1, s0, 31
	s_lshr_b32 s1, s1, 27
	s_add_i32 s0, s0, s1
	s_ashr_i32 s33, s0, 5
	s_cmp_gt_i32 s7, s33
	s_cbranch_scc1 .LBB130_63
; %bb.2:
	s_load_dwordx8 s[36:43], s[4:5], 0x50
	s_load_dwordx4 s[52:55], s[4:5], 0x70
	s_load_dword s58, s[4:5], 0x8c
	v_and_b32_e32 v4, 0x3ff, v0
	v_bfe_u32 v62, v0, 10, 10
	s_waitcnt lgkmcnt(0)
	s_mul_i32 s1, s8, s39
	s_mul_hi_u32 s2, s8, s38
	s_mul_i32 s0, s8, s38
	s_add_i32 s1, s2, s1
	s_lshl_b64 s[0:1], s[0:1], 4
	s_add_u32 s2, s28, s0
	s_addc_u32 s3, s29, s1
	s_lshl_b64 s[0:1], s[30:31], 4
	s_add_u32 s2, s2, s0
	s_addc_u32 s3, s3, s1
	s_mul_i32 s0, s8, s55
	s_mul_hi_u32 s1, s8, s54
	s_add_i32 s1, s1, s0
	s_mul_i32 s0, s8, s54
	s_lshl_b64 s[0:1], s[0:1], 4
	s_add_u32 s4, s40, s0
	s_addc_u32 s5, s41, s1
	s_lshl_b64 s[0:1], s[42:43], 4
	s_add_u32 s59, s4, s0
	s_addc_u32 s60, s5, s1
	s_cmpk_eq_i32 s48, 0x84
	v_lshl_add_u32 v0, s6, 5, v4
	s_cselect_b64 s[28:29], -1, 0
	s_ashr_i32 s51, s50, 31
	s_ashr_i32 s0, s49, 31
	s_lshl_b64 s[30:31], s[24:25], 9
	s_lshl_b64 s[34:35], s[36:37], 9
	v_ashrrev_i32_e32 v1, 31, v0
	s_add_u32 s38, s50, -16
	v_lshlrev_b64 v[14:15], 4, v[0:1]
	s_addc_u32 s39, s51, -1
	s_lshl_b32 s9, s7, 5
	v_mov_b32_e32 v2, s3
	v_add_co_u32_e32 v16, vcc, s2, v14
	v_add_u32_e32 v20, s9, v4
	v_add_u32_e32 v22, s9, v62
	s_mul_i32 s9, s27, s8
	s_mul_hi_u32 s10, s26, s8
	v_addc_co_u32_e32 v17, vcc, v2, v15, vcc
	s_add_i32 s9, s10, s9
	s_mul_i32 s8, s26, s8
	v_mov_b32_e32 v3, s0
	v_sub_co_u32_e32 v2, vcc, s49, v0
	s_lshl_b32 s61, s58, 5
	s_lshl_b64 s[40:41], s[36:37], 4
	s_lshl_b64 s[8:9], s[8:9], 4
	;; [unrolled: 1-line block ×3, first 2 shown]
	v_subb_co_u32_e32 v3, vcc, v3, v1, vcc
	v_lshlrev_b32_e32 v1, 4, v4
	s_add_u32 s8, s8, s10
	v_lshlrev_b32_e32 v63, 9, v62
	v_or_b32_e32 v65, 0x4000, v1
	s_addc_u32 s9, s9, s11
	v_add_u32_e32 v66, v65, v63
	v_add_u32_e32 v18, 16, v0
	s_add_u32 s20, s20, s8
	v_add_u32_e32 v64, v63, v1
	v_cmp_gt_i64_e64 s[0:1], 1, v[2:3]
	v_cmp_gt_i64_e64 s[2:3], 17, v[2:3]
	s_movk_i32 s6, 0x100
	v_add_u32_e32 v67, 0x100, v66
	v_add_u32_e32 v68, 0x2000, v66
	;; [unrolled: 1-line block ×3, first 2 shown]
	v_cmp_gt_i32_e64 s[4:5], s49, v0
	v_cmp_gt_i32_e64 s[16:17], s49, v18
	v_ashrrev_i32_e32 v19, 31, v18
	v_add_u32_e32 v70, 0x4100, v1
	s_addc_u32 s21, s21, s9
	s_lshl_b64 s[22:23], s[24:25], 4
	v_mov_b32_e32 v0, 0
	v_mov_b32_e32 v1, 0x3ff00000
	s_branch .LBB130_4
.LBB130_3:                              ;   in Loop: Header=BB130_4 Depth=1
	s_or_b64 exec, exec, s[8:9]
	s_add_i32 s7, s58, s7
	v_add_u32_e32 v20, s61, v20
	s_cmp_le_i32 s7, s33
	v_add_u32_e32 v22, s61, v22
	s_cbranch_scc0 .LBB130_63
.LBB130_4:                              ; =>This Loop Header: Depth=1
                                        ;     Child Loop BB130_7 Depth 2
	s_lshl_b32 s8, s7, 5
	v_add_u32_e32 v24, s8, v62
	s_sub_i32 s62, s50, s8
	v_pk_mov_b32 v[58:59], 0, 0
	v_ashrrev_i32_e32 v21, 31, v20
	v_ashrrev_i32_e32 v23, 31, v22
	;; [unrolled: 1-line block ×3, first 2 shown]
	s_cmp_lt_i32 s62, 1
	v_pk_mov_b32 v[60:61], v[58:59], v[58:59] op_sel:[0,1]
	v_pk_mov_b32 v[52:53], v[58:59], v[58:59] op_sel:[0,1]
	;; [unrolled: 1-line block ×7, first 2 shown]
	s_cbranch_scc1 .LBB130_55
; %bb.5:                                ;   in Loop: Header=BB130_4 Depth=1
	v_mov_b32_e32 v2, 0x100
	v_sub_co_u32_e32 v26, vcc, v22, v20
	v_mov_b32_e32 v3, 0
	v_subb_co_u32_e32 v27, vcc, v23, v21, vcc
	v_mad_u64_u32 v[28:29], s[8:9], s40, v22, v[2:3]
	v_mul_lo_u32 v4, s40, v23
	v_mul_lo_u32 v5, s41, v22
	v_lshlrev_b64 v[30:31], 4, v[22:23]
	v_add3_u32 v29, v5, v29, v4
	v_add_co_u32_e32 v4, vcc, 0x100, v30
	v_addc_co_u32_e32 v5, vcc, 0, v31, vcc
	v_mul_lo_u32 v5, s36, v5
	v_mul_lo_u32 v6, s37, v4
	v_mad_u64_u32 v[32:33], s[8:9], s36, v4, v[2:3]
	v_pk_mov_b32 v[2:3], s[20:21], s[20:21] op_sel:[0,1]
	v_add3_u32 v33, v6, v33, v5
	v_mad_u64_u32 v[34:35], s[8:9], s22, v20, v[2:3]
	v_mul_lo_u32 v4, s22, v21
	v_mul_lo_u32 v5, s23, v20
	v_add3_u32 v35, v5, v35, v4
	v_lshlrev_b64 v[4:5], 4, v[20:21]
	v_add_co_u32_e32 v4, vcc, s6, v4
	v_mad_u64_u32 v[36:37], s[8:9], s24, v4, v[2:3]
	v_add_co_u32_e64 v40, s[10:11], 16, v26
	v_addc_co_u32_e32 v5, vcc, 0, v5, vcc
	v_add_co_u32_e64 v38, s[8:9], 16, v24
	v_addc_co_u32_e64 v41, s[10:11], 0, v27, s[10:11]
	v_mul_lo_u32 v5, s24, v5
	v_mul_lo_u32 v6, s25, v4
	v_addc_co_u32_e64 v39, s[8:9], 0, v25, s[8:9]
	v_add_co_u32_e64 v42, s[10:11], -16, v26
	v_pk_mov_b32 v[46:47], 0, 0
	v_add3_u32 v37, v6, v37, v5
	v_cmp_le_i32_e32 vcc, s50, v24
	v_cmp_le_i64_e64 s[8:9], s[50:51], v[38:39]
	v_addc_co_u32_e64 v43, s[10:11], -1, v27, s[10:11]
	s_mov_b64 s[26:27], 0
	v_pk_mov_b32 v[44:45], v[16:17], v[16:17] op_sel:[0,1]
	v_pk_mov_b32 v[48:49], v[46:47], v[46:47] op_sel:[0,1]
	;; [unrolled: 1-line block ×8, first 2 shown]
	s_branch .LBB130_7
.LBB130_6:                              ;   in Loop: Header=BB130_7 Depth=2
	s_or_b64 exec, exec, s[10:11]
	s_waitcnt lgkmcnt(0)
	s_barrier
	ds_read_b128 v[72:75], v63
	ds_read_b128 v[10:13], v63 offset:16
	ds_read_b128 v[6:9], v63 offset:32
	;; [unrolled: 1-line block ×3, first 2 shown]
	ds_read_b128 v[76:79], v65
	v_add_co_u32_e64 v44, s[10:11], s34, v44
	s_add_u32 s26, s26, 32
	s_addc_u32 s27, s27, 0
	s_waitcnt lgkmcnt(0)
	v_mul_f64 v[80:81], v[74:75], v[78:79]
	v_mul_f64 v[82:83], v[72:73], v[78:79]
	v_fma_f64 v[80:81], v[72:73], v[76:77], -v[80:81]
	v_fmac_f64_e32 v[82:83], v[74:75], v[76:77]
	v_add_f64 v[80:81], v[58:59], v[80:81]
	v_add_f64 v[82:83], v[60:61], v[82:83]
	ds_read_b128 v[58:61], v70
	s_cmp_ge_i32 s26, s62
	s_waitcnt lgkmcnt(0)
	v_mul_f64 v[84:85], v[74:75], v[60:61]
	v_fma_f64 v[84:85], v[72:73], v[58:59], -v[84:85]
	v_mul_f64 v[72:73], v[72:73], v[60:61]
	v_fmac_f64_e32 v[72:73], v[74:75], v[58:59]
	v_add_f64 v[86:87], v[56:57], v[72:73]
	ds_read_b128 v[72:75], v63 offset:8192
	v_add_f64 v[84:85], v[52:53], v[84:85]
	s_waitcnt lgkmcnt(0)
	v_mul_f64 v[52:53], v[74:75], v[78:79]
	v_mul_f64 v[56:57], v[72:73], v[78:79]
	v_fma_f64 v[52:53], v[72:73], v[76:77], -v[52:53]
	v_fmac_f64_e32 v[56:57], v[74:75], v[76:77]
	v_add_f64 v[50:51], v[50:51], v[52:53]
	v_add_f64 v[52:53], v[54:55], v[56:57]
	v_mul_f64 v[54:55], v[74:75], v[60:61]
	v_mul_f64 v[56:57], v[72:73], v[60:61]
	v_fma_f64 v[54:55], v[72:73], v[58:59], -v[54:55]
	v_fmac_f64_e32 v[56:57], v[74:75], v[58:59]
	v_add_f64 v[48:49], v[48:49], v[54:55]
	v_add_f64 v[46:47], v[46:47], v[56:57]
	ds_read_b128 v[54:57], v65 offset:512
	s_waitcnt lgkmcnt(0)
	v_mul_f64 v[58:59], v[12:13], v[56:57]
	v_mul_f64 v[60:61], v[10:11], v[56:57]
	v_fma_f64 v[58:59], v[10:11], v[54:55], -v[58:59]
	v_fmac_f64_e32 v[60:61], v[12:13], v[54:55]
	v_add_f64 v[72:73], v[80:81], v[58:59]
	v_add_f64 v[74:75], v[82:83], v[60:61]
	ds_read_b128 v[58:61], v70 offset:512
	s_waitcnt lgkmcnt(0)
	v_mul_f64 v[76:77], v[12:13], v[60:61]
	v_fma_f64 v[76:77], v[10:11], v[58:59], -v[76:77]
	v_mul_f64 v[10:11], v[10:11], v[60:61]
	v_fmac_f64_e32 v[10:11], v[12:13], v[58:59]
	v_add_f64 v[78:79], v[86:87], v[10:11]
	ds_read_b128 v[10:13], v63 offset:8208
	v_add_f64 v[76:77], v[84:85], v[76:77]
	s_waitcnt lgkmcnt(0)
	v_mul_f64 v[80:81], v[12:13], v[56:57]
	v_mul_f64 v[56:57], v[10:11], v[56:57]
	v_fma_f64 v[80:81], v[10:11], v[54:55], -v[80:81]
	v_fmac_f64_e32 v[56:57], v[12:13], v[54:55]
	v_mul_f64 v[54:55], v[12:13], v[60:61]
	v_fma_f64 v[54:55], v[10:11], v[58:59], -v[54:55]
	v_mul_f64 v[10:11], v[10:11], v[60:61]
	v_fmac_f64_e32 v[10:11], v[12:13], v[58:59]
	v_add_f64 v[52:53], v[52:53], v[56:57]
	v_add_f64 v[56:57], v[46:47], v[10:11]
	ds_read_b128 v[10:13], v65 offset:1024
	v_add_f64 v[54:55], v[48:49], v[54:55]
	v_add_f64 v[50:51], v[50:51], v[80:81]
	s_waitcnt lgkmcnt(0)
	v_mul_f64 v[46:47], v[8:9], v[12:13]
	v_mul_f64 v[48:49], v[6:7], v[12:13]
	v_fma_f64 v[46:47], v[6:7], v[10:11], -v[46:47]
	v_fmac_f64_e32 v[48:49], v[8:9], v[10:11]
	v_add_f64 v[58:59], v[72:73], v[46:47]
	v_add_f64 v[60:61], v[74:75], v[48:49]
	ds_read_b128 v[46:49], v70 offset:1024
	s_waitcnt lgkmcnt(0)
	v_mul_f64 v[72:73], v[8:9], v[48:49]
	v_fma_f64 v[72:73], v[6:7], v[46:47], -v[72:73]
	v_mul_f64 v[6:7], v[6:7], v[48:49]
	v_fmac_f64_e32 v[6:7], v[8:9], v[46:47]
	v_add_f64 v[74:75], v[78:79], v[6:7]
	ds_read_b128 v[6:9], v63 offset:8224
	v_add_f64 v[72:73], v[76:77], v[72:73]
	s_waitcnt lgkmcnt(0)
	v_mul_f64 v[76:77], v[8:9], v[12:13]
	v_fma_f64 v[76:77], v[6:7], v[10:11], -v[76:77]
	v_mul_f64 v[12:13], v[6:7], v[12:13]
	v_fmac_f64_e32 v[12:13], v[8:9], v[10:11]
	v_add_f64 v[10:11], v[50:51], v[76:77]
	v_mul_f64 v[50:51], v[8:9], v[48:49]
	v_mul_f64 v[48:49], v[6:7], v[48:49]
	v_fmac_f64_e32 v[48:49], v[8:9], v[46:47]
	v_fma_f64 v[50:51], v[6:7], v[46:47], -v[50:51]
	v_add_f64 v[8:9], v[56:57], v[48:49]
	ds_read_b128 v[46:49], v65 offset:1536
	v_add_f64 v[12:13], v[52:53], v[12:13]
	v_add_f64 v[6:7], v[54:55], v[50:51]
	s_waitcnt lgkmcnt(0)
	v_mul_f64 v[50:51], v[4:5], v[48:49]
	v_mul_f64 v[52:53], v[2:3], v[48:49]
	v_fma_f64 v[50:51], v[2:3], v[46:47], -v[50:51]
	v_fmac_f64_e32 v[52:53], v[4:5], v[46:47]
	v_add_f64 v[54:55], v[58:59], v[50:51]
	v_add_f64 v[56:57], v[60:61], v[52:53]
	ds_read_b128 v[50:53], v70 offset:1536
	s_waitcnt lgkmcnt(0)
	v_mul_f64 v[58:59], v[4:5], v[52:53]
	v_fma_f64 v[58:59], v[2:3], v[50:51], -v[58:59]
	v_mul_f64 v[2:3], v[2:3], v[52:53]
	v_fmac_f64_e32 v[2:3], v[4:5], v[50:51]
	v_add_f64 v[60:61], v[74:75], v[2:3]
	ds_read_b128 v[2:5], v63 offset:8240
	v_add_f64 v[58:59], v[72:73], v[58:59]
	s_waitcnt lgkmcnt(0)
	v_mul_f64 v[72:73], v[4:5], v[48:49]
	v_fma_f64 v[72:73], v[2:3], v[46:47], -v[72:73]
	v_mul_f64 v[48:49], v[2:3], v[48:49]
	v_fmac_f64_e32 v[48:49], v[4:5], v[46:47]
	v_add_f64 v[46:47], v[10:11], v[72:73]
	v_mul_f64 v[10:11], v[4:5], v[52:53]
	v_fma_f64 v[10:11], v[2:3], v[50:51], -v[10:11]
	v_mul_f64 v[2:3], v[2:3], v[52:53]
	v_fmac_f64_e32 v[2:3], v[4:5], v[50:51]
	v_add_f64 v[50:51], v[6:7], v[10:11]
	v_add_f64 v[52:53], v[8:9], v[2:3]
	ds_read_b128 v[2:5], v63 offset:64
	ds_read_b128 v[6:9], v65 offset:2048
	v_add_f64 v[48:49], v[12:13], v[48:49]
	s_waitcnt lgkmcnt(0)
	v_mul_f64 v[10:11], v[4:5], v[8:9]
	v_mul_f64 v[12:13], v[2:3], v[8:9]
	v_fma_f64 v[10:11], v[2:3], v[6:7], -v[10:11]
	v_fmac_f64_e32 v[12:13], v[4:5], v[6:7]
	v_add_f64 v[54:55], v[54:55], v[10:11]
	v_add_f64 v[56:57], v[56:57], v[12:13]
	ds_read_b128 v[10:13], v70 offset:2048
	s_waitcnt lgkmcnt(0)
	v_mul_f64 v[72:73], v[4:5], v[12:13]
	v_fma_f64 v[72:73], v[2:3], v[10:11], -v[72:73]
	v_mul_f64 v[2:3], v[2:3], v[12:13]
	v_fmac_f64_e32 v[2:3], v[4:5], v[10:11]
	v_add_f64 v[60:61], v[60:61], v[2:3]
	ds_read_b128 v[2:5], v63 offset:8256
	v_add_f64 v[58:59], v[58:59], v[72:73]
	s_waitcnt lgkmcnt(0)
	v_mul_f64 v[72:73], v[4:5], v[8:9]
	v_fma_f64 v[72:73], v[2:3], v[6:7], -v[72:73]
	v_mul_f64 v[8:9], v[2:3], v[8:9]
	v_fmac_f64_e32 v[8:9], v[4:5], v[6:7]
	v_add_f64 v[6:7], v[46:47], v[72:73]
	v_mul_f64 v[46:47], v[4:5], v[12:13]
	v_mul_f64 v[12:13], v[2:3], v[12:13]
	v_fma_f64 v[46:47], v[2:3], v[10:11], -v[46:47]
	v_fmac_f64_e32 v[12:13], v[4:5], v[10:11]
	v_add_f64 v[8:9], v[48:49], v[8:9]
	v_add_f64 v[2:3], v[50:51], v[46:47]
	v_add_f64 v[4:5], v[52:53], v[12:13]
	ds_read_b128 v[10:13], v63 offset:80
	ds_read_b128 v[46:49], v65 offset:2560
	s_waitcnt lgkmcnt(0)
	v_mul_f64 v[50:51], v[12:13], v[48:49]
	v_mul_f64 v[52:53], v[10:11], v[48:49]
	v_fma_f64 v[50:51], v[10:11], v[46:47], -v[50:51]
	v_fmac_f64_e32 v[52:53], v[12:13], v[46:47]
	v_add_f64 v[54:55], v[54:55], v[50:51]
	v_add_f64 v[56:57], v[56:57], v[52:53]
	ds_read_b128 v[50:53], v70 offset:2560
	s_waitcnt lgkmcnt(0)
	v_mul_f64 v[72:73], v[12:13], v[52:53]
	v_fma_f64 v[72:73], v[10:11], v[50:51], -v[72:73]
	v_mul_f64 v[10:11], v[10:11], v[52:53]
	v_fmac_f64_e32 v[10:11], v[12:13], v[50:51]
	v_add_f64 v[60:61], v[60:61], v[10:11]
	ds_read_b128 v[10:13], v63 offset:8272
	v_add_f64 v[58:59], v[58:59], v[72:73]
	s_waitcnt lgkmcnt(0)
	v_mul_f64 v[72:73], v[12:13], v[48:49]
	v_mul_f64 v[48:49], v[10:11], v[48:49]
	v_fma_f64 v[72:73], v[10:11], v[46:47], -v[72:73]
	v_fmac_f64_e32 v[48:49], v[12:13], v[46:47]
	v_add_f64 v[46:47], v[6:7], v[72:73]
	v_add_f64 v[48:49], v[8:9], v[48:49]
	v_mul_f64 v[6:7], v[12:13], v[52:53]
	v_mul_f64 v[8:9], v[10:11], v[52:53]
	v_fma_f64 v[6:7], v[10:11], v[50:51], -v[6:7]
	v_fmac_f64_e32 v[8:9], v[12:13], v[50:51]
	v_add_f64 v[50:51], v[2:3], v[6:7]
	v_add_f64 v[52:53], v[4:5], v[8:9]
	ds_read_b128 v[2:5], v63 offset:96
	ds_read_b128 v[6:9], v65 offset:3072
	s_waitcnt lgkmcnt(0)
	v_mul_f64 v[10:11], v[4:5], v[8:9]
	v_mul_f64 v[12:13], v[2:3], v[8:9]
	v_fma_f64 v[10:11], v[2:3], v[6:7], -v[10:11]
	v_fmac_f64_e32 v[12:13], v[4:5], v[6:7]
	v_add_f64 v[54:55], v[54:55], v[10:11]
	v_add_f64 v[56:57], v[56:57], v[12:13]
	ds_read_b128 v[10:13], v70 offset:3072
	s_waitcnt lgkmcnt(0)
	v_mul_f64 v[72:73], v[4:5], v[12:13]
	v_fma_f64 v[72:73], v[2:3], v[10:11], -v[72:73]
	v_mul_f64 v[2:3], v[2:3], v[12:13]
	v_fmac_f64_e32 v[2:3], v[4:5], v[10:11]
	v_add_f64 v[60:61], v[60:61], v[2:3]
	ds_read_b128 v[2:5], v63 offset:8288
	v_add_f64 v[58:59], v[58:59], v[72:73]
	s_waitcnt lgkmcnt(0)
	v_mul_f64 v[72:73], v[4:5], v[8:9]
	v_fma_f64 v[72:73], v[2:3], v[6:7], -v[72:73]
	v_mul_f64 v[8:9], v[2:3], v[8:9]
	v_fmac_f64_e32 v[8:9], v[4:5], v[6:7]
	v_add_f64 v[6:7], v[46:47], v[72:73]
	v_mul_f64 v[46:47], v[4:5], v[12:13]
	v_mul_f64 v[12:13], v[2:3], v[12:13]
	v_fma_f64 v[46:47], v[2:3], v[10:11], -v[46:47]
	v_fmac_f64_e32 v[12:13], v[4:5], v[10:11]
	v_add_f64 v[8:9], v[48:49], v[8:9]
	v_add_f64 v[2:3], v[50:51], v[46:47]
	v_add_f64 v[4:5], v[52:53], v[12:13]
	ds_read_b128 v[10:13], v63 offset:112
	ds_read_b128 v[46:49], v65 offset:3584
	s_waitcnt lgkmcnt(0)
	v_mul_f64 v[50:51], v[12:13], v[48:49]
	v_mul_f64 v[52:53], v[10:11], v[48:49]
	v_fma_f64 v[50:51], v[10:11], v[46:47], -v[50:51]
	v_fmac_f64_e32 v[52:53], v[12:13], v[46:47]
	v_add_f64 v[54:55], v[54:55], v[50:51]
	v_add_f64 v[56:57], v[56:57], v[52:53]
	ds_read_b128 v[50:53], v70 offset:3584
	s_waitcnt lgkmcnt(0)
	v_mul_f64 v[72:73], v[12:13], v[52:53]
	v_fma_f64 v[72:73], v[10:11], v[50:51], -v[72:73]
	v_mul_f64 v[10:11], v[10:11], v[52:53]
	v_fmac_f64_e32 v[10:11], v[12:13], v[50:51]
	v_add_f64 v[60:61], v[60:61], v[10:11]
	ds_read_b128 v[10:13], v63 offset:8304
	v_add_f64 v[58:59], v[58:59], v[72:73]
	s_waitcnt lgkmcnt(0)
	v_mul_f64 v[72:73], v[12:13], v[48:49]
	v_mul_f64 v[48:49], v[10:11], v[48:49]
	v_fma_f64 v[72:73], v[10:11], v[46:47], -v[72:73]
	v_fmac_f64_e32 v[48:49], v[12:13], v[46:47]
	v_add_f64 v[46:47], v[6:7], v[72:73]
	v_add_f64 v[48:49], v[8:9], v[48:49]
	v_mul_f64 v[6:7], v[12:13], v[52:53]
	v_mul_f64 v[8:9], v[10:11], v[52:53]
	v_fma_f64 v[6:7], v[10:11], v[50:51], -v[6:7]
	v_fmac_f64_e32 v[8:9], v[12:13], v[50:51]
	v_add_f64 v[50:51], v[2:3], v[6:7]
	v_add_f64 v[52:53], v[4:5], v[8:9]
	ds_read_b128 v[2:5], v63 offset:128
	ds_read_b128 v[6:9], v65 offset:4096
	;; [unrolled: 62-line block ×13, first 2 shown]
	s_waitcnt lgkmcnt(0)
	v_mul_f64 v[10:11], v[4:5], v[8:9]
	v_mul_f64 v[12:13], v[2:3], v[8:9]
	v_fma_f64 v[10:11], v[2:3], v[6:7], -v[10:11]
	v_fmac_f64_e32 v[12:13], v[4:5], v[6:7]
	v_add_f64 v[54:55], v[54:55], v[10:11]
	v_add_f64 v[56:57], v[56:57], v[12:13]
	ds_read_b128 v[10:13], v70 offset:15360
	s_waitcnt lgkmcnt(0)
	v_mul_f64 v[72:73], v[4:5], v[12:13]
	v_fma_f64 v[72:73], v[2:3], v[10:11], -v[72:73]
	v_mul_f64 v[2:3], v[2:3], v[12:13]
	v_fmac_f64_e32 v[2:3], v[4:5], v[10:11]
	v_add_f64 v[78:79], v[60:61], v[2:3]
	ds_read_b128 v[2:5], v63 offset:8672
	v_add_f64 v[76:77], v[58:59], v[72:73]
	s_waitcnt lgkmcnt(0)
	v_mul_f64 v[58:59], v[4:5], v[8:9]
	v_fma_f64 v[58:59], v[2:3], v[6:7], -v[58:59]
	v_mul_f64 v[8:9], v[2:3], v[8:9]
	v_fmac_f64_e32 v[8:9], v[4:5], v[6:7]
	v_add_f64 v[6:7], v[46:47], v[58:59]
	v_mul_f64 v[46:47], v[4:5], v[12:13]
	v_mul_f64 v[12:13], v[2:3], v[12:13]
	v_fma_f64 v[46:47], v[2:3], v[10:11], -v[46:47]
	v_fmac_f64_e32 v[12:13], v[4:5], v[10:11]
	v_add_f64 v[8:9], v[48:49], v[8:9]
	v_add_f64 v[2:3], v[50:51], v[46:47]
	;; [unrolled: 1-line block ×3, first 2 shown]
	ds_read_b128 v[10:13], v63 offset:496
	ds_read_b128 v[46:49], v65 offset:15872
	;; [unrolled: 1-line block ×3, first 2 shown]
	s_waitcnt lgkmcnt(1)
	v_mul_f64 v[50:51], v[12:13], v[48:49]
	v_fma_f64 v[50:51], v[10:11], v[46:47], -v[50:51]
	v_add_f64 v[58:59], v[54:55], v[50:51]
	s_waitcnt lgkmcnt(0)
	v_mul_f64 v[50:51], v[12:13], v[74:75]
	v_mul_f64 v[52:53], v[10:11], v[48:49]
	v_fma_f64 v[50:51], v[10:11], v[72:73], -v[50:51]
	v_mul_f64 v[10:11], v[10:11], v[74:75]
	v_fmac_f64_e32 v[52:53], v[12:13], v[46:47]
	v_fmac_f64_e32 v[10:11], v[12:13], v[72:73]
	v_add_f64 v[60:61], v[56:57], v[52:53]
	v_add_f64 v[56:57], v[78:79], v[10:11]
	ds_read_b128 v[10:13], v63 offset:8688
	v_add_f64 v[52:53], v[76:77], v[50:51]
	s_waitcnt lgkmcnt(0)
	s_barrier
	v_mul_f64 v[50:51], v[12:13], v[48:49]
	v_fma_f64 v[50:51], v[10:11], v[46:47], -v[50:51]
	v_mul_f64 v[48:49], v[10:11], v[48:49]
	v_add_f64 v[50:51], v[6:7], v[50:51]
	v_mul_f64 v[6:7], v[12:13], v[74:75]
	v_fmac_f64_e32 v[48:49], v[12:13], v[46:47]
	v_fma_f64 v[6:7], v[10:11], v[72:73], -v[6:7]
	v_add_f64 v[54:55], v[8:9], v[48:49]
	v_add_f64 v[48:49], v[2:3], v[6:7]
	v_mov_b32_e32 v2, s35
	v_addc_co_u32_e64 v45, s[10:11], v45, v2, s[10:11]
	v_add_co_u32_e64 v34, s[10:11], s30, v34
	v_mov_b32_e32 v2, s31
	v_mul_f64 v[8:9], v[10:11], v[74:75]
	v_addc_co_u32_e64 v35, s[10:11], v35, v2, s[10:11]
	v_fmac_f64_e32 v[8:9], v[12:13], v[72:73]
	v_add_co_u32_e64 v36, s[10:11], s30, v36
	v_add_f64 v[46:47], v[4:5], v[8:9]
	v_addc_co_u32_e64 v37, s[10:11], v37, v2, s[10:11]
	s_cbranch_scc1 .LBB130_55
.LBB130_7:                              ;   Parent Loop BB130_4 Depth=1
                                        ; =>  This Inner Loop Header: Depth=2
	v_mov_b32_e32 v2, s27
	v_add_co_u32_e64 v6, s[10:11], s26, v20
	v_addc_co_u32_e64 v7, s[10:11], v21, v2, s[10:11]
	v_add_co_u32_e64 v4, s[10:11], v34, v30
	v_addc_co_u32_e64 v5, s[10:11], v35, v31, s[10:11]
	v_cmp_eq_u64_e64 s[10:11], s[26:27], v[26:27]
	s_and_b64 s[48:49], s[28:29], s[10:11]
	v_cmp_lt_i64_e64 s[10:11], v[6:7], v[24:25]
	v_cmp_le_i64_e64 s[12:13], s[50:51], v[6:7]
	s_or_b64 s[14:15], vcc, s[10:11]
	s_or_b64 s[14:15], s[12:13], s[14:15]
	s_or_b64 s[14:15], s[14:15], s[48:49]
	s_xor_b64 s[14:15], s[14:15], -1
	s_and_saveexec_b64 s[18:19], s[14:15]
	s_xor_b64 s[14:15], exec, s[18:19]
	s_cbranch_execz .LBB130_9
; %bb.8:                                ;   in Loop: Header=BB130_7 Depth=2
	global_load_dwordx4 v[8:11], v[4:5], off
	s_waitcnt vmcnt(0)
	v_xor_b32_e32 v11, 0x80000000, v11
	ds_write_b128 v64, v[8:11]
.LBB130_9:                              ;   in Loop: Header=BB130_7 Depth=2
	s_or_saveexec_b64 s[14:15], s[14:15]
	s_xor_b64 s[42:43], s[48:49], -1
	s_xor_b64 exec, exec, s[14:15]
	s_cbranch_execz .LBB130_15
; %bb.10:                               ;   in Loop: Header=BB130_7 Depth=2
	s_and_saveexec_b64 s[18:19], s[42:43]
	s_xor_b64 s[18:19], exec, s[18:19]
	s_cbranch_execz .LBB130_12
; %bb.11:                               ;   in Loop: Header=BB130_7 Depth=2
	v_mov_b32_e32 v8, v0
	v_mov_b32_e32 v9, v0
	;; [unrolled: 1-line block ×4, first 2 shown]
	ds_write_b128 v64, v[8:11]
.LBB130_12:                             ;   in Loop: Header=BB130_7 Depth=2
	s_andn2_saveexec_b64 s[18:19], s[18:19]
	s_cbranch_execz .LBB130_14
; %bb.13:                               ;   in Loop: Header=BB130_7 Depth=2
	v_mov_b32_e32 v2, v0
	v_mov_b32_e32 v3, v0
	ds_write_b128 v64, v[0:3]
.LBB130_14:                             ;   in Loop: Header=BB130_7 Depth=2
	s_or_b64 exec, exec, s[18:19]
.LBB130_15:                             ;   in Loop: Header=BB130_7 Depth=2
	s_or_b64 exec, exec, s[14:15]
	v_add_co_u32_e64 v2, s[14:15], 16, v6
	v_addc_co_u32_e64 v3, s[14:15], 0, v7, s[14:15]
	v_cmp_eq_u64_e64 s[14:15], s[26:27], v[42:43]
	v_cmp_lt_i64_e64 s[18:19], v[2:3], v[24:25]
	s_and_b64 s[54:55], s[28:29], s[14:15]
	v_cmp_le_i64_e64 s[14:15], s[50:51], v[2:3]
	s_or_b64 s[18:19], vcc, s[18:19]
	s_or_b64 s[18:19], s[14:15], s[18:19]
	s_or_b64 s[18:19], s[18:19], s[54:55]
	s_xor_b64 s[18:19], s[18:19], -1
	s_and_saveexec_b64 s[56:57], s[18:19]
	s_xor_b64 s[56:57], exec, s[56:57]
	s_cbranch_execz .LBB130_17
; %bb.16:                               ;   in Loop: Header=BB130_7 Depth=2
	v_add_co_u32_e64 v2, s[18:19], v36, v30
	v_addc_co_u32_e64 v3, s[18:19], v37, v31, s[18:19]
	global_load_dwordx4 v[8:11], v[2:3], off
	s_waitcnt vmcnt(0)
	v_xor_b32_e32 v11, 0x80000000, v11
	ds_write_b128 v64, v[8:11] offset:256
.LBB130_17:                             ;   in Loop: Header=BB130_7 Depth=2
	s_andn2_saveexec_b64 s[18:19], s[56:57]
	s_cbranch_execz .LBB130_23
; %bb.18:                               ;   in Loop: Header=BB130_7 Depth=2
	s_xor_b64 s[54:55], s[54:55], -1
	s_and_saveexec_b64 s[56:57], s[54:55]
	s_xor_b64 s[54:55], exec, s[56:57]
	s_cbranch_execz .LBB130_20
; %bb.19:                               ;   in Loop: Header=BB130_7 Depth=2
	v_mov_b32_e32 v8, v0
	v_mov_b32_e32 v9, v0
	;; [unrolled: 1-line block ×4, first 2 shown]
	ds_write_b128 v64, v[8:11] offset:256
.LBB130_20:                             ;   in Loop: Header=BB130_7 Depth=2
	s_andn2_saveexec_b64 s[54:55], s[54:55]
	s_cbranch_execz .LBB130_22
; %bb.21:                               ;   in Loop: Header=BB130_7 Depth=2
	v_mov_b32_e32 v2, v0
	v_mov_b32_e32 v3, v0
	ds_write_b128 v64, v[0:3] offset:256
.LBB130_22:                             ;   in Loop: Header=BB130_7 Depth=2
	s_or_b64 exec, exec, s[54:55]
.LBB130_23:                             ;   in Loop: Header=BB130_7 Depth=2
	s_or_b64 exec, exec, s[18:19]
	v_cmp_eq_u64_e64 s[18:19], s[26:27], v[40:41]
	s_and_b64 s[54:55], s[28:29], s[18:19]
	v_cmp_lt_i64_e64 s[18:19], v[6:7], v[38:39]
	s_or_b64 s[18:19], s[8:9], s[18:19]
	s_or_b64 s[18:19], s[18:19], s[54:55]
	;; [unrolled: 1-line block ×3, first 2 shown]
	s_xor_b64 s[12:13], s[12:13], -1
	s_and_saveexec_b64 s[18:19], s[12:13]
	s_xor_b64 s[12:13], exec, s[18:19]
	s_cbranch_execz .LBB130_25
; %bb.24:                               ;   in Loop: Header=BB130_7 Depth=2
	global_load_dwordx4 v[2:5], v[4:5], off offset:256
	s_waitcnt vmcnt(0)
	v_xor_b32_e32 v5, 0x80000000, v5
	ds_write_b128 v64, v[2:5] offset:8192
.LBB130_25:                             ;   in Loop: Header=BB130_7 Depth=2
	s_andn2_saveexec_b64 s[12:13], s[12:13]
	s_cbranch_execz .LBB130_31
; %bb.26:                               ;   in Loop: Header=BB130_7 Depth=2
	s_xor_b64 s[18:19], s[54:55], -1
	s_and_saveexec_b64 s[54:55], s[18:19]
	s_xor_b64 s[18:19], exec, s[54:55]
	s_cbranch_execz .LBB130_28
; %bb.27:                               ;   in Loop: Header=BB130_7 Depth=2
	v_mov_b32_e32 v2, v0
	v_mov_b32_e32 v3, v0
	;; [unrolled: 1-line block ×4, first 2 shown]
	ds_write_b128 v64, v[2:5] offset:8192
.LBB130_28:                             ;   in Loop: Header=BB130_7 Depth=2
	s_andn2_saveexec_b64 s[18:19], s[18:19]
	s_cbranch_execz .LBB130_30
; %bb.29:                               ;   in Loop: Header=BB130_7 Depth=2
	v_mov_b32_e32 v2, v0
	v_mov_b32_e32 v3, v0
	ds_write_b128 v64, v[0:3] offset:8192
.LBB130_30:                             ;   in Loop: Header=BB130_7 Depth=2
	s_or_b64 exec, exec, s[18:19]
.LBB130_31:                             ;   in Loop: Header=BB130_7 Depth=2
	s_or_b64 exec, exec, s[12:13]
	s_or_b64 s[10:11], s[8:9], s[10:11]
	s_or_b64 s[10:11], s[14:15], s[10:11]
	s_or_b64 s[10:11], s[10:11], s[48:49]
	s_xor_b64 s[10:11], s[10:11], -1
	s_and_saveexec_b64 s[12:13], s[10:11]
	s_xor_b64 s[12:13], exec, s[12:13]
	s_cbranch_execz .LBB130_33
; %bb.32:                               ;   in Loop: Header=BB130_7 Depth=2
	v_add_co_u32_e64 v2, s[10:11], v36, v30
	v_addc_co_u32_e64 v3, s[10:11], v37, v31, s[10:11]
	global_load_dwordx4 v[2:5], v[2:3], off offset:256
	s_waitcnt vmcnt(0)
	v_xor_b32_e32 v5, 0x80000000, v5
	ds_write_b128 v64, v[2:5] offset:8448
.LBB130_33:                             ;   in Loop: Header=BB130_7 Depth=2
	s_andn2_saveexec_b64 s[10:11], s[12:13]
	s_cbranch_execz .LBB130_39
; %bb.34:                               ;   in Loop: Header=BB130_7 Depth=2
	s_and_saveexec_b64 s[12:13], s[42:43]
	s_xor_b64 s[12:13], exec, s[12:13]
	s_cbranch_execz .LBB130_36
; %bb.35:                               ;   in Loop: Header=BB130_7 Depth=2
	v_mov_b32_e32 v2, v0
	v_mov_b32_e32 v3, v0
	;; [unrolled: 1-line block ×4, first 2 shown]
	ds_write_b128 v64, v[2:5] offset:8448
.LBB130_36:                             ;   in Loop: Header=BB130_7 Depth=2
	s_andn2_saveexec_b64 s[12:13], s[12:13]
	s_cbranch_execz .LBB130_38
; %bb.37:                               ;   in Loop: Header=BB130_7 Depth=2
	v_mov_b32_e32 v2, v0
	v_mov_b32_e32 v3, v0
	ds_write_b128 v64, v[0:3] offset:8448
.LBB130_38:                             ;   in Loop: Header=BB130_7 Depth=2
	s_or_b64 exec, exec, s[12:13]
.LBB130_39:                             ;   in Loop: Header=BB130_7 Depth=2
	s_or_b64 exec, exec, s[10:11]
	v_mov_b32_e32 v3, s27
	v_add_co_u32_e64 v2, s[10:11], s26, v22
	v_addc_co_u32_e64 v3, s[10:11], v23, v3, s[10:11]
	v_add_co_u32_e64 v4, s[10:11], v44, v28
	v_addc_co_u32_e64 v5, s[10:11], v45, v29, s[10:11]
	v_cmp_le_i64_e64 s[10:11], s[50:51], v[2:3]
	s_or_b64 s[12:13], s[10:11], s[0:1]
	s_xor_b64 s[12:13], s[12:13], -1
	s_and_saveexec_b64 s[14:15], s[12:13]
	s_xor_b64 s[12:13], exec, s[14:15]
	s_cbranch_execz .LBB130_41
; %bb.40:                               ;   in Loop: Header=BB130_7 Depth=2
	global_load_dwordx4 v[6:9], v[4:5], off offset:-256
	s_waitcnt vmcnt(0)
	ds_write2_b64 v66, v[6:7], v[8:9] offset1:1
.LBB130_41:                             ;   in Loop: Header=BB130_7 Depth=2
	s_andn2_saveexec_b64 s[12:13], s[12:13]
	s_cbranch_execz .LBB130_43
; %bb.42:                               ;   in Loop: Header=BB130_7 Depth=2
	v_mov_b32_e32 v6, v0
	v_mov_b32_e32 v7, v0
	;; [unrolled: 1-line block ×4, first 2 shown]
	ds_write_b128 v66, v[6:9]
.LBB130_43:                             ;   in Loop: Header=BB130_7 Depth=2
	s_or_b64 exec, exec, s[12:13]
	s_or_b64 s[10:11], s[10:11], s[2:3]
	s_xor_b64 s[10:11], s[10:11], -1
	s_and_saveexec_b64 s[12:13], s[10:11]
	s_xor_b64 s[10:11], exec, s[12:13]
	s_cbranch_execz .LBB130_45
; %bb.44:                               ;   in Loop: Header=BB130_7 Depth=2
	global_load_dwordx4 v[4:7], v[4:5], off
	s_waitcnt vmcnt(0)
	ds_write2_b64 v67, v[4:5], v[6:7] offset1:1
.LBB130_45:                             ;   in Loop: Header=BB130_7 Depth=2
	s_andn2_saveexec_b64 s[10:11], s[10:11]
	s_cbranch_execz .LBB130_47
; %bb.46:                               ;   in Loop: Header=BB130_7 Depth=2
	v_mov_b32_e32 v4, v0
	v_mov_b32_e32 v5, v0
	;; [unrolled: 1-line block ×4, first 2 shown]
	ds_write_b128 v67, v[4:7]
.LBB130_47:                             ;   in Loop: Header=BB130_7 Depth=2
	s_or_b64 exec, exec, s[10:11]
	v_cmp_le_i64_e64 s[10:11], s[38:39], v[2:3]
	s_or_b64 s[12:13], s[10:11], s[0:1]
	s_xor_b64 s[12:13], s[12:13], -1
	s_and_saveexec_b64 s[14:15], s[12:13]
	s_xor_b64 s[14:15], exec, s[14:15]
	s_cbranch_execz .LBB130_49
; %bb.48:                               ;   in Loop: Header=BB130_7 Depth=2
	v_add_co_u32_e64 v2, s[12:13], v44, v32
	v_addc_co_u32_e64 v3, s[12:13], v45, v33, s[12:13]
	global_load_dwordx4 v[2:5], v[2:3], off offset:-256
	s_waitcnt vmcnt(0)
	ds_write2_b64 v68, v[2:3], v[4:5] offset1:1
.LBB130_49:                             ;   in Loop: Header=BB130_7 Depth=2
	s_andn2_saveexec_b64 s[12:13], s[14:15]
	s_cbranch_execz .LBB130_51
; %bb.50:                               ;   in Loop: Header=BB130_7 Depth=2
	v_mov_b32_e32 v2, v0
	v_mov_b32_e32 v3, v0
	;; [unrolled: 1-line block ×4, first 2 shown]
	ds_write_b128 v68, v[2:5]
.LBB130_51:                             ;   in Loop: Header=BB130_7 Depth=2
	s_or_b64 exec, exec, s[12:13]
	s_or_b64 s[10:11], s[10:11], s[2:3]
	s_xor_b64 s[10:11], s[10:11], -1
	s_and_saveexec_b64 s[12:13], s[10:11]
	s_xor_b64 s[12:13], exec, s[12:13]
	s_cbranch_execz .LBB130_53
; %bb.52:                               ;   in Loop: Header=BB130_7 Depth=2
	v_add_co_u32_e64 v2, s[10:11], v44, v32
	v_addc_co_u32_e64 v3, s[10:11], v45, v33, s[10:11]
	global_load_dwordx4 v[2:5], v[2:3], off
	s_waitcnt vmcnt(0)
	ds_write2_b64 v69, v[2:3], v[4:5] offset1:1
.LBB130_53:                             ;   in Loop: Header=BB130_7 Depth=2
	s_andn2_saveexec_b64 s[10:11], s[12:13]
	s_cbranch_execz .LBB130_6
; %bb.54:                               ;   in Loop: Header=BB130_7 Depth=2
	v_mov_b32_e32 v2, v0
	v_mov_b32_e32 v3, v0
	;; [unrolled: 1-line block ×4, first 2 shown]
	ds_write_b128 v69, v[2:5]
	s_branch .LBB130_6
.LBB130_55:                             ;   in Loop: Header=BB130_4 Depth=1
	v_mul_lo_u32 v4, v25, s52
	v_mul_lo_u32 v5, v24, s53
	v_mad_u64_u32 v[2:3], s[8:9], v24, s52, 0
	v_add3_u32 v3, v3, v5, v4
	v_lshlrev_b64 v[2:3], 4, v[2:3]
	v_mov_b32_e32 v4, s60
	v_add_co_u32_e64 v2, s[8:9], s59, v2
	v_cmp_gt_i32_e32 vcc, s50, v24
	v_addc_co_u32_e64 v3, s[8:9], v4, v3, s[8:9]
	s_and_b64 s[8:9], s[4:5], vcc
	s_and_saveexec_b64 s[10:11], s[8:9]
	s_cbranch_execz .LBB130_57
; %bb.56:                               ;   in Loop: Header=BB130_4 Depth=1
	v_add_co_u32_e64 v8, s[8:9], v2, v14
	v_addc_co_u32_e64 v9, s[8:9], v3, v15, s[8:9]
	global_load_dwordx4 v[4:7], v[8:9], off
	v_mul_f64 v[10:11], s[46:47], v[60:61]
	v_mul_f64 v[12:13], s[44:45], v[60:61]
	v_fma_f64 v[10:11], s[44:45], v[58:59], -v[10:11]
	v_fmac_f64_e32 v[12:13], s[46:47], v[58:59]
	s_waitcnt vmcnt(0)
	v_add_f64 v[4:5], v[4:5], v[10:11]
	v_add_f64 v[6:7], v[6:7], v[12:13]
	global_store_dwordx4 v[8:9], v[4:7], off
.LBB130_57:                             ;   in Loop: Header=BB130_4 Depth=1
	s_or_b64 exec, exec, s[10:11]
	s_and_b64 s[10:11], s[16:17], vcc
	s_and_saveexec_b64 s[8:9], s[10:11]
	s_cbranch_execz .LBB130_59
; %bb.58:                               ;   in Loop: Header=BB130_4 Depth=1
	v_lshlrev_b64 v[4:5], 4, v[18:19]
	v_add_co_u32_e32 v6, vcc, v2, v4
	v_addc_co_u32_e32 v7, vcc, v3, v5, vcc
	global_load_dwordx4 v[2:5], v[6:7], off
	v_mul_f64 v[8:9], s[46:47], v[56:57]
	v_mul_f64 v[10:11], s[44:45], v[56:57]
	v_fma_f64 v[8:9], s[44:45], v[52:53], -v[8:9]
	v_fmac_f64_e32 v[10:11], s[46:47], v[52:53]
	s_waitcnt vmcnt(0)
	v_add_f64 v[2:3], v[2:3], v[8:9]
	v_add_f64 v[4:5], v[4:5], v[10:11]
	global_store_dwordx4 v[6:7], v[2:5], off
.LBB130_59:                             ;   in Loop: Header=BB130_4 Depth=1
	s_or_b64 exec, exec, s[8:9]
	v_add_u32_e32 v2, 16, v24
	v_ashrrev_i32_e32 v3, 31, v2
	v_cmp_gt_i32_e32 vcc, s50, v2
	v_mul_lo_u32 v4, v3, s52
	v_mul_lo_u32 v5, v2, s53
	v_mad_u64_u32 v[2:3], s[8:9], v2, s52, 0
	v_add3_u32 v3, v3, v5, v4
	v_lshlrev_b64 v[2:3], 4, v[2:3]
	v_mov_b32_e32 v4, s60
	v_add_co_u32_e64 v2, s[8:9], s59, v2
	v_addc_co_u32_e64 v3, s[8:9], v4, v3, s[8:9]
	s_and_b64 s[8:9], s[4:5], vcc
	s_and_saveexec_b64 s[10:11], s[8:9]
	s_cbranch_execz .LBB130_61
; %bb.60:                               ;   in Loop: Header=BB130_4 Depth=1
	v_add_co_u32_e64 v8, s[8:9], v2, v14
	v_addc_co_u32_e64 v9, s[8:9], v3, v15, s[8:9]
	global_load_dwordx4 v[4:7], v[8:9], off
	v_mul_f64 v[10:11], s[46:47], v[54:55]
	v_mul_f64 v[12:13], s[44:45], v[54:55]
	v_fma_f64 v[10:11], s[44:45], v[50:51], -v[10:11]
	v_fmac_f64_e32 v[12:13], s[46:47], v[50:51]
	s_waitcnt vmcnt(0)
	v_add_f64 v[4:5], v[4:5], v[10:11]
	v_add_f64 v[6:7], v[6:7], v[12:13]
	global_store_dwordx4 v[8:9], v[4:7], off
.LBB130_61:                             ;   in Loop: Header=BB130_4 Depth=1
	s_or_b64 exec, exec, s[10:11]
	s_and_b64 s[10:11], s[16:17], vcc
	s_and_saveexec_b64 s[8:9], s[10:11]
	s_cbranch_execz .LBB130_3
; %bb.62:                               ;   in Loop: Header=BB130_4 Depth=1
	v_lshlrev_b64 v[4:5], 4, v[18:19]
	v_add_co_u32_e32 v6, vcc, v2, v4
	v_addc_co_u32_e32 v7, vcc, v3, v5, vcc
	global_load_dwordx4 v[2:5], v[6:7], off
	v_mul_f64 v[8:9], s[46:47], v[46:47]
	v_mul_f64 v[10:11], s[44:45], v[46:47]
	v_fma_f64 v[8:9], s[44:45], v[48:49], -v[8:9]
	v_fmac_f64_e32 v[10:11], s[46:47], v[48:49]
	s_waitcnt vmcnt(0)
	v_add_f64 v[2:3], v[2:3], v[8:9]
	v_add_f64 v[4:5], v[4:5], v[10:11]
	global_store_dwordx4 v[6:7], v[2:5], off
	s_branch .LBB130_3
.LBB130_63:
	s_endpgm
	.section	.rodata,"a",@progbits
	.p2align	6, 0x0
	.amdhsa_kernel _ZL30rocblas_trmm_outofplace_kernelI19rocblas_complex_numIdELi32ELi2ELb0ELb1ELb1ELb1EPKS1_S2_S1_Ev17rocblas_diagonal_iiT6_lPT7_lllS7_lllPT8_llli
		.amdhsa_group_segment_fixed_size 32768
		.amdhsa_private_segment_fixed_size 0
		.amdhsa_kernarg_size 392
		.amdhsa_user_sgpr_count 6
		.amdhsa_user_sgpr_private_segment_buffer 1
		.amdhsa_user_sgpr_dispatch_ptr 0
		.amdhsa_user_sgpr_queue_ptr 0
		.amdhsa_user_sgpr_kernarg_segment_ptr 1
		.amdhsa_user_sgpr_dispatch_id 0
		.amdhsa_user_sgpr_flat_scratch_init 0
		.amdhsa_user_sgpr_kernarg_preload_length 0
		.amdhsa_user_sgpr_kernarg_preload_offset 0
		.amdhsa_user_sgpr_private_segment_size 0
		.amdhsa_uses_dynamic_stack 0
		.amdhsa_system_sgpr_private_segment_wavefront_offset 0
		.amdhsa_system_sgpr_workgroup_id_x 1
		.amdhsa_system_sgpr_workgroup_id_y 1
		.amdhsa_system_sgpr_workgroup_id_z 1
		.amdhsa_system_sgpr_workgroup_info 0
		.amdhsa_system_vgpr_workitem_id 1
		.amdhsa_next_free_vgpr 88
		.amdhsa_next_free_sgpr 63
		.amdhsa_accum_offset 88
		.amdhsa_reserve_vcc 1
		.amdhsa_reserve_flat_scratch 0
		.amdhsa_float_round_mode_32 0
		.amdhsa_float_round_mode_16_64 0
		.amdhsa_float_denorm_mode_32 3
		.amdhsa_float_denorm_mode_16_64 3
		.amdhsa_dx10_clamp 1
		.amdhsa_ieee_mode 1
		.amdhsa_fp16_overflow 0
		.amdhsa_tg_split 0
		.amdhsa_exception_fp_ieee_invalid_op 0
		.amdhsa_exception_fp_denorm_src 0
		.amdhsa_exception_fp_ieee_div_zero 0
		.amdhsa_exception_fp_ieee_overflow 0
		.amdhsa_exception_fp_ieee_underflow 0
		.amdhsa_exception_fp_ieee_inexact 0
		.amdhsa_exception_int_div_zero 0
	.end_amdhsa_kernel
	.section	.text._ZL30rocblas_trmm_outofplace_kernelI19rocblas_complex_numIdELi32ELi2ELb0ELb1ELb1ELb1EPKS1_S2_S1_Ev17rocblas_diagonal_iiT6_lPT7_lllS7_lllPT8_llli,"axG",@progbits,_ZL30rocblas_trmm_outofplace_kernelI19rocblas_complex_numIdELi32ELi2ELb0ELb1ELb1ELb1EPKS1_S2_S1_Ev17rocblas_diagonal_iiT6_lPT7_lllS7_lllPT8_llli,comdat
.Lfunc_end130:
	.size	_ZL30rocblas_trmm_outofplace_kernelI19rocblas_complex_numIdELi32ELi2ELb0ELb1ELb1ELb1EPKS1_S2_S1_Ev17rocblas_diagonal_iiT6_lPT7_lllS7_lllPT8_llli, .Lfunc_end130-_ZL30rocblas_trmm_outofplace_kernelI19rocblas_complex_numIdELi32ELi2ELb0ELb1ELb1ELb1EPKS1_S2_S1_Ev17rocblas_diagonal_iiT6_lPT7_lllS7_lllPT8_llli
                                        ; -- End function
	.section	.AMDGPU.csdata,"",@progbits
; Kernel info:
; codeLenInByte = 9696
; NumSgprs: 67
; NumVgprs: 88
; NumAgprs: 0
; TotalNumVgprs: 88
; ScratchSize: 0
; MemoryBound: 0
; FloatMode: 240
; IeeeMode: 1
; LDSByteSize: 32768 bytes/workgroup (compile time only)
; SGPRBlocks: 8
; VGPRBlocks: 10
; NumSGPRsForWavesPerEU: 67
; NumVGPRsForWavesPerEU: 88
; AccumOffset: 88
; Occupancy: 5
; WaveLimiterHint : 0
; COMPUTE_PGM_RSRC2:SCRATCH_EN: 0
; COMPUTE_PGM_RSRC2:USER_SGPR: 6
; COMPUTE_PGM_RSRC2:TRAP_HANDLER: 0
; COMPUTE_PGM_RSRC2:TGID_X_EN: 1
; COMPUTE_PGM_RSRC2:TGID_Y_EN: 1
; COMPUTE_PGM_RSRC2:TGID_Z_EN: 1
; COMPUTE_PGM_RSRC2:TIDIG_COMP_CNT: 1
; COMPUTE_PGM_RSRC3_GFX90A:ACCUM_OFFSET: 21
; COMPUTE_PGM_RSRC3_GFX90A:TG_SPLIT: 0
	.section	.text._ZL30rocblas_trmm_outofplace_kernelI19rocblas_complex_numIdELi32ELi2ELb0ELb1ELb1ELb1ES1_KS1_S1_Ev17rocblas_diagonal_iiT6_lPT7_lllS6_lllPT8_llli,"axG",@progbits,_ZL30rocblas_trmm_outofplace_kernelI19rocblas_complex_numIdELi32ELi2ELb0ELb1ELb1ELb1ES1_KS1_S1_Ev17rocblas_diagonal_iiT6_lPT7_lllS6_lllPT8_llli,comdat
	.globl	_ZL30rocblas_trmm_outofplace_kernelI19rocblas_complex_numIdELi32ELi2ELb0ELb1ELb1ELb1ES1_KS1_S1_Ev17rocblas_diagonal_iiT6_lPT7_lllS6_lllPT8_llli ; -- Begin function _ZL30rocblas_trmm_outofplace_kernelI19rocblas_complex_numIdELi32ELi2ELb0ELb1ELb1ELb1ES1_KS1_S1_Ev17rocblas_diagonal_iiT6_lPT7_lllS6_lllPT8_llli
	.p2align	8
	.type	_ZL30rocblas_trmm_outofplace_kernelI19rocblas_complex_numIdELi32ELi2ELb0ELb1ELb1ELb1ES1_KS1_S1_Ev17rocblas_diagonal_iiT6_lPT7_lllS6_lllPT8_llli,@function
_ZL30rocblas_trmm_outofplace_kernelI19rocblas_complex_numIdELi32ELi2ELb0ELb1ELb1ELb1ES1_KS1_S1_Ev17rocblas_diagonal_iiT6_lPT7_lllS6_lllPT8_llli: ; @_ZL30rocblas_trmm_outofplace_kernelI19rocblas_complex_numIdELi32ELi2ELb0ELb1ELb1ELb1ES1_KS1_S1_Ev17rocblas_diagonal_iiT6_lPT7_lllS6_lllPT8_llli
; %bb.0:
	s_load_dwordx4 s[24:27], s[4:5], 0x10
	s_waitcnt lgkmcnt(0)
	v_cmp_eq_f64_e64 s[0:1], s[24:25], 0
	v_cmp_eq_f64_e64 s[2:3], s[26:27], 0
	s_and_b64 s[0:1], s[0:1], s[2:3]
	s_and_b64 vcc, exec, s[0:1]
	s_cbranch_vccnz .LBB131_63
; %bb.1:
	s_load_dwordx4 s[28:31], s[4:5], 0x0
	s_waitcnt lgkmcnt(0)
	s_add_i32 s0, s30, -1
	s_ashr_i32 s1, s0, 31
	s_lshr_b32 s1, s1, 27
	s_add_i32 s0, s0, s1
	s_ashr_i32 s33, s0, 5
	s_cmp_gt_i32 s7, s33
	s_cbranch_scc1 .LBB131_63
; %bb.2:
	s_load_dwordx16 s[36:51], s[4:5], 0x28
	s_load_dwordx8 s[16:23], s[4:5], 0x68
	v_and_b32_e32 v4, 0x3ff, v0
	v_bfe_u32 v62, v0, 10, 10
	v_lshl_add_u32 v0, s6, 5, v4
	s_waitcnt lgkmcnt(0)
	s_mul_i32 s1, s8, s51
	s_mul_hi_u32 s2, s8, s50
	s_mul_i32 s0, s8, s50
	s_add_i32 s1, s2, s1
	s_lshl_b64 s[0:1], s[0:1], 4
	s_add_u32 s2, s44, s0
	s_addc_u32 s3, s45, s1
	s_lshl_b64 s[0:1], s[46:47], 4
	s_add_u32 s2, s2, s0
	s_addc_u32 s3, s3, s1
	s_mul_i32 s0, s8, s23
	s_mul_hi_u32 s1, s8, s22
	s_add_i32 s1, s1, s0
	s_mul_i32 s0, s8, s22
	s_lshl_b64 s[0:1], s[0:1], 4
	s_add_u32 s9, s16, s0
	s_addc_u32 s10, s17, s1
	s_lshl_b64 s[0:1], s[18:19], 4
	s_add_u32 s58, s9, s0
	s_addc_u32 s59, s10, s1
	s_cmpk_eq_i32 s28, 0x84
	s_cselect_b64 s[22:23], -1, 0
	s_ashr_i32 s31, s30, 31
	s_ashr_i32 s0, s29, 31
	s_lshl_b64 s[34:35], s[40:41], 9
	s_lshl_b64 s[44:45], s[48:49], 9
	s_load_dword s6, s[4:5], 0x94
	v_ashrrev_i32_e32 v1, 31, v0
	s_add_u32 s46, s30, -16
	v_lshlrev_b64 v[14:15], 4, v[0:1]
	s_addc_u32 s47, s31, -1
	s_lshl_b32 s9, s7, 5
	v_mov_b32_e32 v2, s3
	v_add_co_u32_e32 v16, vcc, s2, v14
	v_add_u32_e32 v20, s9, v4
	v_add_u32_e32 v22, s9, v62
	s_mul_i32 s9, s43, s8
	s_mul_hi_u32 s10, s42, s8
	v_addc_co_u32_e32 v17, vcc, v2, v15, vcc
	v_add_u32_e32 v18, 16, v0
	s_add_i32 s9, s10, s9
	s_mul_i32 s8, s42, s8
	v_mov_b32_e32 v3, s0
	v_sub_co_u32_e32 v2, vcc, s29, v0
	v_cmp_gt_i32_e64 s[4:5], s29, v0
	v_cmp_gt_i32_e64 s[16:17], s29, v18
	s_waitcnt lgkmcnt(0)
	s_lshl_b32 s61, s6, 5
	s_lshl_b64 s[28:29], s[48:49], 4
	s_lshl_b64 s[8:9], s[8:9], 4
	;; [unrolled: 1-line block ×3, first 2 shown]
	v_subb_co_u32_e32 v3, vcc, v3, v1, vcc
	v_lshlrev_b32_e32 v1, 4, v4
	s_add_u32 s8, s8, s10
	v_lshlrev_b32_e32 v63, 9, v62
	v_or_b32_e32 v65, 0x4000, v1
	s_addc_u32 s9, s9, s11
	v_add_u32_e32 v66, v65, v63
	s_add_u32 s36, s36, s8
	v_add_u32_e32 v64, v63, v1
	v_cmp_gt_i64_e64 s[0:1], 1, v[2:3]
	v_cmp_gt_i64_e64 s[2:3], 17, v[2:3]
	s_movk_i32 s60, 0x100
	v_add_u32_e32 v67, 0x100, v66
	v_add_u32_e32 v68, 0x2000, v66
	;; [unrolled: 1-line block ×3, first 2 shown]
	v_ashrrev_i32_e32 v19, 31, v18
	v_add_u32_e32 v70, 0x4100, v1
	s_addc_u32 s37, s37, s9
	s_lshl_b64 s[38:39], s[40:41], 4
	v_mov_b32_e32 v0, 0
	v_mov_b32_e32 v1, 0x3ff00000
	s_branch .LBB131_4
.LBB131_3:                              ;   in Loop: Header=BB131_4 Depth=1
	s_or_b64 exec, exec, s[8:9]
	s_add_i32 s7, s6, s7
	v_add_u32_e32 v20, s61, v20
	s_cmp_le_i32 s7, s33
	v_add_u32_e32 v22, s61, v22
	s_cbranch_scc0 .LBB131_63
.LBB131_4:                              ; =>This Loop Header: Depth=1
                                        ;     Child Loop BB131_7 Depth 2
	s_lshl_b32 s8, s7, 5
	v_add_u32_e32 v24, s8, v62
	s_sub_i32 s62, s30, s8
	v_pk_mov_b32 v[58:59], 0, 0
	v_ashrrev_i32_e32 v21, 31, v20
	v_ashrrev_i32_e32 v23, 31, v22
	;; [unrolled: 1-line block ×3, first 2 shown]
	s_cmp_lt_i32 s62, 1
	v_pk_mov_b32 v[60:61], v[58:59], v[58:59] op_sel:[0,1]
	v_pk_mov_b32 v[52:53], v[58:59], v[58:59] op_sel:[0,1]
	;; [unrolled: 1-line block ×7, first 2 shown]
	s_cbranch_scc1 .LBB131_55
; %bb.5:                                ;   in Loop: Header=BB131_4 Depth=1
	v_mov_b32_e32 v2, 0x100
	v_sub_co_u32_e32 v26, vcc, v22, v20
	v_mov_b32_e32 v3, 0
	v_subb_co_u32_e32 v27, vcc, v23, v21, vcc
	v_mad_u64_u32 v[28:29], s[8:9], s28, v22, v[2:3]
	v_mul_lo_u32 v4, s28, v23
	v_mul_lo_u32 v5, s29, v22
	v_lshlrev_b64 v[30:31], 4, v[22:23]
	v_add3_u32 v29, v5, v29, v4
	v_add_co_u32_e32 v4, vcc, 0x100, v30
	v_addc_co_u32_e32 v5, vcc, 0, v31, vcc
	v_mul_lo_u32 v5, s48, v5
	v_mul_lo_u32 v6, s49, v4
	v_mad_u64_u32 v[32:33], s[8:9], s48, v4, v[2:3]
	v_pk_mov_b32 v[2:3], s[36:37], s[36:37] op_sel:[0,1]
	v_add3_u32 v33, v6, v33, v5
	v_mad_u64_u32 v[34:35], s[8:9], s38, v20, v[2:3]
	v_mul_lo_u32 v4, s38, v21
	v_mul_lo_u32 v5, s39, v20
	v_add3_u32 v35, v5, v35, v4
	v_lshlrev_b64 v[4:5], 4, v[20:21]
	v_add_co_u32_e32 v4, vcc, s60, v4
	v_mad_u64_u32 v[36:37], s[8:9], s40, v4, v[2:3]
	v_add_co_u32_e64 v40, s[10:11], 16, v26
	v_addc_co_u32_e32 v5, vcc, 0, v5, vcc
	v_add_co_u32_e64 v38, s[8:9], 16, v24
	v_addc_co_u32_e64 v41, s[10:11], 0, v27, s[10:11]
	v_mul_lo_u32 v5, s40, v5
	v_mul_lo_u32 v6, s41, v4
	v_addc_co_u32_e64 v39, s[8:9], 0, v25, s[8:9]
	v_add_co_u32_e64 v42, s[10:11], -16, v26
	v_pk_mov_b32 v[46:47], 0, 0
	v_add3_u32 v37, v6, v37, v5
	v_cmp_le_i32_e32 vcc, s30, v24
	v_cmp_le_i64_e64 s[8:9], s[30:31], v[38:39]
	v_addc_co_u32_e64 v43, s[10:11], -1, v27, s[10:11]
	s_mov_b64 s[42:43], 0
	v_pk_mov_b32 v[44:45], v[16:17], v[16:17] op_sel:[0,1]
	v_pk_mov_b32 v[48:49], v[46:47], v[46:47] op_sel:[0,1]
	v_pk_mov_b32 v[54:55], v[46:47], v[46:47] op_sel:[0,1]
	v_pk_mov_b32 v[50:51], v[46:47], v[46:47] op_sel:[0,1]
	v_pk_mov_b32 v[56:57], v[46:47], v[46:47] op_sel:[0,1]
	v_pk_mov_b32 v[52:53], v[46:47], v[46:47] op_sel:[0,1]
	v_pk_mov_b32 v[60:61], v[46:47], v[46:47] op_sel:[0,1]
	v_pk_mov_b32 v[58:59], v[46:47], v[46:47] op_sel:[0,1]
	s_branch .LBB131_7
.LBB131_6:                              ;   in Loop: Header=BB131_7 Depth=2
	s_or_b64 exec, exec, s[10:11]
	s_waitcnt lgkmcnt(0)
	s_barrier
	ds_read_b128 v[72:75], v63
	ds_read_b128 v[10:13], v63 offset:16
	ds_read_b128 v[6:9], v63 offset:32
	;; [unrolled: 1-line block ×3, first 2 shown]
	ds_read_b128 v[76:79], v65
	v_add_co_u32_e64 v44, s[10:11], s44, v44
	s_add_u32 s42, s42, 32
	s_addc_u32 s43, s43, 0
	s_waitcnt lgkmcnt(0)
	v_mul_f64 v[80:81], v[74:75], v[78:79]
	v_mul_f64 v[82:83], v[72:73], v[78:79]
	v_fma_f64 v[80:81], v[72:73], v[76:77], -v[80:81]
	v_fmac_f64_e32 v[82:83], v[74:75], v[76:77]
	v_add_f64 v[80:81], v[58:59], v[80:81]
	v_add_f64 v[82:83], v[60:61], v[82:83]
	ds_read_b128 v[58:61], v70
	s_cmp_ge_i32 s42, s62
	s_waitcnt lgkmcnt(0)
	v_mul_f64 v[84:85], v[74:75], v[60:61]
	v_fma_f64 v[84:85], v[72:73], v[58:59], -v[84:85]
	v_mul_f64 v[72:73], v[72:73], v[60:61]
	v_fmac_f64_e32 v[72:73], v[74:75], v[58:59]
	v_add_f64 v[86:87], v[56:57], v[72:73]
	ds_read_b128 v[72:75], v63 offset:8192
	v_add_f64 v[84:85], v[52:53], v[84:85]
	s_waitcnt lgkmcnt(0)
	v_mul_f64 v[52:53], v[74:75], v[78:79]
	v_mul_f64 v[56:57], v[72:73], v[78:79]
	v_fma_f64 v[52:53], v[72:73], v[76:77], -v[52:53]
	v_fmac_f64_e32 v[56:57], v[74:75], v[76:77]
	v_add_f64 v[50:51], v[50:51], v[52:53]
	v_add_f64 v[52:53], v[54:55], v[56:57]
	v_mul_f64 v[54:55], v[74:75], v[60:61]
	v_mul_f64 v[56:57], v[72:73], v[60:61]
	v_fma_f64 v[54:55], v[72:73], v[58:59], -v[54:55]
	v_fmac_f64_e32 v[56:57], v[74:75], v[58:59]
	v_add_f64 v[48:49], v[48:49], v[54:55]
	v_add_f64 v[46:47], v[46:47], v[56:57]
	ds_read_b128 v[54:57], v65 offset:512
	s_waitcnt lgkmcnt(0)
	v_mul_f64 v[58:59], v[12:13], v[56:57]
	v_mul_f64 v[60:61], v[10:11], v[56:57]
	v_fma_f64 v[58:59], v[10:11], v[54:55], -v[58:59]
	v_fmac_f64_e32 v[60:61], v[12:13], v[54:55]
	v_add_f64 v[72:73], v[80:81], v[58:59]
	v_add_f64 v[74:75], v[82:83], v[60:61]
	ds_read_b128 v[58:61], v70 offset:512
	s_waitcnt lgkmcnt(0)
	v_mul_f64 v[76:77], v[12:13], v[60:61]
	v_fma_f64 v[76:77], v[10:11], v[58:59], -v[76:77]
	v_mul_f64 v[10:11], v[10:11], v[60:61]
	v_fmac_f64_e32 v[10:11], v[12:13], v[58:59]
	v_add_f64 v[78:79], v[86:87], v[10:11]
	ds_read_b128 v[10:13], v63 offset:8208
	v_add_f64 v[76:77], v[84:85], v[76:77]
	s_waitcnt lgkmcnt(0)
	v_mul_f64 v[80:81], v[12:13], v[56:57]
	v_mul_f64 v[56:57], v[10:11], v[56:57]
	v_fma_f64 v[80:81], v[10:11], v[54:55], -v[80:81]
	v_fmac_f64_e32 v[56:57], v[12:13], v[54:55]
	v_mul_f64 v[54:55], v[12:13], v[60:61]
	v_fma_f64 v[54:55], v[10:11], v[58:59], -v[54:55]
	v_mul_f64 v[10:11], v[10:11], v[60:61]
	v_fmac_f64_e32 v[10:11], v[12:13], v[58:59]
	v_add_f64 v[52:53], v[52:53], v[56:57]
	v_add_f64 v[56:57], v[46:47], v[10:11]
	ds_read_b128 v[10:13], v65 offset:1024
	v_add_f64 v[54:55], v[48:49], v[54:55]
	v_add_f64 v[50:51], v[50:51], v[80:81]
	s_waitcnt lgkmcnt(0)
	v_mul_f64 v[46:47], v[8:9], v[12:13]
	v_mul_f64 v[48:49], v[6:7], v[12:13]
	v_fma_f64 v[46:47], v[6:7], v[10:11], -v[46:47]
	v_fmac_f64_e32 v[48:49], v[8:9], v[10:11]
	v_add_f64 v[58:59], v[72:73], v[46:47]
	v_add_f64 v[60:61], v[74:75], v[48:49]
	ds_read_b128 v[46:49], v70 offset:1024
	s_waitcnt lgkmcnt(0)
	v_mul_f64 v[72:73], v[8:9], v[48:49]
	v_fma_f64 v[72:73], v[6:7], v[46:47], -v[72:73]
	v_mul_f64 v[6:7], v[6:7], v[48:49]
	v_fmac_f64_e32 v[6:7], v[8:9], v[46:47]
	v_add_f64 v[74:75], v[78:79], v[6:7]
	ds_read_b128 v[6:9], v63 offset:8224
	v_add_f64 v[72:73], v[76:77], v[72:73]
	s_waitcnt lgkmcnt(0)
	v_mul_f64 v[76:77], v[8:9], v[12:13]
	v_fma_f64 v[76:77], v[6:7], v[10:11], -v[76:77]
	v_mul_f64 v[12:13], v[6:7], v[12:13]
	v_fmac_f64_e32 v[12:13], v[8:9], v[10:11]
	v_add_f64 v[10:11], v[50:51], v[76:77]
	v_mul_f64 v[50:51], v[8:9], v[48:49]
	v_mul_f64 v[48:49], v[6:7], v[48:49]
	v_fmac_f64_e32 v[48:49], v[8:9], v[46:47]
	v_fma_f64 v[50:51], v[6:7], v[46:47], -v[50:51]
	v_add_f64 v[8:9], v[56:57], v[48:49]
	ds_read_b128 v[46:49], v65 offset:1536
	v_add_f64 v[12:13], v[52:53], v[12:13]
	v_add_f64 v[6:7], v[54:55], v[50:51]
	s_waitcnt lgkmcnt(0)
	v_mul_f64 v[50:51], v[4:5], v[48:49]
	v_mul_f64 v[52:53], v[2:3], v[48:49]
	v_fma_f64 v[50:51], v[2:3], v[46:47], -v[50:51]
	v_fmac_f64_e32 v[52:53], v[4:5], v[46:47]
	v_add_f64 v[54:55], v[58:59], v[50:51]
	v_add_f64 v[56:57], v[60:61], v[52:53]
	ds_read_b128 v[50:53], v70 offset:1536
	s_waitcnt lgkmcnt(0)
	v_mul_f64 v[58:59], v[4:5], v[52:53]
	v_fma_f64 v[58:59], v[2:3], v[50:51], -v[58:59]
	v_mul_f64 v[2:3], v[2:3], v[52:53]
	v_fmac_f64_e32 v[2:3], v[4:5], v[50:51]
	v_add_f64 v[60:61], v[74:75], v[2:3]
	ds_read_b128 v[2:5], v63 offset:8240
	v_add_f64 v[58:59], v[72:73], v[58:59]
	s_waitcnt lgkmcnt(0)
	v_mul_f64 v[72:73], v[4:5], v[48:49]
	v_fma_f64 v[72:73], v[2:3], v[46:47], -v[72:73]
	v_mul_f64 v[48:49], v[2:3], v[48:49]
	v_fmac_f64_e32 v[48:49], v[4:5], v[46:47]
	v_add_f64 v[46:47], v[10:11], v[72:73]
	v_mul_f64 v[10:11], v[4:5], v[52:53]
	v_fma_f64 v[10:11], v[2:3], v[50:51], -v[10:11]
	v_mul_f64 v[2:3], v[2:3], v[52:53]
	v_fmac_f64_e32 v[2:3], v[4:5], v[50:51]
	v_add_f64 v[50:51], v[6:7], v[10:11]
	v_add_f64 v[52:53], v[8:9], v[2:3]
	ds_read_b128 v[2:5], v63 offset:64
	ds_read_b128 v[6:9], v65 offset:2048
	v_add_f64 v[48:49], v[12:13], v[48:49]
	s_waitcnt lgkmcnt(0)
	v_mul_f64 v[10:11], v[4:5], v[8:9]
	v_mul_f64 v[12:13], v[2:3], v[8:9]
	v_fma_f64 v[10:11], v[2:3], v[6:7], -v[10:11]
	v_fmac_f64_e32 v[12:13], v[4:5], v[6:7]
	v_add_f64 v[54:55], v[54:55], v[10:11]
	v_add_f64 v[56:57], v[56:57], v[12:13]
	ds_read_b128 v[10:13], v70 offset:2048
	s_waitcnt lgkmcnt(0)
	v_mul_f64 v[72:73], v[4:5], v[12:13]
	v_fma_f64 v[72:73], v[2:3], v[10:11], -v[72:73]
	v_mul_f64 v[2:3], v[2:3], v[12:13]
	v_fmac_f64_e32 v[2:3], v[4:5], v[10:11]
	v_add_f64 v[60:61], v[60:61], v[2:3]
	ds_read_b128 v[2:5], v63 offset:8256
	v_add_f64 v[58:59], v[58:59], v[72:73]
	s_waitcnt lgkmcnt(0)
	v_mul_f64 v[72:73], v[4:5], v[8:9]
	v_fma_f64 v[72:73], v[2:3], v[6:7], -v[72:73]
	v_mul_f64 v[8:9], v[2:3], v[8:9]
	v_fmac_f64_e32 v[8:9], v[4:5], v[6:7]
	v_add_f64 v[6:7], v[46:47], v[72:73]
	v_mul_f64 v[46:47], v[4:5], v[12:13]
	v_mul_f64 v[12:13], v[2:3], v[12:13]
	v_fma_f64 v[46:47], v[2:3], v[10:11], -v[46:47]
	v_fmac_f64_e32 v[12:13], v[4:5], v[10:11]
	v_add_f64 v[8:9], v[48:49], v[8:9]
	v_add_f64 v[2:3], v[50:51], v[46:47]
	v_add_f64 v[4:5], v[52:53], v[12:13]
	ds_read_b128 v[10:13], v63 offset:80
	ds_read_b128 v[46:49], v65 offset:2560
	s_waitcnt lgkmcnt(0)
	v_mul_f64 v[50:51], v[12:13], v[48:49]
	v_mul_f64 v[52:53], v[10:11], v[48:49]
	v_fma_f64 v[50:51], v[10:11], v[46:47], -v[50:51]
	v_fmac_f64_e32 v[52:53], v[12:13], v[46:47]
	v_add_f64 v[54:55], v[54:55], v[50:51]
	v_add_f64 v[56:57], v[56:57], v[52:53]
	ds_read_b128 v[50:53], v70 offset:2560
	s_waitcnt lgkmcnt(0)
	v_mul_f64 v[72:73], v[12:13], v[52:53]
	v_fma_f64 v[72:73], v[10:11], v[50:51], -v[72:73]
	v_mul_f64 v[10:11], v[10:11], v[52:53]
	v_fmac_f64_e32 v[10:11], v[12:13], v[50:51]
	v_add_f64 v[60:61], v[60:61], v[10:11]
	ds_read_b128 v[10:13], v63 offset:8272
	v_add_f64 v[58:59], v[58:59], v[72:73]
	s_waitcnt lgkmcnt(0)
	v_mul_f64 v[72:73], v[12:13], v[48:49]
	v_mul_f64 v[48:49], v[10:11], v[48:49]
	v_fma_f64 v[72:73], v[10:11], v[46:47], -v[72:73]
	v_fmac_f64_e32 v[48:49], v[12:13], v[46:47]
	v_add_f64 v[46:47], v[6:7], v[72:73]
	v_add_f64 v[48:49], v[8:9], v[48:49]
	v_mul_f64 v[6:7], v[12:13], v[52:53]
	v_mul_f64 v[8:9], v[10:11], v[52:53]
	v_fma_f64 v[6:7], v[10:11], v[50:51], -v[6:7]
	v_fmac_f64_e32 v[8:9], v[12:13], v[50:51]
	v_add_f64 v[50:51], v[2:3], v[6:7]
	v_add_f64 v[52:53], v[4:5], v[8:9]
	ds_read_b128 v[2:5], v63 offset:96
	ds_read_b128 v[6:9], v65 offset:3072
	s_waitcnt lgkmcnt(0)
	v_mul_f64 v[10:11], v[4:5], v[8:9]
	v_mul_f64 v[12:13], v[2:3], v[8:9]
	v_fma_f64 v[10:11], v[2:3], v[6:7], -v[10:11]
	v_fmac_f64_e32 v[12:13], v[4:5], v[6:7]
	v_add_f64 v[54:55], v[54:55], v[10:11]
	v_add_f64 v[56:57], v[56:57], v[12:13]
	ds_read_b128 v[10:13], v70 offset:3072
	s_waitcnt lgkmcnt(0)
	v_mul_f64 v[72:73], v[4:5], v[12:13]
	v_fma_f64 v[72:73], v[2:3], v[10:11], -v[72:73]
	v_mul_f64 v[2:3], v[2:3], v[12:13]
	v_fmac_f64_e32 v[2:3], v[4:5], v[10:11]
	v_add_f64 v[60:61], v[60:61], v[2:3]
	ds_read_b128 v[2:5], v63 offset:8288
	v_add_f64 v[58:59], v[58:59], v[72:73]
	s_waitcnt lgkmcnt(0)
	v_mul_f64 v[72:73], v[4:5], v[8:9]
	v_fma_f64 v[72:73], v[2:3], v[6:7], -v[72:73]
	v_mul_f64 v[8:9], v[2:3], v[8:9]
	v_fmac_f64_e32 v[8:9], v[4:5], v[6:7]
	v_add_f64 v[6:7], v[46:47], v[72:73]
	v_mul_f64 v[46:47], v[4:5], v[12:13]
	v_mul_f64 v[12:13], v[2:3], v[12:13]
	v_fma_f64 v[46:47], v[2:3], v[10:11], -v[46:47]
	v_fmac_f64_e32 v[12:13], v[4:5], v[10:11]
	v_add_f64 v[8:9], v[48:49], v[8:9]
	v_add_f64 v[2:3], v[50:51], v[46:47]
	v_add_f64 v[4:5], v[52:53], v[12:13]
	ds_read_b128 v[10:13], v63 offset:112
	ds_read_b128 v[46:49], v65 offset:3584
	s_waitcnt lgkmcnt(0)
	v_mul_f64 v[50:51], v[12:13], v[48:49]
	v_mul_f64 v[52:53], v[10:11], v[48:49]
	v_fma_f64 v[50:51], v[10:11], v[46:47], -v[50:51]
	v_fmac_f64_e32 v[52:53], v[12:13], v[46:47]
	v_add_f64 v[54:55], v[54:55], v[50:51]
	v_add_f64 v[56:57], v[56:57], v[52:53]
	ds_read_b128 v[50:53], v70 offset:3584
	s_waitcnt lgkmcnt(0)
	v_mul_f64 v[72:73], v[12:13], v[52:53]
	v_fma_f64 v[72:73], v[10:11], v[50:51], -v[72:73]
	v_mul_f64 v[10:11], v[10:11], v[52:53]
	v_fmac_f64_e32 v[10:11], v[12:13], v[50:51]
	v_add_f64 v[60:61], v[60:61], v[10:11]
	ds_read_b128 v[10:13], v63 offset:8304
	v_add_f64 v[58:59], v[58:59], v[72:73]
	s_waitcnt lgkmcnt(0)
	v_mul_f64 v[72:73], v[12:13], v[48:49]
	v_mul_f64 v[48:49], v[10:11], v[48:49]
	v_fma_f64 v[72:73], v[10:11], v[46:47], -v[72:73]
	v_fmac_f64_e32 v[48:49], v[12:13], v[46:47]
	v_add_f64 v[46:47], v[6:7], v[72:73]
	v_add_f64 v[48:49], v[8:9], v[48:49]
	v_mul_f64 v[6:7], v[12:13], v[52:53]
	v_mul_f64 v[8:9], v[10:11], v[52:53]
	v_fma_f64 v[6:7], v[10:11], v[50:51], -v[6:7]
	v_fmac_f64_e32 v[8:9], v[12:13], v[50:51]
	v_add_f64 v[50:51], v[2:3], v[6:7]
	v_add_f64 v[52:53], v[4:5], v[8:9]
	ds_read_b128 v[2:5], v63 offset:128
	ds_read_b128 v[6:9], v65 offset:4096
	;; [unrolled: 62-line block ×13, first 2 shown]
	s_waitcnt lgkmcnt(0)
	v_mul_f64 v[10:11], v[4:5], v[8:9]
	v_mul_f64 v[12:13], v[2:3], v[8:9]
	v_fma_f64 v[10:11], v[2:3], v[6:7], -v[10:11]
	v_fmac_f64_e32 v[12:13], v[4:5], v[6:7]
	v_add_f64 v[54:55], v[54:55], v[10:11]
	v_add_f64 v[56:57], v[56:57], v[12:13]
	ds_read_b128 v[10:13], v70 offset:15360
	s_waitcnt lgkmcnt(0)
	v_mul_f64 v[72:73], v[4:5], v[12:13]
	v_fma_f64 v[72:73], v[2:3], v[10:11], -v[72:73]
	v_mul_f64 v[2:3], v[2:3], v[12:13]
	v_fmac_f64_e32 v[2:3], v[4:5], v[10:11]
	v_add_f64 v[78:79], v[60:61], v[2:3]
	ds_read_b128 v[2:5], v63 offset:8672
	v_add_f64 v[76:77], v[58:59], v[72:73]
	s_waitcnt lgkmcnt(0)
	v_mul_f64 v[58:59], v[4:5], v[8:9]
	v_fma_f64 v[58:59], v[2:3], v[6:7], -v[58:59]
	v_mul_f64 v[8:9], v[2:3], v[8:9]
	v_fmac_f64_e32 v[8:9], v[4:5], v[6:7]
	v_add_f64 v[6:7], v[46:47], v[58:59]
	v_mul_f64 v[46:47], v[4:5], v[12:13]
	v_mul_f64 v[12:13], v[2:3], v[12:13]
	v_fma_f64 v[46:47], v[2:3], v[10:11], -v[46:47]
	v_fmac_f64_e32 v[12:13], v[4:5], v[10:11]
	v_add_f64 v[8:9], v[48:49], v[8:9]
	v_add_f64 v[2:3], v[50:51], v[46:47]
	;; [unrolled: 1-line block ×3, first 2 shown]
	ds_read_b128 v[10:13], v63 offset:496
	ds_read_b128 v[46:49], v65 offset:15872
	;; [unrolled: 1-line block ×3, first 2 shown]
	s_waitcnt lgkmcnt(1)
	v_mul_f64 v[50:51], v[12:13], v[48:49]
	v_fma_f64 v[50:51], v[10:11], v[46:47], -v[50:51]
	v_add_f64 v[58:59], v[54:55], v[50:51]
	s_waitcnt lgkmcnt(0)
	v_mul_f64 v[50:51], v[12:13], v[74:75]
	v_mul_f64 v[52:53], v[10:11], v[48:49]
	v_fma_f64 v[50:51], v[10:11], v[72:73], -v[50:51]
	v_mul_f64 v[10:11], v[10:11], v[74:75]
	v_fmac_f64_e32 v[52:53], v[12:13], v[46:47]
	v_fmac_f64_e32 v[10:11], v[12:13], v[72:73]
	v_add_f64 v[60:61], v[56:57], v[52:53]
	v_add_f64 v[56:57], v[78:79], v[10:11]
	ds_read_b128 v[10:13], v63 offset:8688
	v_add_f64 v[52:53], v[76:77], v[50:51]
	s_waitcnt lgkmcnt(0)
	s_barrier
	v_mul_f64 v[50:51], v[12:13], v[48:49]
	v_fma_f64 v[50:51], v[10:11], v[46:47], -v[50:51]
	v_mul_f64 v[48:49], v[10:11], v[48:49]
	v_add_f64 v[50:51], v[6:7], v[50:51]
	v_mul_f64 v[6:7], v[12:13], v[74:75]
	v_fmac_f64_e32 v[48:49], v[12:13], v[46:47]
	v_fma_f64 v[6:7], v[10:11], v[72:73], -v[6:7]
	v_add_f64 v[54:55], v[8:9], v[48:49]
	v_add_f64 v[48:49], v[2:3], v[6:7]
	v_mov_b32_e32 v2, s45
	v_addc_co_u32_e64 v45, s[10:11], v45, v2, s[10:11]
	v_add_co_u32_e64 v34, s[10:11], s34, v34
	v_mov_b32_e32 v2, s35
	v_mul_f64 v[8:9], v[10:11], v[74:75]
	v_addc_co_u32_e64 v35, s[10:11], v35, v2, s[10:11]
	v_fmac_f64_e32 v[8:9], v[12:13], v[72:73]
	v_add_co_u32_e64 v36, s[10:11], s34, v36
	v_add_f64 v[46:47], v[4:5], v[8:9]
	v_addc_co_u32_e64 v37, s[10:11], v37, v2, s[10:11]
	s_cbranch_scc1 .LBB131_55
.LBB131_7:                              ;   Parent Loop BB131_4 Depth=1
                                        ; =>  This Inner Loop Header: Depth=2
	v_mov_b32_e32 v2, s43
	v_add_co_u32_e64 v6, s[10:11], s42, v20
	v_addc_co_u32_e64 v7, s[10:11], v21, v2, s[10:11]
	v_add_co_u32_e64 v4, s[10:11], v34, v30
	v_addc_co_u32_e64 v5, s[10:11], v35, v31, s[10:11]
	v_cmp_eq_u64_e64 s[10:11], s[42:43], v[26:27]
	s_and_b64 s[52:53], s[22:23], s[10:11]
	v_cmp_lt_i64_e64 s[10:11], v[6:7], v[24:25]
	v_cmp_le_i64_e64 s[12:13], s[30:31], v[6:7]
	s_or_b64 s[14:15], vcc, s[10:11]
	s_or_b64 s[14:15], s[12:13], s[14:15]
	s_or_b64 s[14:15], s[14:15], s[52:53]
	s_xor_b64 s[14:15], s[14:15], -1
	s_and_saveexec_b64 s[18:19], s[14:15]
	s_xor_b64 s[14:15], exec, s[18:19]
	s_cbranch_execz .LBB131_9
; %bb.8:                                ;   in Loop: Header=BB131_7 Depth=2
	global_load_dwordx4 v[8:11], v[4:5], off
	s_waitcnt vmcnt(0)
	v_xor_b32_e32 v11, 0x80000000, v11
	ds_write_b128 v64, v[8:11]
.LBB131_9:                              ;   in Loop: Header=BB131_7 Depth=2
	s_or_saveexec_b64 s[14:15], s[14:15]
	s_xor_b64 s[50:51], s[52:53], -1
	s_xor_b64 exec, exec, s[14:15]
	s_cbranch_execz .LBB131_15
; %bb.10:                               ;   in Loop: Header=BB131_7 Depth=2
	s_and_saveexec_b64 s[18:19], s[50:51]
	s_xor_b64 s[18:19], exec, s[18:19]
	s_cbranch_execz .LBB131_12
; %bb.11:                               ;   in Loop: Header=BB131_7 Depth=2
	v_mov_b32_e32 v8, v0
	v_mov_b32_e32 v9, v0
	v_mov_b32_e32 v10, v0
	v_mov_b32_e32 v11, v0
	ds_write_b128 v64, v[8:11]
.LBB131_12:                             ;   in Loop: Header=BB131_7 Depth=2
	s_andn2_saveexec_b64 s[18:19], s[18:19]
	s_cbranch_execz .LBB131_14
; %bb.13:                               ;   in Loop: Header=BB131_7 Depth=2
	v_mov_b32_e32 v2, v0
	v_mov_b32_e32 v3, v0
	ds_write_b128 v64, v[0:3]
.LBB131_14:                             ;   in Loop: Header=BB131_7 Depth=2
	s_or_b64 exec, exec, s[18:19]
.LBB131_15:                             ;   in Loop: Header=BB131_7 Depth=2
	s_or_b64 exec, exec, s[14:15]
	v_add_co_u32_e64 v2, s[14:15], 16, v6
	v_addc_co_u32_e64 v3, s[14:15], 0, v7, s[14:15]
	v_cmp_eq_u64_e64 s[14:15], s[42:43], v[42:43]
	v_cmp_lt_i64_e64 s[18:19], v[2:3], v[24:25]
	s_and_b64 s[54:55], s[22:23], s[14:15]
	v_cmp_le_i64_e64 s[14:15], s[30:31], v[2:3]
	s_or_b64 s[18:19], vcc, s[18:19]
	s_or_b64 s[18:19], s[14:15], s[18:19]
	s_or_b64 s[18:19], s[18:19], s[54:55]
	s_xor_b64 s[18:19], s[18:19], -1
	s_and_saveexec_b64 s[56:57], s[18:19]
	s_xor_b64 s[56:57], exec, s[56:57]
	s_cbranch_execz .LBB131_17
; %bb.16:                               ;   in Loop: Header=BB131_7 Depth=2
	v_add_co_u32_e64 v2, s[18:19], v36, v30
	v_addc_co_u32_e64 v3, s[18:19], v37, v31, s[18:19]
	global_load_dwordx4 v[8:11], v[2:3], off
	s_waitcnt vmcnt(0)
	v_xor_b32_e32 v11, 0x80000000, v11
	ds_write_b128 v64, v[8:11] offset:256
.LBB131_17:                             ;   in Loop: Header=BB131_7 Depth=2
	s_andn2_saveexec_b64 s[18:19], s[56:57]
	s_cbranch_execz .LBB131_23
; %bb.18:                               ;   in Loop: Header=BB131_7 Depth=2
	s_xor_b64 s[54:55], s[54:55], -1
	s_and_saveexec_b64 s[56:57], s[54:55]
	s_xor_b64 s[54:55], exec, s[56:57]
	s_cbranch_execz .LBB131_20
; %bb.19:                               ;   in Loop: Header=BB131_7 Depth=2
	v_mov_b32_e32 v8, v0
	v_mov_b32_e32 v9, v0
	;; [unrolled: 1-line block ×4, first 2 shown]
	ds_write_b128 v64, v[8:11] offset:256
.LBB131_20:                             ;   in Loop: Header=BB131_7 Depth=2
	s_andn2_saveexec_b64 s[54:55], s[54:55]
	s_cbranch_execz .LBB131_22
; %bb.21:                               ;   in Loop: Header=BB131_7 Depth=2
	v_mov_b32_e32 v2, v0
	v_mov_b32_e32 v3, v0
	ds_write_b128 v64, v[0:3] offset:256
.LBB131_22:                             ;   in Loop: Header=BB131_7 Depth=2
	s_or_b64 exec, exec, s[54:55]
.LBB131_23:                             ;   in Loop: Header=BB131_7 Depth=2
	s_or_b64 exec, exec, s[18:19]
	v_cmp_eq_u64_e64 s[18:19], s[42:43], v[40:41]
	s_and_b64 s[54:55], s[22:23], s[18:19]
	v_cmp_lt_i64_e64 s[18:19], v[6:7], v[38:39]
	s_or_b64 s[18:19], s[8:9], s[18:19]
	s_or_b64 s[18:19], s[18:19], s[54:55]
	;; [unrolled: 1-line block ×3, first 2 shown]
	s_xor_b64 s[12:13], s[12:13], -1
	s_and_saveexec_b64 s[18:19], s[12:13]
	s_xor_b64 s[12:13], exec, s[18:19]
	s_cbranch_execz .LBB131_25
; %bb.24:                               ;   in Loop: Header=BB131_7 Depth=2
	global_load_dwordx4 v[2:5], v[4:5], off offset:256
	s_waitcnt vmcnt(0)
	v_xor_b32_e32 v5, 0x80000000, v5
	ds_write_b128 v64, v[2:5] offset:8192
.LBB131_25:                             ;   in Loop: Header=BB131_7 Depth=2
	s_andn2_saveexec_b64 s[12:13], s[12:13]
	s_cbranch_execz .LBB131_31
; %bb.26:                               ;   in Loop: Header=BB131_7 Depth=2
	s_xor_b64 s[18:19], s[54:55], -1
	s_and_saveexec_b64 s[54:55], s[18:19]
	s_xor_b64 s[18:19], exec, s[54:55]
	s_cbranch_execz .LBB131_28
; %bb.27:                               ;   in Loop: Header=BB131_7 Depth=2
	v_mov_b32_e32 v2, v0
	v_mov_b32_e32 v3, v0
	;; [unrolled: 1-line block ×4, first 2 shown]
	ds_write_b128 v64, v[2:5] offset:8192
.LBB131_28:                             ;   in Loop: Header=BB131_7 Depth=2
	s_andn2_saveexec_b64 s[18:19], s[18:19]
	s_cbranch_execz .LBB131_30
; %bb.29:                               ;   in Loop: Header=BB131_7 Depth=2
	v_mov_b32_e32 v2, v0
	v_mov_b32_e32 v3, v0
	ds_write_b128 v64, v[0:3] offset:8192
.LBB131_30:                             ;   in Loop: Header=BB131_7 Depth=2
	s_or_b64 exec, exec, s[18:19]
.LBB131_31:                             ;   in Loop: Header=BB131_7 Depth=2
	s_or_b64 exec, exec, s[12:13]
	s_or_b64 s[10:11], s[8:9], s[10:11]
	s_or_b64 s[10:11], s[14:15], s[10:11]
	;; [unrolled: 1-line block ×3, first 2 shown]
	s_xor_b64 s[10:11], s[10:11], -1
	s_and_saveexec_b64 s[12:13], s[10:11]
	s_xor_b64 s[12:13], exec, s[12:13]
	s_cbranch_execz .LBB131_33
; %bb.32:                               ;   in Loop: Header=BB131_7 Depth=2
	v_add_co_u32_e64 v2, s[10:11], v36, v30
	v_addc_co_u32_e64 v3, s[10:11], v37, v31, s[10:11]
	global_load_dwordx4 v[2:5], v[2:3], off offset:256
	s_waitcnt vmcnt(0)
	v_xor_b32_e32 v5, 0x80000000, v5
	ds_write_b128 v64, v[2:5] offset:8448
.LBB131_33:                             ;   in Loop: Header=BB131_7 Depth=2
	s_andn2_saveexec_b64 s[10:11], s[12:13]
	s_cbranch_execz .LBB131_39
; %bb.34:                               ;   in Loop: Header=BB131_7 Depth=2
	s_and_saveexec_b64 s[12:13], s[50:51]
	s_xor_b64 s[12:13], exec, s[12:13]
	s_cbranch_execz .LBB131_36
; %bb.35:                               ;   in Loop: Header=BB131_7 Depth=2
	v_mov_b32_e32 v2, v0
	v_mov_b32_e32 v3, v0
	;; [unrolled: 1-line block ×4, first 2 shown]
	ds_write_b128 v64, v[2:5] offset:8448
.LBB131_36:                             ;   in Loop: Header=BB131_7 Depth=2
	s_andn2_saveexec_b64 s[12:13], s[12:13]
	s_cbranch_execz .LBB131_38
; %bb.37:                               ;   in Loop: Header=BB131_7 Depth=2
	v_mov_b32_e32 v2, v0
	v_mov_b32_e32 v3, v0
	ds_write_b128 v64, v[0:3] offset:8448
.LBB131_38:                             ;   in Loop: Header=BB131_7 Depth=2
	s_or_b64 exec, exec, s[12:13]
.LBB131_39:                             ;   in Loop: Header=BB131_7 Depth=2
	s_or_b64 exec, exec, s[10:11]
	v_mov_b32_e32 v3, s43
	v_add_co_u32_e64 v2, s[10:11], s42, v22
	v_addc_co_u32_e64 v3, s[10:11], v23, v3, s[10:11]
	v_add_co_u32_e64 v4, s[10:11], v44, v28
	v_addc_co_u32_e64 v5, s[10:11], v45, v29, s[10:11]
	v_cmp_le_i64_e64 s[10:11], s[30:31], v[2:3]
	s_or_b64 s[12:13], s[10:11], s[0:1]
	s_xor_b64 s[12:13], s[12:13], -1
	s_and_saveexec_b64 s[14:15], s[12:13]
	s_xor_b64 s[12:13], exec, s[14:15]
	s_cbranch_execz .LBB131_41
; %bb.40:                               ;   in Loop: Header=BB131_7 Depth=2
	global_load_dwordx4 v[6:9], v[4:5], off offset:-256
	s_waitcnt vmcnt(0)
	ds_write2_b64 v66, v[6:7], v[8:9] offset1:1
.LBB131_41:                             ;   in Loop: Header=BB131_7 Depth=2
	s_andn2_saveexec_b64 s[12:13], s[12:13]
	s_cbranch_execz .LBB131_43
; %bb.42:                               ;   in Loop: Header=BB131_7 Depth=2
	v_mov_b32_e32 v6, v0
	v_mov_b32_e32 v7, v0
	;; [unrolled: 1-line block ×4, first 2 shown]
	ds_write_b128 v66, v[6:9]
.LBB131_43:                             ;   in Loop: Header=BB131_7 Depth=2
	s_or_b64 exec, exec, s[12:13]
	s_or_b64 s[10:11], s[10:11], s[2:3]
	s_xor_b64 s[10:11], s[10:11], -1
	s_and_saveexec_b64 s[12:13], s[10:11]
	s_xor_b64 s[10:11], exec, s[12:13]
	s_cbranch_execz .LBB131_45
; %bb.44:                               ;   in Loop: Header=BB131_7 Depth=2
	global_load_dwordx4 v[4:7], v[4:5], off
	s_waitcnt vmcnt(0)
	ds_write2_b64 v67, v[4:5], v[6:7] offset1:1
.LBB131_45:                             ;   in Loop: Header=BB131_7 Depth=2
	s_andn2_saveexec_b64 s[10:11], s[10:11]
	s_cbranch_execz .LBB131_47
; %bb.46:                               ;   in Loop: Header=BB131_7 Depth=2
	v_mov_b32_e32 v4, v0
	v_mov_b32_e32 v5, v0
	;; [unrolled: 1-line block ×4, first 2 shown]
	ds_write_b128 v67, v[4:7]
.LBB131_47:                             ;   in Loop: Header=BB131_7 Depth=2
	s_or_b64 exec, exec, s[10:11]
	v_cmp_le_i64_e64 s[10:11], s[46:47], v[2:3]
	s_or_b64 s[12:13], s[10:11], s[0:1]
	s_xor_b64 s[12:13], s[12:13], -1
	s_and_saveexec_b64 s[14:15], s[12:13]
	s_xor_b64 s[14:15], exec, s[14:15]
	s_cbranch_execz .LBB131_49
; %bb.48:                               ;   in Loop: Header=BB131_7 Depth=2
	v_add_co_u32_e64 v2, s[12:13], v44, v32
	v_addc_co_u32_e64 v3, s[12:13], v45, v33, s[12:13]
	global_load_dwordx4 v[2:5], v[2:3], off offset:-256
	s_waitcnt vmcnt(0)
	ds_write2_b64 v68, v[2:3], v[4:5] offset1:1
.LBB131_49:                             ;   in Loop: Header=BB131_7 Depth=2
	s_andn2_saveexec_b64 s[12:13], s[14:15]
	s_cbranch_execz .LBB131_51
; %bb.50:                               ;   in Loop: Header=BB131_7 Depth=2
	v_mov_b32_e32 v2, v0
	v_mov_b32_e32 v3, v0
	v_mov_b32_e32 v4, v0
	v_mov_b32_e32 v5, v0
	ds_write_b128 v68, v[2:5]
.LBB131_51:                             ;   in Loop: Header=BB131_7 Depth=2
	s_or_b64 exec, exec, s[12:13]
	s_or_b64 s[10:11], s[10:11], s[2:3]
	s_xor_b64 s[10:11], s[10:11], -1
	s_and_saveexec_b64 s[12:13], s[10:11]
	s_xor_b64 s[12:13], exec, s[12:13]
	s_cbranch_execz .LBB131_53
; %bb.52:                               ;   in Loop: Header=BB131_7 Depth=2
	v_add_co_u32_e64 v2, s[10:11], v44, v32
	v_addc_co_u32_e64 v3, s[10:11], v45, v33, s[10:11]
	global_load_dwordx4 v[2:5], v[2:3], off
	s_waitcnt vmcnt(0)
	ds_write2_b64 v69, v[2:3], v[4:5] offset1:1
.LBB131_53:                             ;   in Loop: Header=BB131_7 Depth=2
	s_andn2_saveexec_b64 s[10:11], s[12:13]
	s_cbranch_execz .LBB131_6
; %bb.54:                               ;   in Loop: Header=BB131_7 Depth=2
	v_mov_b32_e32 v2, v0
	v_mov_b32_e32 v3, v0
	;; [unrolled: 1-line block ×4, first 2 shown]
	ds_write_b128 v69, v[2:5]
	s_branch .LBB131_6
.LBB131_55:                             ;   in Loop: Header=BB131_4 Depth=1
	v_mul_lo_u32 v4, v25, s20
	v_mul_lo_u32 v5, v24, s21
	v_mad_u64_u32 v[2:3], s[8:9], v24, s20, 0
	v_add3_u32 v3, v3, v5, v4
	v_lshlrev_b64 v[2:3], 4, v[2:3]
	v_mov_b32_e32 v4, s59
	v_add_co_u32_e64 v2, s[8:9], s58, v2
	v_cmp_gt_i32_e32 vcc, s30, v24
	v_addc_co_u32_e64 v3, s[8:9], v4, v3, s[8:9]
	s_and_b64 s[8:9], s[4:5], vcc
	s_and_saveexec_b64 s[10:11], s[8:9]
	s_cbranch_execz .LBB131_57
; %bb.56:                               ;   in Loop: Header=BB131_4 Depth=1
	v_add_co_u32_e64 v8, s[8:9], v2, v14
	v_addc_co_u32_e64 v9, s[8:9], v3, v15, s[8:9]
	global_load_dwordx4 v[4:7], v[8:9], off
	v_mul_f64 v[10:11], s[26:27], v[60:61]
	v_mul_f64 v[12:13], s[24:25], v[60:61]
	v_fma_f64 v[10:11], s[24:25], v[58:59], -v[10:11]
	v_fmac_f64_e32 v[12:13], s[26:27], v[58:59]
	s_waitcnt vmcnt(0)
	v_add_f64 v[4:5], v[4:5], v[10:11]
	v_add_f64 v[6:7], v[6:7], v[12:13]
	global_store_dwordx4 v[8:9], v[4:7], off
.LBB131_57:                             ;   in Loop: Header=BB131_4 Depth=1
	s_or_b64 exec, exec, s[10:11]
	s_and_b64 s[10:11], s[16:17], vcc
	s_and_saveexec_b64 s[8:9], s[10:11]
	s_cbranch_execz .LBB131_59
; %bb.58:                               ;   in Loop: Header=BB131_4 Depth=1
	v_lshlrev_b64 v[4:5], 4, v[18:19]
	v_add_co_u32_e32 v6, vcc, v2, v4
	v_addc_co_u32_e32 v7, vcc, v3, v5, vcc
	global_load_dwordx4 v[2:5], v[6:7], off
	v_mul_f64 v[8:9], s[26:27], v[56:57]
	v_mul_f64 v[10:11], s[24:25], v[56:57]
	v_fma_f64 v[8:9], s[24:25], v[52:53], -v[8:9]
	v_fmac_f64_e32 v[10:11], s[26:27], v[52:53]
	s_waitcnt vmcnt(0)
	v_add_f64 v[2:3], v[2:3], v[8:9]
	v_add_f64 v[4:5], v[4:5], v[10:11]
	global_store_dwordx4 v[6:7], v[2:5], off
.LBB131_59:                             ;   in Loop: Header=BB131_4 Depth=1
	s_or_b64 exec, exec, s[8:9]
	v_add_u32_e32 v2, 16, v24
	v_ashrrev_i32_e32 v3, 31, v2
	v_cmp_gt_i32_e32 vcc, s30, v2
	v_mul_lo_u32 v4, v3, s20
	v_mul_lo_u32 v5, v2, s21
	v_mad_u64_u32 v[2:3], s[8:9], v2, s20, 0
	v_add3_u32 v3, v3, v5, v4
	v_lshlrev_b64 v[2:3], 4, v[2:3]
	v_mov_b32_e32 v4, s59
	v_add_co_u32_e64 v2, s[8:9], s58, v2
	v_addc_co_u32_e64 v3, s[8:9], v4, v3, s[8:9]
	s_and_b64 s[8:9], s[4:5], vcc
	s_and_saveexec_b64 s[10:11], s[8:9]
	s_cbranch_execz .LBB131_61
; %bb.60:                               ;   in Loop: Header=BB131_4 Depth=1
	v_add_co_u32_e64 v8, s[8:9], v2, v14
	v_addc_co_u32_e64 v9, s[8:9], v3, v15, s[8:9]
	global_load_dwordx4 v[4:7], v[8:9], off
	v_mul_f64 v[10:11], s[26:27], v[54:55]
	v_mul_f64 v[12:13], s[24:25], v[54:55]
	v_fma_f64 v[10:11], s[24:25], v[50:51], -v[10:11]
	v_fmac_f64_e32 v[12:13], s[26:27], v[50:51]
	s_waitcnt vmcnt(0)
	v_add_f64 v[4:5], v[4:5], v[10:11]
	v_add_f64 v[6:7], v[6:7], v[12:13]
	global_store_dwordx4 v[8:9], v[4:7], off
.LBB131_61:                             ;   in Loop: Header=BB131_4 Depth=1
	s_or_b64 exec, exec, s[10:11]
	s_and_b64 s[10:11], s[16:17], vcc
	s_and_saveexec_b64 s[8:9], s[10:11]
	s_cbranch_execz .LBB131_3
; %bb.62:                               ;   in Loop: Header=BB131_4 Depth=1
	v_lshlrev_b64 v[4:5], 4, v[18:19]
	v_add_co_u32_e32 v6, vcc, v2, v4
	v_addc_co_u32_e32 v7, vcc, v3, v5, vcc
	global_load_dwordx4 v[2:5], v[6:7], off
	v_mul_f64 v[8:9], s[26:27], v[46:47]
	v_mul_f64 v[10:11], s[24:25], v[46:47]
	v_fma_f64 v[8:9], s[24:25], v[48:49], -v[8:9]
	v_fmac_f64_e32 v[10:11], s[26:27], v[48:49]
	s_waitcnt vmcnt(0)
	v_add_f64 v[2:3], v[2:3], v[8:9]
	v_add_f64 v[4:5], v[4:5], v[10:11]
	global_store_dwordx4 v[6:7], v[2:5], off
	s_branch .LBB131_3
.LBB131_63:
	s_endpgm
	.section	.rodata,"a",@progbits
	.p2align	6, 0x0
	.amdhsa_kernel _ZL30rocblas_trmm_outofplace_kernelI19rocblas_complex_numIdELi32ELi2ELb0ELb1ELb1ELb1ES1_KS1_S1_Ev17rocblas_diagonal_iiT6_lPT7_lllS6_lllPT8_llli
		.amdhsa_group_segment_fixed_size 32768
		.amdhsa_private_segment_fixed_size 0
		.amdhsa_kernarg_size 400
		.amdhsa_user_sgpr_count 6
		.amdhsa_user_sgpr_private_segment_buffer 1
		.amdhsa_user_sgpr_dispatch_ptr 0
		.amdhsa_user_sgpr_queue_ptr 0
		.amdhsa_user_sgpr_kernarg_segment_ptr 1
		.amdhsa_user_sgpr_dispatch_id 0
		.amdhsa_user_sgpr_flat_scratch_init 0
		.amdhsa_user_sgpr_kernarg_preload_length 0
		.amdhsa_user_sgpr_kernarg_preload_offset 0
		.amdhsa_user_sgpr_private_segment_size 0
		.amdhsa_uses_dynamic_stack 0
		.amdhsa_system_sgpr_private_segment_wavefront_offset 0
		.amdhsa_system_sgpr_workgroup_id_x 1
		.amdhsa_system_sgpr_workgroup_id_y 1
		.amdhsa_system_sgpr_workgroup_id_z 1
		.amdhsa_system_sgpr_workgroup_info 0
		.amdhsa_system_vgpr_workitem_id 1
		.amdhsa_next_free_vgpr 88
		.amdhsa_next_free_sgpr 63
		.amdhsa_accum_offset 88
		.amdhsa_reserve_vcc 1
		.amdhsa_reserve_flat_scratch 0
		.amdhsa_float_round_mode_32 0
		.amdhsa_float_round_mode_16_64 0
		.amdhsa_float_denorm_mode_32 3
		.amdhsa_float_denorm_mode_16_64 3
		.amdhsa_dx10_clamp 1
		.amdhsa_ieee_mode 1
		.amdhsa_fp16_overflow 0
		.amdhsa_tg_split 0
		.amdhsa_exception_fp_ieee_invalid_op 0
		.amdhsa_exception_fp_denorm_src 0
		.amdhsa_exception_fp_ieee_div_zero 0
		.amdhsa_exception_fp_ieee_overflow 0
		.amdhsa_exception_fp_ieee_underflow 0
		.amdhsa_exception_fp_ieee_inexact 0
		.amdhsa_exception_int_div_zero 0
	.end_amdhsa_kernel
	.section	.text._ZL30rocblas_trmm_outofplace_kernelI19rocblas_complex_numIdELi32ELi2ELb0ELb1ELb1ELb1ES1_KS1_S1_Ev17rocblas_diagonal_iiT6_lPT7_lllS6_lllPT8_llli,"axG",@progbits,_ZL30rocblas_trmm_outofplace_kernelI19rocblas_complex_numIdELi32ELi2ELb0ELb1ELb1ELb1ES1_KS1_S1_Ev17rocblas_diagonal_iiT6_lPT7_lllS6_lllPT8_llli,comdat
.Lfunc_end131:
	.size	_ZL30rocblas_trmm_outofplace_kernelI19rocblas_complex_numIdELi32ELi2ELb0ELb1ELb1ELb1ES1_KS1_S1_Ev17rocblas_diagonal_iiT6_lPT7_lllS6_lllPT8_llli, .Lfunc_end131-_ZL30rocblas_trmm_outofplace_kernelI19rocblas_complex_numIdELi32ELi2ELb0ELb1ELb1ELb1ES1_KS1_S1_Ev17rocblas_diagonal_iiT6_lPT7_lllS6_lllPT8_llli
                                        ; -- End function
	.section	.AMDGPU.csdata,"",@progbits
; Kernel info:
; codeLenInByte = 9660
; NumSgprs: 67
; NumVgprs: 88
; NumAgprs: 0
; TotalNumVgprs: 88
; ScratchSize: 0
; MemoryBound: 0
; FloatMode: 240
; IeeeMode: 1
; LDSByteSize: 32768 bytes/workgroup (compile time only)
; SGPRBlocks: 8
; VGPRBlocks: 10
; NumSGPRsForWavesPerEU: 67
; NumVGPRsForWavesPerEU: 88
; AccumOffset: 88
; Occupancy: 5
; WaveLimiterHint : 0
; COMPUTE_PGM_RSRC2:SCRATCH_EN: 0
; COMPUTE_PGM_RSRC2:USER_SGPR: 6
; COMPUTE_PGM_RSRC2:TRAP_HANDLER: 0
; COMPUTE_PGM_RSRC2:TGID_X_EN: 1
; COMPUTE_PGM_RSRC2:TGID_Y_EN: 1
; COMPUTE_PGM_RSRC2:TGID_Z_EN: 1
; COMPUTE_PGM_RSRC2:TIDIG_COMP_CNT: 1
; COMPUTE_PGM_RSRC3_GFX90A:ACCUM_OFFSET: 21
; COMPUTE_PGM_RSRC3_GFX90A:TG_SPLIT: 0
	.section	.text._ZL23rocblas_trmm_lNx_kernelILi16E19rocblas_complex_numIdEPKS1_S2_S1_Ev13rocblas_fill_17rocblas_diagonal_iiT1_lPT2_llS8_llPT3_lli,"axG",@progbits,_ZL23rocblas_trmm_lNx_kernelILi16E19rocblas_complex_numIdEPKS1_S2_S1_Ev13rocblas_fill_17rocblas_diagonal_iiT1_lPT2_llS8_llPT3_lli,comdat
	.globl	_ZL23rocblas_trmm_lNx_kernelILi16E19rocblas_complex_numIdEPKS1_S2_S1_Ev13rocblas_fill_17rocblas_diagonal_iiT1_lPT2_llS8_llPT3_lli ; -- Begin function _ZL23rocblas_trmm_lNx_kernelILi16E19rocblas_complex_numIdEPKS1_S2_S1_Ev13rocblas_fill_17rocblas_diagonal_iiT1_lPT2_llS8_llPT3_lli
	.p2align	8
	.type	_ZL23rocblas_trmm_lNx_kernelILi16E19rocblas_complex_numIdEPKS1_S2_S1_Ev13rocblas_fill_17rocblas_diagonal_iiT1_lPT2_llS8_llPT3_lli,@function
_ZL23rocblas_trmm_lNx_kernelILi16E19rocblas_complex_numIdEPKS1_S2_S1_Ev13rocblas_fill_17rocblas_diagonal_iiT1_lPT2_llS8_llPT3_lli: ; @_ZL23rocblas_trmm_lNx_kernelILi16E19rocblas_complex_numIdEPKS1_S2_S1_Ev13rocblas_fill_17rocblas_diagonal_iiT1_lPT2_llS8_llPT3_lli
; %bb.0:
	s_load_dwordx16 s[8:23], s[4:5], 0x10
	s_waitcnt lgkmcnt(0)
	s_mul_i32 s0, s7, s11
	s_mul_hi_u32 s1, s7, s10
	s_add_i32 s1, s1, s0
	s_mul_i32 s0, s7, s10
	s_lshl_b64 s[0:1], s[0:1], 4
	s_add_u32 s0, s8, s0
	s_addc_u32 s1, s9, s1
	s_load_dwordx4 s[8:11], s[0:1], 0x0
	s_waitcnt lgkmcnt(0)
	v_cmp_neq_f64_e64 s[0:1], s[8:9], 0
	v_cmp_neq_f64_e64 s[2:3], s[10:11], 0
	s_or_b64 s[0:1], s[0:1], s[2:3]
	s_andn2_b64 vcc, exec, s[0:1]
	s_cbranch_vccnz .LBB132_15
; %bb.1:
	s_load_dwordx4 s[24:27], s[4:5], 0x0
	s_mov_b32 s0, 0
	s_mov_b32 s2, s0
	;; [unrolled: 1-line block ×3, first 2 shown]
	v_and_b32_e32 v2, 0x3ff, v0
	v_bfe_u32 v48, v0, 10, 10
	s_mov_b32 s1, s0
	v_pk_mov_b32 v[6:7], s[2:3], s[2:3] op_sel:[0,1]
	v_lshlrev_b32_e32 v0, 4, v48
	v_pk_mov_b32 v[4:5], s[0:1], s[0:1] op_sel:[0,1]
	s_waitcnt lgkmcnt(0)
	v_cmp_gt_i32_e64 s[0:1], s26, v48
	v_cmp_gt_i32_e32 vcc, s26, v2
	v_add_lshl_u32 v1, v0, v2, 4
	s_and_b64 s[0:1], s[0:1], vcc
	v_lshlrev_b32_e32 v49, 4, v2
	ds_write_b128 v1, v[4:7]
	ds_write_b128 v1, v[4:7] offset:4096
	s_and_saveexec_b64 s[2:3], s[0:1]
	s_cbranch_execz .LBB132_3
; %bb.2:
	s_mul_i32 s0, s7, s17
	s_mul_hi_u32 s1, s7, s16
	s_add_i32 s1, s1, s0
	s_mul_i32 s0, s7, s16
	s_lshl_b64 s[0:1], s[0:1], 4
	s_add_u32 s12, s12, s0
	s_addc_u32 s13, s13, s1
	v_mad_u64_u32 v[4:5], s[0:1], v48, s14, 0
	v_mov_b32_e32 v6, v5
	v_mad_u64_u32 v[6:7], s[0:1], v48, s15, v[6:7]
	v_mov_b32_e32 v5, v6
	v_lshlrev_b64 v[4:5], 4, v[4:5]
	v_mov_b32_e32 v3, s13
	v_add_co_u32_e64 v4, s[0:1], s12, v4
	v_addc_co_u32_e64 v3, s[0:1], v3, v5, s[0:1]
	v_add_co_u32_e64 v4, s[0:1], v4, v49
	v_addc_co_u32_e64 v5, s[0:1], 0, v3, s[0:1]
	global_load_dwordx4 v[4:7], v[4:5], off
	s_waitcnt vmcnt(0)
	ds_write2_b64 v1, v[4:5], v[6:7] offset1:1
.LBB132_3:
	s_or_b64 exec, exec, s[2:3]
	s_add_i32 s0, s27, -1
	s_ashr_i32 s1, s0, 31
	s_lshr_b32 s1, s1, 28
	s_add_i32 s0, s0, s1
	s_ashr_i32 s1, s0, 4
	s_and_b32 s0, s0, -16
	s_sub_i32 s0, s27, s0
	s_cmp_ge_i32 s6, s1
	s_cselect_b32 s0, s0, 16
	s_lshl_b32 s6, s6, 4
	v_cmp_gt_i32_e64 s[0:1], s0, v48
	s_ashr_i32 s14, s6, 31
	s_and_b64 s[0:1], vcc, s[0:1]
	s_and_saveexec_b64 s[2:3], s[0:1]
	s_cbranch_execz .LBB132_5
; %bb.4:
	s_mul_i32 s12, s7, s23
	s_mul_hi_u32 s13, s7, s22
	s_add_i32 s13, s13, s12
	s_mul_i32 s12, s7, s22
	s_lshl_b64 s[12:13], s[12:13], 4
	s_add_u32 s15, s18, s12
	s_addc_u32 s16, s19, s13
	s_mul_i32 s12, s6, s21
	s_mul_hi_u32 s13, s6, s20
	s_add_i32 s12, s13, s12
	s_mul_i32 s13, s14, s20
	s_add_i32 s13, s12, s13
	s_mul_i32 s12, s6, s20
	s_lshl_b64 s[12:13], s[12:13], 4
	s_add_u32 s15, s15, s12
	s_addc_u32 s16, s16, s13
	v_mad_u64_u32 v[4:5], s[12:13], v48, s20, 0
	v_mov_b32_e32 v6, v5
	v_mad_u64_u32 v[6:7], s[12:13], v48, s21, v[6:7]
	v_mov_b32_e32 v5, v6
	v_lshlrev_b64 v[4:5], 4, v[4:5]
	v_mov_b32_e32 v3, s16
	v_add_co_u32_e32 v4, vcc, s15, v4
	v_addc_co_u32_e32 v3, vcc, v3, v5, vcc
	v_add_co_u32_e32 v4, vcc, v4, v49
	v_addc_co_u32_e32 v5, vcc, 0, v3, vcc
	global_load_dwordx4 v[4:7], v[4:5], off
	v_add_u32_e32 v3, 0x1000, v1
	s_waitcnt vmcnt(0)
	ds_write2_b64 v3, v[4:5], v[6:7] offset1:1
.LBB132_5:
	s_or_b64 exec, exec, s[2:3]
	s_cmpk_eq_i32 s25, 0x84
	s_cselect_b64 s[2:3], -1, 0
	v_cmp_eq_u32_e32 vcc, v48, v2
	s_and_b64 s[12:13], vcc, s[2:3]
	s_and_saveexec_b64 s[2:3], s[12:13]
	s_cbranch_execz .LBB132_7
; %bb.6:
	v_mov_b32_e32 v4, 0
	v_mov_b32_e32 v5, 0x3ff00000
	;; [unrolled: 1-line block ×4, first 2 shown]
	ds_write_b128 v1, v[4:7]
.LBB132_7:
	s_or_b64 exec, exec, s[2:3]
	s_cmpk_lg_i32 s24, 0x79
	s_cbranch_scc0 .LBB132_9
; %bb.8:
	v_cmp_lt_u32_e32 vcc, v2, v48
	s_and_b64 s[2:3], vcc, exec
	s_cbranch_execz .LBB132_10
	s_branch .LBB132_11
.LBB132_9:
	s_mov_b64 s[2:3], 0
.LBB132_10:
	v_cmp_gt_u32_e32 vcc, v2, v48
	s_andn2_b64 s[2:3], s[2:3], exec
	s_and_b64 s[12:13], vcc, exec
	s_or_b64 s[2:3], s[2:3], s[12:13]
.LBB132_11:
	s_and_saveexec_b64 s[12:13], s[2:3]
	s_cbranch_execz .LBB132_13
; %bb.12:
	v_mov_b32_e32 v2, 0
	v_mov_b32_e32 v3, v2
	;; [unrolled: 1-line block ×4, first 2 shown]
	ds_write_b128 v1, v[2:5]
.LBB132_13:
	s_or_b64 exec, exec, s[12:13]
	s_waitcnt lgkmcnt(0)
	s_barrier
	s_and_saveexec_b64 s[2:3], s[0:1]
	s_cbranch_execz .LBB132_15
; %bb.14:
	v_lshlrev_b32_e32 v74, 4, v0
	ds_read_b128 v[12:15], v49
	ds_read_b128 v[16:19], v74 offset:4096
	ds_read_b128 v[8:11], v74 offset:4112
	ds_read_b128 v[4:7], v74 offset:4128
	ds_read_b128 v[0:3], v74 offset:4144
	ds_read_b128 v[20:23], v49 offset:256
	s_waitcnt lgkmcnt(4)
	v_mul_f64 v[24:25], v[16:17], v[14:15]
	v_fmac_f64_e32 v[24:25], v[18:19], v[12:13]
	v_add_f64 v[32:33], v[24:25], 0
	ds_read_b128 v[24:27], v49 offset:512
	ds_read_b128 v[28:31], v49 offset:768
	s_waitcnt lgkmcnt(2)
	v_mul_f64 v[34:35], v[8:9], v[22:23]
	v_fmac_f64_e32 v[34:35], v[10:11], v[20:21]
	v_add_f64 v[32:33], v[32:33], v[34:35]
	s_waitcnt lgkmcnt(1)
	v_mul_f64 v[34:35], v[4:5], v[26:27]
	v_fmac_f64_e32 v[34:35], v[6:7], v[24:25]
	v_add_f64 v[50:51], v[32:33], v[34:35]
	ds_read_b128 v[32:35], v49 offset:1024
	ds_read_b128 v[36:39], v74 offset:4160
	;; [unrolled: 1-line block ×4, first 2 shown]
	s_waitcnt lgkmcnt(4)
	v_mul_f64 v[52:53], v[0:1], v[30:31]
	v_fmac_f64_e32 v[52:53], v[2:3], v[28:29]
	v_add_f64 v[50:51], v[50:51], v[52:53]
	s_waitcnt lgkmcnt(2)
	v_mul_f64 v[52:53], v[36:37], v[34:35]
	v_fmac_f64_e32 v[52:53], v[38:39], v[32:33]
	v_add_f64 v[50:51], v[50:51], v[52:53]
	s_waitcnt lgkmcnt(0)
	v_mul_f64 v[52:53], v[40:41], v[46:47]
	v_fmac_f64_e32 v[52:53], v[42:43], v[44:45]
	v_mul_f64 v[14:15], v[18:19], v[14:15]
	v_add_f64 v[54:55], v[50:51], v[52:53]
	ds_read_b128 v[50:53], v49 offset:1536
	v_fma_f64 v[56:57], v[16:17], v[12:13], -v[14:15]
	ds_read_b128 v[12:15], v74 offset:4192
	v_mul_f64 v[10:11], v[10:11], v[22:23]
	v_fma_f64 v[58:59], v[8:9], v[20:21], -v[10:11]
	ds_read_b128 v[8:11], v74 offset:4208
	ds_read_b128 v[16:19], v49 offset:1792
	v_mul_f64 v[6:7], v[6:7], v[26:27]
	v_mul_f64 v[2:3], v[2:3], v[30:31]
	v_fma_f64 v[60:61], v[4:5], v[24:25], -v[6:7]
	ds_read_b128 v[4:7], v49 offset:2048
	v_fma_f64 v[64:65], v[0:1], v[28:29], -v[2:3]
	ds_read_b128 v[0:3], v74 offset:4224
	s_waitcnt lgkmcnt(4)
	v_mul_f64 v[20:21], v[12:13], v[52:53]
	v_fmac_f64_e32 v[20:21], v[14:15], v[50:51]
	s_waitcnt lgkmcnt(2)
	v_mul_f64 v[62:63], v[8:9], v[18:19]
	v_add_f64 v[54:55], v[54:55], v[20:21]
	v_fmac_f64_e32 v[62:63], v[10:11], v[16:17]
	s_waitcnt lgkmcnt(0)
	v_mul_f64 v[30:31], v[0:1], v[6:7]
	v_mul_f64 v[20:21], v[38:39], v[34:35]
	v_add_f64 v[28:29], v[54:55], v[62:63]
	v_fmac_f64_e32 v[30:31], v[2:3], v[4:5]
	v_fma_f64 v[66:67], v[36:37], v[32:33], -v[20:21]
	ds_read_b128 v[20:23], v74 offset:4240
	ds_read_b128 v[24:27], v49 offset:2304
	v_add_f64 v[36:37], v[28:29], v[30:31]
	v_mul_f64 v[28:29], v[42:43], v[46:47]
	v_mul_f64 v[14:15], v[14:15], v[52:53]
	v_fma_f64 v[54:55], v[40:41], v[44:45], -v[28:29]
	v_fma_f64 v[50:51], v[12:13], v[50:51], -v[14:15]
	ds_read_b128 v[12:15], v74 offset:4256
	ds_read_b128 v[28:31], v74 offset:4272
	;; [unrolled: 1-line block ×3, first 2 shown]
	v_mul_f64 v[10:11], v[10:11], v[18:19]
	v_fma_f64 v[52:53], v[8:9], v[16:17], -v[10:11]
	ds_read_b128 v[8:11], v49 offset:2816
	v_mul_f64 v[2:3], v[2:3], v[6:7]
	v_fma_f64 v[62:63], v[0:1], v[4:5], -v[2:3]
	ds_read_b128 v[0:3], v49 offset:3072
	ds_read_b128 v[4:7], v74 offset:4288
	v_add_f64 v[56:57], v[56:57], 0
	s_waitcnt lgkmcnt(6)
	v_mul_f64 v[38:39], v[20:21], v[26:27]
	v_add_f64 v[56:57], v[56:57], v[58:59]
	v_fmac_f64_e32 v[38:39], v[22:23], v[24:25]
	s_waitcnt lgkmcnt(3)
	v_mul_f64 v[18:19], v[12:13], v[34:35]
	v_add_f64 v[56:57], v[56:57], v[60:61]
	v_add_f64 v[16:17], v[36:37], v[38:39]
	v_fmac_f64_e32 v[18:19], v[14:15], v[32:33]
	v_add_f64 v[56:57], v[56:57], v[64:65]
	v_add_f64 v[36:37], v[16:17], v[18:19]
	s_waitcnt lgkmcnt(2)
	v_mul_f64 v[38:39], v[28:29], v[10:11]
	v_mul_f64 v[16:17], v[22:23], v[26:27]
	s_load_dwordx2 s[12:13], s[4:5], 0x60
	s_load_dwordx4 s[0:3], s[4:5], 0x50
	v_add_f64 v[56:57], v[56:57], v[66:67]
	v_fmac_f64_e32 v[38:39], v[30:31], v[8:9]
	v_fma_f64 v[68:69], v[20:21], v[24:25], -v[16:17]
	ds_read_b128 v[16:19], v74 offset:4304
	ds_read_b128 v[20:23], v49 offset:3328
	s_waitcnt lgkmcnt(0)
	v_mul_f64 v[26:27], v[4:5], v[2:3]
	v_add_f64 v[54:55], v[56:57], v[54:55]
	v_add_f64 v[24:25], v[36:37], v[38:39]
	v_fmac_f64_e32 v[26:27], v[6:7], v[0:1]
	v_add_f64 v[50:51], v[54:55], v[50:51]
	v_add_f64 v[70:71], v[24:25], v[26:27]
	ds_read_b128 v[24:27], v49 offset:3584
	ds_read_b128 v[36:39], v74 offset:4320
	v_add_f64 v[50:51], v[50:51], v[52:53]
	v_add_f64 v[50:51], v[50:51], v[62:63]
	v_mul_f64 v[14:15], v[14:15], v[34:35]
	ds_read_b128 v[40:43], v74 offset:4336
	ds_read_b128 v[44:47], v49 offset:3840
	s_mul_i32 s4, s7, s13
	s_mul_hi_u32 s5, s7, s12
	v_add_f64 v[50:51], v[50:51], v[68:69]
	v_fma_f64 v[12:13], v[12:13], v[32:33], -v[14:15]
	v_mul_f64 v[10:11], v[30:31], v[10:11]
	v_mul_f64 v[72:73], v[16:17], v[22:23]
	s_add_i32 s5, s5, s4
	s_mul_i32 s4, s7, s12
	v_add_f64 v[12:13], v[50:51], v[12:13]
	v_fma_f64 v[8:9], v[28:29], v[8:9], -v[10:11]
	v_mul_f64 v[2:3], v[6:7], v[2:3]
	v_fmac_f64_e32 v[72:73], v[18:19], v[20:21]
	s_lshl_b64 s[4:5], s[4:5], 4
	v_add_f64 v[8:9], v[12:13], v[8:9]
	v_fma_f64 v[0:1], v[4:5], v[0:1], -v[2:3]
	v_mul_f64 v[2:3], v[18:19], v[22:23]
	v_add_f64 v[70:71], v[70:71], v[72:73]
	s_waitcnt lgkmcnt(2)
	v_mul_f64 v[72:73], v[36:37], v[26:27]
	s_add_u32 s4, s0, s4
	v_add_f64 v[0:1], v[8:9], v[0:1]
	v_fma_f64 v[2:3], v[16:17], v[20:21], -v[2:3]
	v_fmac_f64_e32 v[72:73], v[38:39], v[24:25]
	s_addc_u32 s5, s1, s5
	s_mul_i32 s0, s6, s3
	s_mul_hi_u32 s1, s6, s2
	v_add_f64 v[0:1], v[0:1], v[2:3]
	v_mul_f64 v[2:3], v[38:39], v[26:27]
	v_add_f64 v[70:71], v[70:71], v[72:73]
	s_waitcnt lgkmcnt(0)
	v_mul_f64 v[72:73], v[40:41], v[46:47]
	s_add_i32 s0, s1, s0
	s_mul_i32 s14, s14, s2
	v_fma_f64 v[2:3], v[36:37], v[24:25], -v[2:3]
	v_fmac_f64_e32 v[72:73], v[42:43], v[44:45]
	s_add_i32 s1, s0, s14
	s_mul_i32 s0, s6, s2
	v_add_f64 v[0:1], v[0:1], v[2:3]
	v_mul_f64 v[2:3], v[42:43], v[46:47]
	v_add_f64 v[70:71], v[70:71], v[72:73]
	s_lshl_b64 s[0:1], s[0:1], 4
	v_fma_f64 v[2:3], v[40:41], v[44:45], -v[2:3]
	s_add_u32 s4, s4, s0
	v_add_f64 v[0:1], v[0:1], v[2:3]
	v_mul_f64 v[2:3], s[8:9], v[70:71]
	v_mul_f64 v[4:5], s[10:11], v[70:71]
	s_addc_u32 s5, s5, s1
	v_fmac_f64_e32 v[2:3], s[10:11], v[0:1]
	v_fma_f64 v[0:1], s[8:9], v[0:1], -v[4:5]
	v_mad_u64_u32 v[4:5], s[0:1], v48, s2, 0
	v_mov_b32_e32 v6, v5
	v_mad_u64_u32 v[6:7], s[0:1], v48, s3, v[6:7]
	v_mov_b32_e32 v5, v6
	v_lshlrev_b64 v[4:5], 4, v[4:5]
	v_mov_b32_e32 v6, s5
	v_add_co_u32_e32 v4, vcc, s4, v4
	v_addc_co_u32_e32 v5, vcc, v6, v5, vcc
	v_add_co_u32_e32 v4, vcc, v4, v49
	v_addc_co_u32_e32 v5, vcc, 0, v5, vcc
	global_store_dwordx4 v[4:5], v[0:3], off
.LBB132_15:
	s_endpgm
	.section	.rodata,"a",@progbits
	.p2align	6, 0x0
	.amdhsa_kernel _ZL23rocblas_trmm_lNx_kernelILi16E19rocblas_complex_numIdEPKS1_S2_S1_Ev13rocblas_fill_17rocblas_diagonal_iiT1_lPT2_llS8_llPT3_lli
		.amdhsa_group_segment_fixed_size 8192
		.amdhsa_private_segment_fixed_size 0
		.amdhsa_kernarg_size 108
		.amdhsa_user_sgpr_count 6
		.amdhsa_user_sgpr_private_segment_buffer 1
		.amdhsa_user_sgpr_dispatch_ptr 0
		.amdhsa_user_sgpr_queue_ptr 0
		.amdhsa_user_sgpr_kernarg_segment_ptr 1
		.amdhsa_user_sgpr_dispatch_id 0
		.amdhsa_user_sgpr_flat_scratch_init 0
		.amdhsa_user_sgpr_kernarg_preload_length 0
		.amdhsa_user_sgpr_kernarg_preload_offset 0
		.amdhsa_user_sgpr_private_segment_size 0
		.amdhsa_uses_dynamic_stack 0
		.amdhsa_system_sgpr_private_segment_wavefront_offset 0
		.amdhsa_system_sgpr_workgroup_id_x 1
		.amdhsa_system_sgpr_workgroup_id_y 0
		.amdhsa_system_sgpr_workgroup_id_z 1
		.amdhsa_system_sgpr_workgroup_info 0
		.amdhsa_system_vgpr_workitem_id 1
		.amdhsa_next_free_vgpr 75
		.amdhsa_next_free_sgpr 28
		.amdhsa_accum_offset 76
		.amdhsa_reserve_vcc 1
		.amdhsa_reserve_flat_scratch 0
		.amdhsa_float_round_mode_32 0
		.amdhsa_float_round_mode_16_64 0
		.amdhsa_float_denorm_mode_32 3
		.amdhsa_float_denorm_mode_16_64 3
		.amdhsa_dx10_clamp 1
		.amdhsa_ieee_mode 1
		.amdhsa_fp16_overflow 0
		.amdhsa_tg_split 0
		.amdhsa_exception_fp_ieee_invalid_op 0
		.amdhsa_exception_fp_denorm_src 0
		.amdhsa_exception_fp_ieee_div_zero 0
		.amdhsa_exception_fp_ieee_overflow 0
		.amdhsa_exception_fp_ieee_underflow 0
		.amdhsa_exception_fp_ieee_inexact 0
		.amdhsa_exception_int_div_zero 0
	.end_amdhsa_kernel
	.section	.text._ZL23rocblas_trmm_lNx_kernelILi16E19rocblas_complex_numIdEPKS1_S2_S1_Ev13rocblas_fill_17rocblas_diagonal_iiT1_lPT2_llS8_llPT3_lli,"axG",@progbits,_ZL23rocblas_trmm_lNx_kernelILi16E19rocblas_complex_numIdEPKS1_S2_S1_Ev13rocblas_fill_17rocblas_diagonal_iiT1_lPT2_llS8_llPT3_lli,comdat
.Lfunc_end132:
	.size	_ZL23rocblas_trmm_lNx_kernelILi16E19rocblas_complex_numIdEPKS1_S2_S1_Ev13rocblas_fill_17rocblas_diagonal_iiT1_lPT2_llS8_llPT3_lli, .Lfunc_end132-_ZL23rocblas_trmm_lNx_kernelILi16E19rocblas_complex_numIdEPKS1_S2_S1_Ev13rocblas_fill_17rocblas_diagonal_iiT1_lPT2_llS8_llPT3_lli
                                        ; -- End function
	.section	.AMDGPU.csdata,"",@progbits
; Kernel info:
; codeLenInByte = 1876
; NumSgprs: 32
; NumVgprs: 75
; NumAgprs: 0
; TotalNumVgprs: 75
; ScratchSize: 0
; MemoryBound: 0
; FloatMode: 240
; IeeeMode: 1
; LDSByteSize: 8192 bytes/workgroup (compile time only)
; SGPRBlocks: 3
; VGPRBlocks: 9
; NumSGPRsForWavesPerEU: 32
; NumVGPRsForWavesPerEU: 75
; AccumOffset: 76
; Occupancy: 6
; WaveLimiterHint : 0
; COMPUTE_PGM_RSRC2:SCRATCH_EN: 0
; COMPUTE_PGM_RSRC2:USER_SGPR: 6
; COMPUTE_PGM_RSRC2:TRAP_HANDLER: 0
; COMPUTE_PGM_RSRC2:TGID_X_EN: 1
; COMPUTE_PGM_RSRC2:TGID_Y_EN: 0
; COMPUTE_PGM_RSRC2:TGID_Z_EN: 1
; COMPUTE_PGM_RSRC2:TIDIG_COMP_CNT: 1
; COMPUTE_PGM_RSRC3_GFX90A:ACCUM_OFFSET: 18
; COMPUTE_PGM_RSRC3_GFX90A:TG_SPLIT: 0
	.section	.text._ZL23rocblas_trmm_lNx_kernelILi16E19rocblas_complex_numIdES1_KS1_S1_Ev13rocblas_fill_17rocblas_diagonal_iiT1_lPT2_llS7_llPT3_lli,"axG",@progbits,_ZL23rocblas_trmm_lNx_kernelILi16E19rocblas_complex_numIdES1_KS1_S1_Ev13rocblas_fill_17rocblas_diagonal_iiT1_lPT2_llS7_llPT3_lli,comdat
	.globl	_ZL23rocblas_trmm_lNx_kernelILi16E19rocblas_complex_numIdES1_KS1_S1_Ev13rocblas_fill_17rocblas_diagonal_iiT1_lPT2_llS7_llPT3_lli ; -- Begin function _ZL23rocblas_trmm_lNx_kernelILi16E19rocblas_complex_numIdES1_KS1_S1_Ev13rocblas_fill_17rocblas_diagonal_iiT1_lPT2_llS7_llPT3_lli
	.p2align	8
	.type	_ZL23rocblas_trmm_lNx_kernelILi16E19rocblas_complex_numIdES1_KS1_S1_Ev13rocblas_fill_17rocblas_diagonal_iiT1_lPT2_llS7_llPT3_lli,@function
_ZL23rocblas_trmm_lNx_kernelILi16E19rocblas_complex_numIdES1_KS1_S1_Ev13rocblas_fill_17rocblas_diagonal_iiT1_lPT2_llS7_llPT3_lli: ; @_ZL23rocblas_trmm_lNx_kernelILi16E19rocblas_complex_numIdES1_KS1_S1_Ev13rocblas_fill_17rocblas_diagonal_iiT1_lPT2_llS7_llPT3_lli
; %bb.0:
	s_load_dwordx4 s[24:27], s[4:5], 0x10
	s_waitcnt lgkmcnt(0)
	v_cmp_neq_f64_e64 s[0:1], s[24:25], 0
	v_cmp_neq_f64_e64 s[2:3], s[26:27], 0
	s_or_b64 s[0:1], s[0:1], s[2:3]
	s_andn2_b64 vcc, exec, s[0:1]
	s_cbranch_vccnz .LBB133_15
; %bb.1:
	s_load_dwordx4 s[28:31], s[4:5], 0x0
	s_load_dwordx16 s[8:23], s[4:5], 0x28
	s_mov_b32 s0, 0
	s_mov_b32 s2, s0
	;; [unrolled: 1-line block ×3, first 2 shown]
	v_and_b32_e32 v2, 0x3ff, v0
	v_bfe_u32 v48, v0, 10, 10
	s_mov_b32 s1, s0
	v_pk_mov_b32 v[6:7], s[2:3], s[2:3] op_sel:[0,1]
	v_lshlrev_b32_e32 v0, 4, v48
	v_pk_mov_b32 v[4:5], s[0:1], s[0:1] op_sel:[0,1]
	s_waitcnt lgkmcnt(0)
	v_cmp_gt_i32_e64 s[0:1], s30, v48
	v_cmp_gt_i32_e32 vcc, s30, v2
	v_add_lshl_u32 v1, v0, v2, 4
	s_and_b64 s[0:1], s[0:1], vcc
	v_lshlrev_b32_e32 v49, 4, v2
	ds_write_b128 v1, v[4:7]
	ds_write_b128 v1, v[4:7] offset:4096
	s_and_saveexec_b64 s[2:3], s[0:1]
	s_cbranch_execz .LBB133_3
; %bb.2:
	s_mul_i32 s0, s7, s13
	s_mul_hi_u32 s1, s7, s12
	s_add_i32 s1, s1, s0
	s_mul_i32 s0, s7, s12
	s_lshl_b64 s[0:1], s[0:1], 4
	s_add_u32 s8, s8, s0
	s_addc_u32 s9, s9, s1
	v_mad_u64_u32 v[4:5], s[0:1], v48, s10, 0
	v_mov_b32_e32 v6, v5
	v_mad_u64_u32 v[6:7], s[0:1], v48, s11, v[6:7]
	v_mov_b32_e32 v5, v6
	v_lshlrev_b64 v[4:5], 4, v[4:5]
	v_mov_b32_e32 v3, s9
	v_add_co_u32_e64 v4, s[0:1], s8, v4
	v_addc_co_u32_e64 v3, s[0:1], v3, v5, s[0:1]
	v_add_co_u32_e64 v4, s[0:1], v4, v49
	v_addc_co_u32_e64 v5, s[0:1], 0, v3, s[0:1]
	global_load_dwordx4 v[4:7], v[4:5], off
	s_waitcnt vmcnt(0)
	ds_write2_b64 v1, v[4:5], v[6:7] offset1:1
.LBB133_3:
	s_or_b64 exec, exec, s[2:3]
	s_add_i32 s0, s31, -1
	s_ashr_i32 s1, s0, 31
	s_lshr_b32 s1, s1, 28
	s_add_i32 s0, s0, s1
	s_ashr_i32 s1, s0, 4
	s_and_b32 s0, s0, -16
	s_sub_i32 s0, s31, s0
	s_cmp_ge_i32 s6, s1
	s_cselect_b32 s0, s0, 16
	s_lshl_b32 s6, s6, 4
	v_cmp_gt_i32_e64 s[0:1], s0, v48
	s_ashr_i32 s10, s6, 31
	s_and_b64 s[0:1], vcc, s[0:1]
	s_and_saveexec_b64 s[2:3], s[0:1]
	s_cbranch_execz .LBB133_5
; %bb.4:
	s_mul_i32 s8, s7, s19
	s_mul_hi_u32 s9, s7, s18
	s_add_i32 s9, s9, s8
	s_mul_i32 s8, s7, s18
	s_lshl_b64 s[8:9], s[8:9], 4
	s_add_u32 s11, s14, s8
	s_addc_u32 s12, s15, s9
	s_mul_i32 s8, s6, s17
	s_mul_hi_u32 s9, s6, s16
	s_add_i32 s8, s9, s8
	s_mul_i32 s9, s10, s16
	s_add_i32 s9, s8, s9
	s_mul_i32 s8, s6, s16
	s_lshl_b64 s[8:9], s[8:9], 4
	s_add_u32 s11, s11, s8
	s_addc_u32 s12, s12, s9
	v_mad_u64_u32 v[4:5], s[8:9], v48, s16, 0
	v_mov_b32_e32 v6, v5
	v_mad_u64_u32 v[6:7], s[8:9], v48, s17, v[6:7]
	v_mov_b32_e32 v5, v6
	v_lshlrev_b64 v[4:5], 4, v[4:5]
	v_mov_b32_e32 v3, s12
	v_add_co_u32_e32 v4, vcc, s11, v4
	v_addc_co_u32_e32 v3, vcc, v3, v5, vcc
	v_add_co_u32_e32 v4, vcc, v4, v49
	v_addc_co_u32_e32 v5, vcc, 0, v3, vcc
	global_load_dwordx4 v[4:7], v[4:5], off
	v_add_u32_e32 v3, 0x1000, v1
	s_waitcnt vmcnt(0)
	ds_write2_b64 v3, v[4:5], v[6:7] offset1:1
.LBB133_5:
	s_or_b64 exec, exec, s[2:3]
	s_cmpk_eq_i32 s29, 0x84
	s_cselect_b64 s[2:3], -1, 0
	v_cmp_eq_u32_e32 vcc, v48, v2
	s_and_b64 s[8:9], vcc, s[2:3]
	s_and_saveexec_b64 s[2:3], s[8:9]
	s_cbranch_execz .LBB133_7
; %bb.6:
	v_mov_b32_e32 v4, 0
	v_mov_b32_e32 v5, 0x3ff00000
	;; [unrolled: 1-line block ×4, first 2 shown]
	ds_write_b128 v1, v[4:7]
.LBB133_7:
	s_or_b64 exec, exec, s[2:3]
	s_cmpk_lg_i32 s28, 0x79
	s_cbranch_scc0 .LBB133_9
; %bb.8:
	v_cmp_lt_u32_e32 vcc, v2, v48
	s_and_b64 s[2:3], vcc, exec
	s_cbranch_execz .LBB133_10
	s_branch .LBB133_11
.LBB133_9:
	s_mov_b64 s[2:3], 0
.LBB133_10:
	v_cmp_gt_u32_e32 vcc, v2, v48
	s_andn2_b64 s[2:3], s[2:3], exec
	s_and_b64 s[8:9], vcc, exec
	s_or_b64 s[2:3], s[2:3], s[8:9]
.LBB133_11:
	s_and_saveexec_b64 s[8:9], s[2:3]
	s_cbranch_execz .LBB133_13
; %bb.12:
	v_mov_b32_e32 v2, 0
	v_mov_b32_e32 v3, v2
	;; [unrolled: 1-line block ×4, first 2 shown]
	ds_write_b128 v1, v[2:5]
.LBB133_13:
	s_or_b64 exec, exec, s[8:9]
	s_waitcnt lgkmcnt(0)
	s_barrier
	s_and_saveexec_b64 s[2:3], s[0:1]
	s_cbranch_execz .LBB133_15
; %bb.14:
	v_lshlrev_b32_e32 v74, 4, v0
	ds_read_b128 v[12:15], v49
	ds_read_b128 v[16:19], v74 offset:4096
	ds_read_b128 v[8:11], v74 offset:4112
	;; [unrolled: 1-line block ×5, first 2 shown]
	s_waitcnt lgkmcnt(4)
	v_mul_f64 v[24:25], v[16:17], v[14:15]
	v_fmac_f64_e32 v[24:25], v[18:19], v[12:13]
	v_add_f64 v[32:33], v[24:25], 0
	ds_read_b128 v[24:27], v49 offset:512
	ds_read_b128 v[28:31], v49 offset:768
	s_waitcnt lgkmcnt(2)
	v_mul_f64 v[34:35], v[8:9], v[22:23]
	v_fmac_f64_e32 v[34:35], v[10:11], v[20:21]
	v_add_f64 v[32:33], v[32:33], v[34:35]
	s_waitcnt lgkmcnt(1)
	v_mul_f64 v[34:35], v[4:5], v[26:27]
	v_fmac_f64_e32 v[34:35], v[6:7], v[24:25]
	v_add_f64 v[50:51], v[32:33], v[34:35]
	ds_read_b128 v[32:35], v49 offset:1024
	ds_read_b128 v[36:39], v74 offset:4160
	ds_read_b128 v[40:43], v74 offset:4176
	ds_read_b128 v[44:47], v49 offset:1280
	s_waitcnt lgkmcnt(4)
	v_mul_f64 v[52:53], v[0:1], v[30:31]
	v_fmac_f64_e32 v[52:53], v[2:3], v[28:29]
	v_add_f64 v[50:51], v[50:51], v[52:53]
	s_waitcnt lgkmcnt(2)
	v_mul_f64 v[52:53], v[36:37], v[34:35]
	v_fmac_f64_e32 v[52:53], v[38:39], v[32:33]
	v_add_f64 v[50:51], v[50:51], v[52:53]
	s_waitcnt lgkmcnt(0)
	v_mul_f64 v[52:53], v[40:41], v[46:47]
	v_fmac_f64_e32 v[52:53], v[42:43], v[44:45]
	v_mul_f64 v[14:15], v[18:19], v[14:15]
	v_add_f64 v[54:55], v[50:51], v[52:53]
	ds_read_b128 v[50:53], v49 offset:1536
	v_fma_f64 v[56:57], v[16:17], v[12:13], -v[14:15]
	ds_read_b128 v[12:15], v74 offset:4192
	v_mul_f64 v[10:11], v[10:11], v[22:23]
	v_fma_f64 v[58:59], v[8:9], v[20:21], -v[10:11]
	ds_read_b128 v[8:11], v74 offset:4208
	ds_read_b128 v[16:19], v49 offset:1792
	v_mul_f64 v[6:7], v[6:7], v[26:27]
	v_mul_f64 v[2:3], v[2:3], v[30:31]
	v_fma_f64 v[60:61], v[4:5], v[24:25], -v[6:7]
	ds_read_b128 v[4:7], v49 offset:2048
	v_fma_f64 v[64:65], v[0:1], v[28:29], -v[2:3]
	ds_read_b128 v[0:3], v74 offset:4224
	s_waitcnt lgkmcnt(4)
	v_mul_f64 v[20:21], v[12:13], v[52:53]
	v_fmac_f64_e32 v[20:21], v[14:15], v[50:51]
	s_waitcnt lgkmcnt(2)
	v_mul_f64 v[62:63], v[8:9], v[18:19]
	v_add_f64 v[54:55], v[54:55], v[20:21]
	v_fmac_f64_e32 v[62:63], v[10:11], v[16:17]
	s_waitcnt lgkmcnt(0)
	v_mul_f64 v[30:31], v[0:1], v[6:7]
	v_mul_f64 v[20:21], v[38:39], v[34:35]
	v_add_f64 v[28:29], v[54:55], v[62:63]
	v_fmac_f64_e32 v[30:31], v[2:3], v[4:5]
	v_fma_f64 v[66:67], v[36:37], v[32:33], -v[20:21]
	ds_read_b128 v[20:23], v74 offset:4240
	ds_read_b128 v[24:27], v49 offset:2304
	v_add_f64 v[36:37], v[28:29], v[30:31]
	v_mul_f64 v[28:29], v[42:43], v[46:47]
	v_mul_f64 v[14:15], v[14:15], v[52:53]
	v_fma_f64 v[54:55], v[40:41], v[44:45], -v[28:29]
	v_fma_f64 v[50:51], v[12:13], v[50:51], -v[14:15]
	ds_read_b128 v[12:15], v74 offset:4256
	ds_read_b128 v[28:31], v74 offset:4272
	;; [unrolled: 1-line block ×3, first 2 shown]
	v_mul_f64 v[10:11], v[10:11], v[18:19]
	v_fma_f64 v[52:53], v[8:9], v[16:17], -v[10:11]
	ds_read_b128 v[8:11], v49 offset:2816
	v_mul_f64 v[2:3], v[2:3], v[6:7]
	v_fma_f64 v[62:63], v[0:1], v[4:5], -v[2:3]
	ds_read_b128 v[0:3], v49 offset:3072
	ds_read_b128 v[4:7], v74 offset:4288
	v_add_f64 v[56:57], v[56:57], 0
	s_waitcnt lgkmcnt(6)
	v_mul_f64 v[38:39], v[20:21], v[26:27]
	v_add_f64 v[56:57], v[56:57], v[58:59]
	v_fmac_f64_e32 v[38:39], v[22:23], v[24:25]
	s_waitcnt lgkmcnt(3)
	v_mul_f64 v[18:19], v[12:13], v[34:35]
	v_add_f64 v[56:57], v[56:57], v[60:61]
	v_add_f64 v[16:17], v[36:37], v[38:39]
	v_fmac_f64_e32 v[18:19], v[14:15], v[32:33]
	v_add_f64 v[56:57], v[56:57], v[64:65]
	v_add_f64 v[36:37], v[16:17], v[18:19]
	s_waitcnt lgkmcnt(2)
	v_mul_f64 v[38:39], v[28:29], v[10:11]
	v_mul_f64 v[16:17], v[22:23], v[26:27]
	s_load_dwordx2 s[0:1], s[4:5], 0x68
	v_add_f64 v[56:57], v[56:57], v[66:67]
	v_fmac_f64_e32 v[38:39], v[30:31], v[8:9]
	v_fma_f64 v[68:69], v[20:21], v[24:25], -v[16:17]
	ds_read_b128 v[16:19], v74 offset:4304
	ds_read_b128 v[20:23], v49 offset:3328
	s_waitcnt lgkmcnt(0)
	v_mul_f64 v[26:27], v[4:5], v[2:3]
	v_add_f64 v[54:55], v[56:57], v[54:55]
	v_add_f64 v[24:25], v[36:37], v[38:39]
	v_fmac_f64_e32 v[26:27], v[6:7], v[0:1]
	v_add_f64 v[50:51], v[54:55], v[50:51]
	v_add_f64 v[70:71], v[24:25], v[26:27]
	ds_read_b128 v[24:27], v49 offset:3584
	ds_read_b128 v[36:39], v74 offset:4320
	v_add_f64 v[50:51], v[50:51], v[52:53]
	v_add_f64 v[50:51], v[50:51], v[62:63]
	v_mul_f64 v[14:15], v[14:15], v[34:35]
	ds_read_b128 v[40:43], v74 offset:4336
	ds_read_b128 v[44:47], v49 offset:3840
	s_mul_i32 s1, s7, s1
	s_mul_hi_u32 s2, s7, s0
	v_add_f64 v[50:51], v[50:51], v[68:69]
	v_fma_f64 v[12:13], v[12:13], v[32:33], -v[14:15]
	v_mul_f64 v[10:11], v[30:31], v[10:11]
	v_mul_f64 v[72:73], v[16:17], v[22:23]
	s_add_i32 s1, s2, s1
	s_mul_i32 s0, s7, s0
	v_add_f64 v[12:13], v[50:51], v[12:13]
	v_fma_f64 v[8:9], v[28:29], v[8:9], -v[10:11]
	v_mul_f64 v[2:3], v[6:7], v[2:3]
	v_fmac_f64_e32 v[72:73], v[18:19], v[20:21]
	s_lshl_b64 s[0:1], s[0:1], 4
	v_add_f64 v[8:9], v[12:13], v[8:9]
	v_fma_f64 v[0:1], v[4:5], v[0:1], -v[2:3]
	v_mul_f64 v[2:3], v[18:19], v[22:23]
	v_add_f64 v[70:71], v[70:71], v[72:73]
	s_waitcnt lgkmcnt(2)
	v_mul_f64 v[72:73], v[36:37], v[26:27]
	s_add_u32 s2, s20, s0
	v_add_f64 v[0:1], v[8:9], v[0:1]
	v_fma_f64 v[2:3], v[16:17], v[20:21], -v[2:3]
	v_fmac_f64_e32 v[72:73], v[38:39], v[24:25]
	s_addc_u32 s3, s21, s1
	s_mul_i32 s0, s6, s23
	s_mul_hi_u32 s1, s6, s22
	v_add_f64 v[0:1], v[0:1], v[2:3]
	v_mul_f64 v[2:3], v[38:39], v[26:27]
	v_add_f64 v[70:71], v[70:71], v[72:73]
	s_waitcnt lgkmcnt(0)
	v_mul_f64 v[72:73], v[40:41], v[46:47]
	s_add_i32 s0, s1, s0
	s_mul_i32 s10, s10, s22
	v_fma_f64 v[2:3], v[36:37], v[24:25], -v[2:3]
	v_fmac_f64_e32 v[72:73], v[42:43], v[44:45]
	s_add_i32 s1, s0, s10
	s_mul_i32 s0, s6, s22
	v_add_f64 v[0:1], v[0:1], v[2:3]
	v_mul_f64 v[2:3], v[42:43], v[46:47]
	v_add_f64 v[70:71], v[70:71], v[72:73]
	s_lshl_b64 s[0:1], s[0:1], 4
	v_fma_f64 v[2:3], v[40:41], v[44:45], -v[2:3]
	s_add_u32 s2, s2, s0
	v_add_f64 v[0:1], v[0:1], v[2:3]
	v_mul_f64 v[2:3], s[24:25], v[70:71]
	v_mul_f64 v[4:5], s[26:27], v[70:71]
	s_addc_u32 s3, s3, s1
	v_fmac_f64_e32 v[2:3], s[26:27], v[0:1]
	v_fma_f64 v[0:1], s[24:25], v[0:1], -v[4:5]
	v_mad_u64_u32 v[4:5], s[0:1], v48, s22, 0
	v_mov_b32_e32 v6, v5
	v_mad_u64_u32 v[6:7], s[0:1], v48, s23, v[6:7]
	v_mov_b32_e32 v5, v6
	v_lshlrev_b64 v[4:5], 4, v[4:5]
	v_mov_b32_e32 v6, s3
	v_add_co_u32_e32 v4, vcc, s2, v4
	v_addc_co_u32_e32 v5, vcc, v6, v5, vcc
	v_add_co_u32_e32 v4, vcc, v4, v49
	v_addc_co_u32_e32 v5, vcc, 0, v5, vcc
	global_store_dwordx4 v[4:5], v[0:3], off
.LBB133_15:
	s_endpgm
	.section	.rodata,"a",@progbits
	.p2align	6, 0x0
	.amdhsa_kernel _ZL23rocblas_trmm_lNx_kernelILi16E19rocblas_complex_numIdES1_KS1_S1_Ev13rocblas_fill_17rocblas_diagonal_iiT1_lPT2_llS7_llPT3_lli
		.amdhsa_group_segment_fixed_size 8192
		.amdhsa_private_segment_fixed_size 0
		.amdhsa_kernarg_size 116
		.amdhsa_user_sgpr_count 6
		.amdhsa_user_sgpr_private_segment_buffer 1
		.amdhsa_user_sgpr_dispatch_ptr 0
		.amdhsa_user_sgpr_queue_ptr 0
		.amdhsa_user_sgpr_kernarg_segment_ptr 1
		.amdhsa_user_sgpr_dispatch_id 0
		.amdhsa_user_sgpr_flat_scratch_init 0
		.amdhsa_user_sgpr_kernarg_preload_length 0
		.amdhsa_user_sgpr_kernarg_preload_offset 0
		.amdhsa_user_sgpr_private_segment_size 0
		.amdhsa_uses_dynamic_stack 0
		.amdhsa_system_sgpr_private_segment_wavefront_offset 0
		.amdhsa_system_sgpr_workgroup_id_x 1
		.amdhsa_system_sgpr_workgroup_id_y 0
		.amdhsa_system_sgpr_workgroup_id_z 1
		.amdhsa_system_sgpr_workgroup_info 0
		.amdhsa_system_vgpr_workitem_id 1
		.amdhsa_next_free_vgpr 75
		.amdhsa_next_free_sgpr 32
		.amdhsa_accum_offset 76
		.amdhsa_reserve_vcc 1
		.amdhsa_reserve_flat_scratch 0
		.amdhsa_float_round_mode_32 0
		.amdhsa_float_round_mode_16_64 0
		.amdhsa_float_denorm_mode_32 3
		.amdhsa_float_denorm_mode_16_64 3
		.amdhsa_dx10_clamp 1
		.amdhsa_ieee_mode 1
		.amdhsa_fp16_overflow 0
		.amdhsa_tg_split 0
		.amdhsa_exception_fp_ieee_invalid_op 0
		.amdhsa_exception_fp_denorm_src 0
		.amdhsa_exception_fp_ieee_div_zero 0
		.amdhsa_exception_fp_ieee_overflow 0
		.amdhsa_exception_fp_ieee_underflow 0
		.amdhsa_exception_fp_ieee_inexact 0
		.amdhsa_exception_int_div_zero 0
	.end_amdhsa_kernel
	.section	.text._ZL23rocblas_trmm_lNx_kernelILi16E19rocblas_complex_numIdES1_KS1_S1_Ev13rocblas_fill_17rocblas_diagonal_iiT1_lPT2_llS7_llPT3_lli,"axG",@progbits,_ZL23rocblas_trmm_lNx_kernelILi16E19rocblas_complex_numIdES1_KS1_S1_Ev13rocblas_fill_17rocblas_diagonal_iiT1_lPT2_llS7_llPT3_lli,comdat
.Lfunc_end133:
	.size	_ZL23rocblas_trmm_lNx_kernelILi16E19rocblas_complex_numIdES1_KS1_S1_Ev13rocblas_fill_17rocblas_diagonal_iiT1_lPT2_llS7_llPT3_lli, .Lfunc_end133-_ZL23rocblas_trmm_lNx_kernelILi16E19rocblas_complex_numIdES1_KS1_S1_Ev13rocblas_fill_17rocblas_diagonal_iiT1_lPT2_llS7_llPT3_lli
                                        ; -- End function
	.section	.AMDGPU.csdata,"",@progbits
; Kernel info:
; codeLenInByte = 1836
; NumSgprs: 36
; NumVgprs: 75
; NumAgprs: 0
; TotalNumVgprs: 75
; ScratchSize: 0
; MemoryBound: 0
; FloatMode: 240
; IeeeMode: 1
; LDSByteSize: 8192 bytes/workgroup (compile time only)
; SGPRBlocks: 4
; VGPRBlocks: 9
; NumSGPRsForWavesPerEU: 36
; NumVGPRsForWavesPerEU: 75
; AccumOffset: 76
; Occupancy: 6
; WaveLimiterHint : 0
; COMPUTE_PGM_RSRC2:SCRATCH_EN: 0
; COMPUTE_PGM_RSRC2:USER_SGPR: 6
; COMPUTE_PGM_RSRC2:TRAP_HANDLER: 0
; COMPUTE_PGM_RSRC2:TGID_X_EN: 1
; COMPUTE_PGM_RSRC2:TGID_Y_EN: 0
; COMPUTE_PGM_RSRC2:TGID_Z_EN: 1
; COMPUTE_PGM_RSRC2:TIDIG_COMP_CNT: 1
; COMPUTE_PGM_RSRC3_GFX90A:ACCUM_OFFSET: 18
; COMPUTE_PGM_RSRC3_GFX90A:TG_SPLIT: 0
	.section	.text._ZL23rocblas_trmm_lTx_kernelILi16ELb0E19rocblas_complex_numIdEPKS1_S2_S1_Ev13rocblas_fill_17rocblas_diagonal_iiT2_lPT3_llS8_llPT4_lli,"axG",@progbits,_ZL23rocblas_trmm_lTx_kernelILi16ELb0E19rocblas_complex_numIdEPKS1_S2_S1_Ev13rocblas_fill_17rocblas_diagonal_iiT2_lPT3_llS8_llPT4_lli,comdat
	.globl	_ZL23rocblas_trmm_lTx_kernelILi16ELb0E19rocblas_complex_numIdEPKS1_S2_S1_Ev13rocblas_fill_17rocblas_diagonal_iiT2_lPT3_llS8_llPT4_lli ; -- Begin function _ZL23rocblas_trmm_lTx_kernelILi16ELb0E19rocblas_complex_numIdEPKS1_S2_S1_Ev13rocblas_fill_17rocblas_diagonal_iiT2_lPT3_llS8_llPT4_lli
	.p2align	8
	.type	_ZL23rocblas_trmm_lTx_kernelILi16ELb0E19rocblas_complex_numIdEPKS1_S2_S1_Ev13rocblas_fill_17rocblas_diagonal_iiT2_lPT3_llS8_llPT4_lli,@function
_ZL23rocblas_trmm_lTx_kernelILi16ELb0E19rocblas_complex_numIdEPKS1_S2_S1_Ev13rocblas_fill_17rocblas_diagonal_iiT2_lPT3_llS8_llPT4_lli: ; @_ZL23rocblas_trmm_lTx_kernelILi16ELb0E19rocblas_complex_numIdEPKS1_S2_S1_Ev13rocblas_fill_17rocblas_diagonal_iiT2_lPT3_llS8_llPT4_lli
; %bb.0:
	s_load_dwordx16 s[8:23], s[4:5], 0x10
	s_waitcnt lgkmcnt(0)
	s_mul_i32 s0, s7, s11
	s_mul_hi_u32 s1, s7, s10
	s_add_i32 s1, s1, s0
	s_mul_i32 s0, s7, s10
	s_lshl_b64 s[0:1], s[0:1], 4
	s_add_u32 s0, s8, s0
	s_addc_u32 s1, s9, s1
	s_load_dwordx4 s[8:11], s[0:1], 0x0
	s_waitcnt lgkmcnt(0)
	v_cmp_neq_f64_e64 s[0:1], s[8:9], 0
	v_cmp_neq_f64_e64 s[2:3], s[10:11], 0
	s_or_b64 s[0:1], s[0:1], s[2:3]
	s_andn2_b64 vcc, exec, s[0:1]
	s_cbranch_vccnz .LBB134_15
; %bb.1:
	s_load_dwordx4 s[24:27], s[4:5], 0x0
	s_mov_b32 s0, 0
	s_mov_b32 s2, s0
	;; [unrolled: 1-line block ×3, first 2 shown]
	v_and_b32_e32 v2, 0x3ff, v0
	v_bfe_u32 v48, v0, 10, 10
	s_mov_b32 s1, s0
	v_pk_mov_b32 v[6:7], s[2:3], s[2:3] op_sel:[0,1]
	v_lshlrev_b32_e32 v0, 4, v48
	v_pk_mov_b32 v[4:5], s[0:1], s[0:1] op_sel:[0,1]
	s_waitcnt lgkmcnt(0)
	v_cmp_gt_i32_e64 s[0:1], s26, v48
	v_cmp_gt_i32_e32 vcc, s26, v2
	v_add_lshl_u32 v1, v0, v2, 4
	s_and_b64 s[0:1], s[0:1], vcc
	v_lshlrev_b32_e32 v49, 4, v2
	ds_write_b128 v1, v[4:7]
	ds_write_b128 v1, v[4:7] offset:4096
	s_waitcnt lgkmcnt(0)
	s_barrier
	s_and_saveexec_b64 s[2:3], s[0:1]
	s_cbranch_execz .LBB134_3
; %bb.2:
	s_mul_i32 s0, s7, s17
	s_mul_hi_u32 s1, s7, s16
	s_add_i32 s1, s1, s0
	s_mul_i32 s0, s7, s16
	s_lshl_b64 s[0:1], s[0:1], 4
	s_add_u32 s12, s12, s0
	s_addc_u32 s13, s13, s1
	v_mad_u64_u32 v[4:5], s[0:1], v48, s14, 0
	v_mov_b32_e32 v6, v5
	v_mad_u64_u32 v[6:7], s[0:1], v48, s15, v[6:7]
	v_mov_b32_e32 v5, v6
	v_lshlrev_b64 v[4:5], 4, v[4:5]
	v_mov_b32_e32 v3, s13
	v_add_co_u32_e64 v4, s[0:1], s12, v4
	v_addc_co_u32_e64 v3, s[0:1], v3, v5, s[0:1]
	v_add_co_u32_e64 v4, s[0:1], v4, v49
	v_addc_co_u32_e64 v5, s[0:1], 0, v3, s[0:1]
	global_load_dwordx4 v[4:7], v[4:5], off
	v_add_lshl_u32 v3, v49, v48, 4
	s_waitcnt vmcnt(0)
	ds_write2_b64 v3, v[4:5], v[6:7] offset1:1
.LBB134_3:
	s_or_b64 exec, exec, s[2:3]
	s_add_i32 s0, s27, -1
	s_ashr_i32 s1, s0, 31
	s_lshr_b32 s1, s1, 28
	s_add_i32 s0, s0, s1
	s_ashr_i32 s1, s0, 4
	s_and_b32 s0, s0, -16
	s_sub_i32 s0, s27, s0
	s_cmp_ge_i32 s6, s1
	s_cselect_b32 s0, s0, 16
	s_lshl_b32 s6, s6, 4
	v_cmp_gt_i32_e64 s[0:1], s0, v48
	s_ashr_i32 s14, s6, 31
	s_and_b64 s[0:1], vcc, s[0:1]
	s_and_saveexec_b64 s[2:3], s[0:1]
	s_cbranch_execz .LBB134_5
; %bb.4:
	s_mul_i32 s12, s7, s23
	s_mul_hi_u32 s13, s7, s22
	s_add_i32 s13, s13, s12
	s_mul_i32 s12, s7, s22
	s_lshl_b64 s[12:13], s[12:13], 4
	s_add_u32 s15, s18, s12
	s_addc_u32 s16, s19, s13
	s_mul_i32 s12, s6, s21
	s_mul_hi_u32 s13, s6, s20
	s_add_i32 s12, s13, s12
	s_mul_i32 s13, s14, s20
	s_add_i32 s13, s12, s13
	s_mul_i32 s12, s6, s20
	s_lshl_b64 s[12:13], s[12:13], 4
	s_add_u32 s15, s15, s12
	s_addc_u32 s16, s16, s13
	v_mad_u64_u32 v[4:5], s[12:13], v48, s20, 0
	v_mov_b32_e32 v6, v5
	v_mad_u64_u32 v[6:7], s[12:13], v48, s21, v[6:7]
	v_mov_b32_e32 v5, v6
	v_lshlrev_b64 v[4:5], 4, v[4:5]
	v_mov_b32_e32 v3, s16
	v_add_co_u32_e32 v4, vcc, s15, v4
	v_addc_co_u32_e32 v3, vcc, v3, v5, vcc
	v_add_co_u32_e32 v4, vcc, v4, v49
	v_addc_co_u32_e32 v5, vcc, 0, v3, vcc
	global_load_dwordx4 v[4:7], v[4:5], off
	v_add_u32_e32 v3, 0x1000, v1
	s_waitcnt vmcnt(0)
	ds_write2_b64 v3, v[4:5], v[6:7] offset1:1
.LBB134_5:
	s_or_b64 exec, exec, s[2:3]
	s_cmpk_eq_i32 s25, 0x84
	s_cselect_b64 s[2:3], -1, 0
	v_cmp_eq_u32_e32 vcc, v48, v2
	s_and_b64 s[12:13], vcc, s[2:3]
	s_and_saveexec_b64 s[2:3], s[12:13]
	s_cbranch_execz .LBB134_7
; %bb.6:
	v_mov_b32_e32 v4, 0
	v_mov_b32_e32 v5, 0x3ff00000
	;; [unrolled: 1-line block ×4, first 2 shown]
	ds_write_b128 v1, v[4:7]
.LBB134_7:
	s_or_b64 exec, exec, s[2:3]
	s_cmpk_lg_i32 s24, 0x7a
	s_waitcnt lgkmcnt(0)
	s_barrier
	s_cbranch_scc0 .LBB134_9
; %bb.8:
	v_cmp_lt_u32_e32 vcc, v2, v48
	s_and_b64 s[2:3], vcc, exec
	s_cbranch_execz .LBB134_10
	s_branch .LBB134_11
.LBB134_9:
	s_mov_b64 s[2:3], 0
.LBB134_10:
	v_cmp_gt_u32_e32 vcc, v2, v48
	s_andn2_b64 s[2:3], s[2:3], exec
	s_and_b64 s[12:13], vcc, exec
	s_or_b64 s[2:3], s[2:3], s[12:13]
.LBB134_11:
	s_and_saveexec_b64 s[12:13], s[2:3]
	s_cbranch_execz .LBB134_13
; %bb.12:
	v_mov_b32_e32 v2, 0
	v_mov_b32_e32 v3, v2
	;; [unrolled: 1-line block ×4, first 2 shown]
	ds_write_b128 v1, v[2:5]
.LBB134_13:
	s_or_b64 exec, exec, s[12:13]
	s_waitcnt lgkmcnt(0)
	s_barrier
	s_and_saveexec_b64 s[2:3], s[0:1]
	s_cbranch_execz .LBB134_15
; %bb.14:
	v_lshlrev_b32_e32 v74, 4, v0
	ds_read_b128 v[12:15], v49
	ds_read_b128 v[16:19], v74 offset:4096
	ds_read_b128 v[8:11], v74 offset:4112
	;; [unrolled: 1-line block ×5, first 2 shown]
	s_waitcnt lgkmcnt(4)
	v_mul_f64 v[24:25], v[16:17], v[14:15]
	v_fmac_f64_e32 v[24:25], v[18:19], v[12:13]
	v_add_f64 v[32:33], v[24:25], 0
	ds_read_b128 v[24:27], v49 offset:512
	ds_read_b128 v[28:31], v49 offset:768
	s_waitcnt lgkmcnt(2)
	v_mul_f64 v[34:35], v[8:9], v[22:23]
	v_fmac_f64_e32 v[34:35], v[10:11], v[20:21]
	v_add_f64 v[32:33], v[32:33], v[34:35]
	s_waitcnt lgkmcnt(1)
	v_mul_f64 v[34:35], v[4:5], v[26:27]
	v_fmac_f64_e32 v[34:35], v[6:7], v[24:25]
	v_add_f64 v[50:51], v[32:33], v[34:35]
	ds_read_b128 v[32:35], v49 offset:1024
	ds_read_b128 v[36:39], v74 offset:4160
	ds_read_b128 v[40:43], v74 offset:4176
	ds_read_b128 v[44:47], v49 offset:1280
	s_waitcnt lgkmcnt(4)
	v_mul_f64 v[52:53], v[0:1], v[30:31]
	v_fmac_f64_e32 v[52:53], v[2:3], v[28:29]
	v_add_f64 v[50:51], v[50:51], v[52:53]
	s_waitcnt lgkmcnt(2)
	v_mul_f64 v[52:53], v[36:37], v[34:35]
	v_fmac_f64_e32 v[52:53], v[38:39], v[32:33]
	v_add_f64 v[50:51], v[50:51], v[52:53]
	s_waitcnt lgkmcnt(0)
	v_mul_f64 v[52:53], v[40:41], v[46:47]
	v_fmac_f64_e32 v[52:53], v[42:43], v[44:45]
	v_mul_f64 v[14:15], v[18:19], v[14:15]
	v_add_f64 v[54:55], v[50:51], v[52:53]
	ds_read_b128 v[50:53], v49 offset:1536
	v_fma_f64 v[56:57], v[16:17], v[12:13], -v[14:15]
	ds_read_b128 v[12:15], v74 offset:4192
	v_mul_f64 v[10:11], v[10:11], v[22:23]
	v_fma_f64 v[58:59], v[8:9], v[20:21], -v[10:11]
	ds_read_b128 v[8:11], v74 offset:4208
	ds_read_b128 v[16:19], v49 offset:1792
	v_mul_f64 v[6:7], v[6:7], v[26:27]
	v_mul_f64 v[2:3], v[2:3], v[30:31]
	v_fma_f64 v[60:61], v[4:5], v[24:25], -v[6:7]
	ds_read_b128 v[4:7], v49 offset:2048
	v_fma_f64 v[64:65], v[0:1], v[28:29], -v[2:3]
	ds_read_b128 v[0:3], v74 offset:4224
	s_waitcnt lgkmcnt(4)
	v_mul_f64 v[20:21], v[12:13], v[52:53]
	v_fmac_f64_e32 v[20:21], v[14:15], v[50:51]
	s_waitcnt lgkmcnt(2)
	v_mul_f64 v[62:63], v[8:9], v[18:19]
	v_add_f64 v[54:55], v[54:55], v[20:21]
	v_fmac_f64_e32 v[62:63], v[10:11], v[16:17]
	s_waitcnt lgkmcnt(0)
	v_mul_f64 v[30:31], v[0:1], v[6:7]
	v_mul_f64 v[20:21], v[38:39], v[34:35]
	v_add_f64 v[28:29], v[54:55], v[62:63]
	v_fmac_f64_e32 v[30:31], v[2:3], v[4:5]
	v_fma_f64 v[66:67], v[36:37], v[32:33], -v[20:21]
	ds_read_b128 v[20:23], v74 offset:4240
	ds_read_b128 v[24:27], v49 offset:2304
	v_add_f64 v[36:37], v[28:29], v[30:31]
	v_mul_f64 v[28:29], v[42:43], v[46:47]
	v_mul_f64 v[14:15], v[14:15], v[52:53]
	v_fma_f64 v[54:55], v[40:41], v[44:45], -v[28:29]
	v_fma_f64 v[50:51], v[12:13], v[50:51], -v[14:15]
	ds_read_b128 v[12:15], v74 offset:4256
	ds_read_b128 v[28:31], v74 offset:4272
	;; [unrolled: 1-line block ×3, first 2 shown]
	v_mul_f64 v[10:11], v[10:11], v[18:19]
	v_fma_f64 v[52:53], v[8:9], v[16:17], -v[10:11]
	ds_read_b128 v[8:11], v49 offset:2816
	v_mul_f64 v[2:3], v[2:3], v[6:7]
	v_fma_f64 v[62:63], v[0:1], v[4:5], -v[2:3]
	ds_read_b128 v[0:3], v49 offset:3072
	ds_read_b128 v[4:7], v74 offset:4288
	v_add_f64 v[56:57], v[56:57], 0
	s_waitcnt lgkmcnt(6)
	v_mul_f64 v[38:39], v[20:21], v[26:27]
	v_add_f64 v[56:57], v[56:57], v[58:59]
	v_fmac_f64_e32 v[38:39], v[22:23], v[24:25]
	s_waitcnt lgkmcnt(3)
	v_mul_f64 v[18:19], v[12:13], v[34:35]
	v_add_f64 v[56:57], v[56:57], v[60:61]
	v_add_f64 v[16:17], v[36:37], v[38:39]
	v_fmac_f64_e32 v[18:19], v[14:15], v[32:33]
	v_add_f64 v[56:57], v[56:57], v[64:65]
	v_add_f64 v[36:37], v[16:17], v[18:19]
	s_waitcnt lgkmcnt(2)
	v_mul_f64 v[38:39], v[28:29], v[10:11]
	v_mul_f64 v[16:17], v[22:23], v[26:27]
	s_load_dwordx2 s[12:13], s[4:5], 0x60
	s_load_dwordx4 s[0:3], s[4:5], 0x50
	v_add_f64 v[56:57], v[56:57], v[66:67]
	v_fmac_f64_e32 v[38:39], v[30:31], v[8:9]
	v_fma_f64 v[68:69], v[20:21], v[24:25], -v[16:17]
	ds_read_b128 v[16:19], v74 offset:4304
	ds_read_b128 v[20:23], v49 offset:3328
	s_waitcnt lgkmcnt(0)
	v_mul_f64 v[26:27], v[4:5], v[2:3]
	v_add_f64 v[54:55], v[56:57], v[54:55]
	v_add_f64 v[24:25], v[36:37], v[38:39]
	v_fmac_f64_e32 v[26:27], v[6:7], v[0:1]
	v_add_f64 v[50:51], v[54:55], v[50:51]
	v_add_f64 v[70:71], v[24:25], v[26:27]
	ds_read_b128 v[24:27], v49 offset:3584
	ds_read_b128 v[36:39], v74 offset:4320
	v_add_f64 v[50:51], v[50:51], v[52:53]
	v_add_f64 v[50:51], v[50:51], v[62:63]
	v_mul_f64 v[14:15], v[14:15], v[34:35]
	ds_read_b128 v[40:43], v74 offset:4336
	ds_read_b128 v[44:47], v49 offset:3840
	s_mul_i32 s4, s7, s13
	s_mul_hi_u32 s5, s7, s12
	v_add_f64 v[50:51], v[50:51], v[68:69]
	v_fma_f64 v[12:13], v[12:13], v[32:33], -v[14:15]
	v_mul_f64 v[10:11], v[30:31], v[10:11]
	v_mul_f64 v[72:73], v[16:17], v[22:23]
	s_add_i32 s5, s5, s4
	s_mul_i32 s4, s7, s12
	v_add_f64 v[12:13], v[50:51], v[12:13]
	v_fma_f64 v[8:9], v[28:29], v[8:9], -v[10:11]
	v_mul_f64 v[2:3], v[6:7], v[2:3]
	v_fmac_f64_e32 v[72:73], v[18:19], v[20:21]
	s_lshl_b64 s[4:5], s[4:5], 4
	v_add_f64 v[8:9], v[12:13], v[8:9]
	v_fma_f64 v[0:1], v[4:5], v[0:1], -v[2:3]
	v_mul_f64 v[2:3], v[18:19], v[22:23]
	v_add_f64 v[70:71], v[70:71], v[72:73]
	s_waitcnt lgkmcnt(2)
	v_mul_f64 v[72:73], v[36:37], v[26:27]
	s_add_u32 s4, s0, s4
	v_add_f64 v[0:1], v[8:9], v[0:1]
	v_fma_f64 v[2:3], v[16:17], v[20:21], -v[2:3]
	v_fmac_f64_e32 v[72:73], v[38:39], v[24:25]
	s_addc_u32 s5, s1, s5
	s_mul_i32 s0, s6, s3
	s_mul_hi_u32 s1, s6, s2
	v_add_f64 v[0:1], v[0:1], v[2:3]
	v_mul_f64 v[2:3], v[38:39], v[26:27]
	v_add_f64 v[70:71], v[70:71], v[72:73]
	s_waitcnt lgkmcnt(0)
	v_mul_f64 v[72:73], v[40:41], v[46:47]
	s_add_i32 s0, s1, s0
	s_mul_i32 s14, s14, s2
	v_fma_f64 v[2:3], v[36:37], v[24:25], -v[2:3]
	v_fmac_f64_e32 v[72:73], v[42:43], v[44:45]
	s_add_i32 s1, s0, s14
	s_mul_i32 s0, s6, s2
	v_add_f64 v[0:1], v[0:1], v[2:3]
	v_mul_f64 v[2:3], v[42:43], v[46:47]
	v_add_f64 v[70:71], v[70:71], v[72:73]
	s_lshl_b64 s[0:1], s[0:1], 4
	v_fma_f64 v[2:3], v[40:41], v[44:45], -v[2:3]
	s_add_u32 s4, s4, s0
	v_add_f64 v[0:1], v[0:1], v[2:3]
	v_mul_f64 v[2:3], s[8:9], v[70:71]
	v_mul_f64 v[4:5], s[10:11], v[70:71]
	s_addc_u32 s5, s5, s1
	v_fmac_f64_e32 v[2:3], s[10:11], v[0:1]
	v_fma_f64 v[0:1], s[8:9], v[0:1], -v[4:5]
	v_mad_u64_u32 v[4:5], s[0:1], v48, s2, 0
	v_mov_b32_e32 v6, v5
	v_mad_u64_u32 v[6:7], s[0:1], v48, s3, v[6:7]
	v_mov_b32_e32 v5, v6
	v_lshlrev_b64 v[4:5], 4, v[4:5]
	v_mov_b32_e32 v6, s5
	v_add_co_u32_e32 v4, vcc, s4, v4
	v_addc_co_u32_e32 v5, vcc, v6, v5, vcc
	v_add_co_u32_e32 v4, vcc, v4, v49
	v_addc_co_u32_e32 v5, vcc, 0, v5, vcc
	global_store_dwordx4 v[4:5], v[0:3], off
.LBB134_15:
	s_endpgm
	.section	.rodata,"a",@progbits
	.p2align	6, 0x0
	.amdhsa_kernel _ZL23rocblas_trmm_lTx_kernelILi16ELb0E19rocblas_complex_numIdEPKS1_S2_S1_Ev13rocblas_fill_17rocblas_diagonal_iiT2_lPT3_llS8_llPT4_lli
		.amdhsa_group_segment_fixed_size 8192
		.amdhsa_private_segment_fixed_size 0
		.amdhsa_kernarg_size 108
		.amdhsa_user_sgpr_count 6
		.amdhsa_user_sgpr_private_segment_buffer 1
		.amdhsa_user_sgpr_dispatch_ptr 0
		.amdhsa_user_sgpr_queue_ptr 0
		.amdhsa_user_sgpr_kernarg_segment_ptr 1
		.amdhsa_user_sgpr_dispatch_id 0
		.amdhsa_user_sgpr_flat_scratch_init 0
		.amdhsa_user_sgpr_kernarg_preload_length 0
		.amdhsa_user_sgpr_kernarg_preload_offset 0
		.amdhsa_user_sgpr_private_segment_size 0
		.amdhsa_uses_dynamic_stack 0
		.amdhsa_system_sgpr_private_segment_wavefront_offset 0
		.amdhsa_system_sgpr_workgroup_id_x 1
		.amdhsa_system_sgpr_workgroup_id_y 0
		.amdhsa_system_sgpr_workgroup_id_z 1
		.amdhsa_system_sgpr_workgroup_info 0
		.amdhsa_system_vgpr_workitem_id 1
		.amdhsa_next_free_vgpr 75
		.amdhsa_next_free_sgpr 28
		.amdhsa_accum_offset 76
		.amdhsa_reserve_vcc 1
		.amdhsa_reserve_flat_scratch 0
		.amdhsa_float_round_mode_32 0
		.amdhsa_float_round_mode_16_64 0
		.amdhsa_float_denorm_mode_32 3
		.amdhsa_float_denorm_mode_16_64 3
		.amdhsa_dx10_clamp 1
		.amdhsa_ieee_mode 1
		.amdhsa_fp16_overflow 0
		.amdhsa_tg_split 0
		.amdhsa_exception_fp_ieee_invalid_op 0
		.amdhsa_exception_fp_denorm_src 0
		.amdhsa_exception_fp_ieee_div_zero 0
		.amdhsa_exception_fp_ieee_overflow 0
		.amdhsa_exception_fp_ieee_underflow 0
		.amdhsa_exception_fp_ieee_inexact 0
		.amdhsa_exception_int_div_zero 0
	.end_amdhsa_kernel
	.section	.text._ZL23rocblas_trmm_lTx_kernelILi16ELb0E19rocblas_complex_numIdEPKS1_S2_S1_Ev13rocblas_fill_17rocblas_diagonal_iiT2_lPT3_llS8_llPT4_lli,"axG",@progbits,_ZL23rocblas_trmm_lTx_kernelILi16ELb0E19rocblas_complex_numIdEPKS1_S2_S1_Ev13rocblas_fill_17rocblas_diagonal_iiT2_lPT3_llS8_llPT4_lli,comdat
.Lfunc_end134:
	.size	_ZL23rocblas_trmm_lTx_kernelILi16ELb0E19rocblas_complex_numIdEPKS1_S2_S1_Ev13rocblas_fill_17rocblas_diagonal_iiT2_lPT3_llS8_llPT4_lli, .Lfunc_end134-_ZL23rocblas_trmm_lTx_kernelILi16ELb0E19rocblas_complex_numIdEPKS1_S2_S1_Ev13rocblas_fill_17rocblas_diagonal_iiT2_lPT3_llS8_llPT4_lli
                                        ; -- End function
	.section	.AMDGPU.csdata,"",@progbits
; Kernel info:
; codeLenInByte = 1900
; NumSgprs: 32
; NumVgprs: 75
; NumAgprs: 0
; TotalNumVgprs: 75
; ScratchSize: 0
; MemoryBound: 0
; FloatMode: 240
; IeeeMode: 1
; LDSByteSize: 8192 bytes/workgroup (compile time only)
; SGPRBlocks: 3
; VGPRBlocks: 9
; NumSGPRsForWavesPerEU: 32
; NumVGPRsForWavesPerEU: 75
; AccumOffset: 76
; Occupancy: 6
; WaveLimiterHint : 0
; COMPUTE_PGM_RSRC2:SCRATCH_EN: 0
; COMPUTE_PGM_RSRC2:USER_SGPR: 6
; COMPUTE_PGM_RSRC2:TRAP_HANDLER: 0
; COMPUTE_PGM_RSRC2:TGID_X_EN: 1
; COMPUTE_PGM_RSRC2:TGID_Y_EN: 0
; COMPUTE_PGM_RSRC2:TGID_Z_EN: 1
; COMPUTE_PGM_RSRC2:TIDIG_COMP_CNT: 1
; COMPUTE_PGM_RSRC3_GFX90A:ACCUM_OFFSET: 18
; COMPUTE_PGM_RSRC3_GFX90A:TG_SPLIT: 0
	.section	.text._ZL23rocblas_trmm_lTx_kernelILi16ELb0E19rocblas_complex_numIdES1_KS1_S1_Ev13rocblas_fill_17rocblas_diagonal_iiT2_lPT3_llS7_llPT4_lli,"axG",@progbits,_ZL23rocblas_trmm_lTx_kernelILi16ELb0E19rocblas_complex_numIdES1_KS1_S1_Ev13rocblas_fill_17rocblas_diagonal_iiT2_lPT3_llS7_llPT4_lli,comdat
	.globl	_ZL23rocblas_trmm_lTx_kernelILi16ELb0E19rocblas_complex_numIdES1_KS1_S1_Ev13rocblas_fill_17rocblas_diagonal_iiT2_lPT3_llS7_llPT4_lli ; -- Begin function _ZL23rocblas_trmm_lTx_kernelILi16ELb0E19rocblas_complex_numIdES1_KS1_S1_Ev13rocblas_fill_17rocblas_diagonal_iiT2_lPT3_llS7_llPT4_lli
	.p2align	8
	.type	_ZL23rocblas_trmm_lTx_kernelILi16ELb0E19rocblas_complex_numIdES1_KS1_S1_Ev13rocblas_fill_17rocblas_diagonal_iiT2_lPT3_llS7_llPT4_lli,@function
_ZL23rocblas_trmm_lTx_kernelILi16ELb0E19rocblas_complex_numIdES1_KS1_S1_Ev13rocblas_fill_17rocblas_diagonal_iiT2_lPT3_llS7_llPT4_lli: ; @_ZL23rocblas_trmm_lTx_kernelILi16ELb0E19rocblas_complex_numIdES1_KS1_S1_Ev13rocblas_fill_17rocblas_diagonal_iiT2_lPT3_llS7_llPT4_lli
; %bb.0:
	s_load_dwordx4 s[24:27], s[4:5], 0x10
	s_waitcnt lgkmcnt(0)
	v_cmp_neq_f64_e64 s[0:1], s[24:25], 0
	v_cmp_neq_f64_e64 s[2:3], s[26:27], 0
	s_or_b64 s[0:1], s[0:1], s[2:3]
	s_andn2_b64 vcc, exec, s[0:1]
	s_cbranch_vccnz .LBB135_15
; %bb.1:
	s_load_dwordx4 s[28:31], s[4:5], 0x0
	s_load_dwordx16 s[8:23], s[4:5], 0x28
	s_mov_b32 s0, 0
	s_mov_b32 s2, s0
	;; [unrolled: 1-line block ×3, first 2 shown]
	v_and_b32_e32 v2, 0x3ff, v0
	v_bfe_u32 v48, v0, 10, 10
	s_mov_b32 s1, s0
	v_pk_mov_b32 v[6:7], s[2:3], s[2:3] op_sel:[0,1]
	v_lshlrev_b32_e32 v0, 4, v48
	v_pk_mov_b32 v[4:5], s[0:1], s[0:1] op_sel:[0,1]
	s_waitcnt lgkmcnt(0)
	v_cmp_gt_i32_e64 s[0:1], s30, v48
	v_cmp_gt_i32_e32 vcc, s30, v2
	v_add_lshl_u32 v1, v0, v2, 4
	s_and_b64 s[0:1], s[0:1], vcc
	v_lshlrev_b32_e32 v49, 4, v2
	ds_write_b128 v1, v[4:7]
	ds_write_b128 v1, v[4:7] offset:4096
	s_waitcnt lgkmcnt(0)
	s_barrier
	s_and_saveexec_b64 s[2:3], s[0:1]
	s_cbranch_execz .LBB135_3
; %bb.2:
	s_mul_i32 s0, s7, s13
	s_mul_hi_u32 s1, s7, s12
	s_add_i32 s1, s1, s0
	s_mul_i32 s0, s7, s12
	s_lshl_b64 s[0:1], s[0:1], 4
	s_add_u32 s8, s8, s0
	s_addc_u32 s9, s9, s1
	v_mad_u64_u32 v[4:5], s[0:1], v48, s10, 0
	v_mov_b32_e32 v6, v5
	v_mad_u64_u32 v[6:7], s[0:1], v48, s11, v[6:7]
	v_mov_b32_e32 v5, v6
	v_lshlrev_b64 v[4:5], 4, v[4:5]
	v_mov_b32_e32 v3, s9
	v_add_co_u32_e64 v4, s[0:1], s8, v4
	v_addc_co_u32_e64 v3, s[0:1], v3, v5, s[0:1]
	v_add_co_u32_e64 v4, s[0:1], v4, v49
	v_addc_co_u32_e64 v5, s[0:1], 0, v3, s[0:1]
	global_load_dwordx4 v[4:7], v[4:5], off
	v_add_lshl_u32 v3, v49, v48, 4
	s_waitcnt vmcnt(0)
	ds_write2_b64 v3, v[4:5], v[6:7] offset1:1
.LBB135_3:
	s_or_b64 exec, exec, s[2:3]
	s_add_i32 s0, s31, -1
	s_ashr_i32 s1, s0, 31
	s_lshr_b32 s1, s1, 28
	s_add_i32 s0, s0, s1
	s_ashr_i32 s1, s0, 4
	s_and_b32 s0, s0, -16
	s_sub_i32 s0, s31, s0
	s_cmp_ge_i32 s6, s1
	s_cselect_b32 s0, s0, 16
	s_lshl_b32 s6, s6, 4
	v_cmp_gt_i32_e64 s[0:1], s0, v48
	s_ashr_i32 s10, s6, 31
	s_and_b64 s[0:1], vcc, s[0:1]
	s_and_saveexec_b64 s[2:3], s[0:1]
	s_cbranch_execz .LBB135_5
; %bb.4:
	s_mul_i32 s8, s7, s19
	s_mul_hi_u32 s9, s7, s18
	s_add_i32 s9, s9, s8
	s_mul_i32 s8, s7, s18
	s_lshl_b64 s[8:9], s[8:9], 4
	s_add_u32 s11, s14, s8
	s_addc_u32 s12, s15, s9
	s_mul_i32 s8, s6, s17
	s_mul_hi_u32 s9, s6, s16
	s_add_i32 s8, s9, s8
	s_mul_i32 s9, s10, s16
	s_add_i32 s9, s8, s9
	s_mul_i32 s8, s6, s16
	s_lshl_b64 s[8:9], s[8:9], 4
	s_add_u32 s11, s11, s8
	s_addc_u32 s12, s12, s9
	v_mad_u64_u32 v[4:5], s[8:9], v48, s16, 0
	v_mov_b32_e32 v6, v5
	v_mad_u64_u32 v[6:7], s[8:9], v48, s17, v[6:7]
	v_mov_b32_e32 v5, v6
	v_lshlrev_b64 v[4:5], 4, v[4:5]
	v_mov_b32_e32 v3, s12
	v_add_co_u32_e32 v4, vcc, s11, v4
	v_addc_co_u32_e32 v3, vcc, v3, v5, vcc
	v_add_co_u32_e32 v4, vcc, v4, v49
	v_addc_co_u32_e32 v5, vcc, 0, v3, vcc
	global_load_dwordx4 v[4:7], v[4:5], off
	v_add_u32_e32 v3, 0x1000, v1
	s_waitcnt vmcnt(0)
	ds_write2_b64 v3, v[4:5], v[6:7] offset1:1
.LBB135_5:
	s_or_b64 exec, exec, s[2:3]
	s_cmpk_eq_i32 s29, 0x84
	s_cselect_b64 s[2:3], -1, 0
	v_cmp_eq_u32_e32 vcc, v48, v2
	s_and_b64 s[8:9], vcc, s[2:3]
	s_and_saveexec_b64 s[2:3], s[8:9]
	s_cbranch_execz .LBB135_7
; %bb.6:
	v_mov_b32_e32 v4, 0
	v_mov_b32_e32 v5, 0x3ff00000
	;; [unrolled: 1-line block ×4, first 2 shown]
	ds_write_b128 v1, v[4:7]
.LBB135_7:
	s_or_b64 exec, exec, s[2:3]
	s_cmpk_lg_i32 s28, 0x7a
	s_waitcnt lgkmcnt(0)
	s_barrier
	s_cbranch_scc0 .LBB135_9
; %bb.8:
	v_cmp_lt_u32_e32 vcc, v2, v48
	s_and_b64 s[2:3], vcc, exec
	s_cbranch_execz .LBB135_10
	s_branch .LBB135_11
.LBB135_9:
	s_mov_b64 s[2:3], 0
.LBB135_10:
	v_cmp_gt_u32_e32 vcc, v2, v48
	s_andn2_b64 s[2:3], s[2:3], exec
	s_and_b64 s[8:9], vcc, exec
	s_or_b64 s[2:3], s[2:3], s[8:9]
.LBB135_11:
	s_and_saveexec_b64 s[8:9], s[2:3]
	s_cbranch_execz .LBB135_13
; %bb.12:
	v_mov_b32_e32 v2, 0
	v_mov_b32_e32 v3, v2
	;; [unrolled: 1-line block ×4, first 2 shown]
	ds_write_b128 v1, v[2:5]
.LBB135_13:
	s_or_b64 exec, exec, s[8:9]
	s_waitcnt lgkmcnt(0)
	s_barrier
	s_and_saveexec_b64 s[2:3], s[0:1]
	s_cbranch_execz .LBB135_15
; %bb.14:
	v_lshlrev_b32_e32 v74, 4, v0
	ds_read_b128 v[12:15], v49
	ds_read_b128 v[16:19], v74 offset:4096
	ds_read_b128 v[8:11], v74 offset:4112
	;; [unrolled: 1-line block ×5, first 2 shown]
	s_waitcnt lgkmcnt(4)
	v_mul_f64 v[24:25], v[16:17], v[14:15]
	v_fmac_f64_e32 v[24:25], v[18:19], v[12:13]
	v_add_f64 v[32:33], v[24:25], 0
	ds_read_b128 v[24:27], v49 offset:512
	ds_read_b128 v[28:31], v49 offset:768
	s_waitcnt lgkmcnt(2)
	v_mul_f64 v[34:35], v[8:9], v[22:23]
	v_fmac_f64_e32 v[34:35], v[10:11], v[20:21]
	v_add_f64 v[32:33], v[32:33], v[34:35]
	s_waitcnt lgkmcnt(1)
	v_mul_f64 v[34:35], v[4:5], v[26:27]
	v_fmac_f64_e32 v[34:35], v[6:7], v[24:25]
	v_add_f64 v[50:51], v[32:33], v[34:35]
	ds_read_b128 v[32:35], v49 offset:1024
	ds_read_b128 v[36:39], v74 offset:4160
	;; [unrolled: 1-line block ×4, first 2 shown]
	s_waitcnt lgkmcnt(4)
	v_mul_f64 v[52:53], v[0:1], v[30:31]
	v_fmac_f64_e32 v[52:53], v[2:3], v[28:29]
	v_add_f64 v[50:51], v[50:51], v[52:53]
	s_waitcnt lgkmcnt(2)
	v_mul_f64 v[52:53], v[36:37], v[34:35]
	v_fmac_f64_e32 v[52:53], v[38:39], v[32:33]
	v_add_f64 v[50:51], v[50:51], v[52:53]
	s_waitcnt lgkmcnt(0)
	v_mul_f64 v[52:53], v[40:41], v[46:47]
	v_fmac_f64_e32 v[52:53], v[42:43], v[44:45]
	v_mul_f64 v[14:15], v[18:19], v[14:15]
	v_add_f64 v[54:55], v[50:51], v[52:53]
	ds_read_b128 v[50:53], v49 offset:1536
	v_fma_f64 v[56:57], v[16:17], v[12:13], -v[14:15]
	ds_read_b128 v[12:15], v74 offset:4192
	v_mul_f64 v[10:11], v[10:11], v[22:23]
	v_fma_f64 v[58:59], v[8:9], v[20:21], -v[10:11]
	ds_read_b128 v[8:11], v74 offset:4208
	ds_read_b128 v[16:19], v49 offset:1792
	v_mul_f64 v[6:7], v[6:7], v[26:27]
	v_mul_f64 v[2:3], v[2:3], v[30:31]
	v_fma_f64 v[60:61], v[4:5], v[24:25], -v[6:7]
	ds_read_b128 v[4:7], v49 offset:2048
	v_fma_f64 v[64:65], v[0:1], v[28:29], -v[2:3]
	ds_read_b128 v[0:3], v74 offset:4224
	s_waitcnt lgkmcnt(4)
	v_mul_f64 v[20:21], v[12:13], v[52:53]
	v_fmac_f64_e32 v[20:21], v[14:15], v[50:51]
	s_waitcnt lgkmcnt(2)
	v_mul_f64 v[62:63], v[8:9], v[18:19]
	v_add_f64 v[54:55], v[54:55], v[20:21]
	v_fmac_f64_e32 v[62:63], v[10:11], v[16:17]
	s_waitcnt lgkmcnt(0)
	v_mul_f64 v[30:31], v[0:1], v[6:7]
	v_mul_f64 v[20:21], v[38:39], v[34:35]
	v_add_f64 v[28:29], v[54:55], v[62:63]
	v_fmac_f64_e32 v[30:31], v[2:3], v[4:5]
	v_fma_f64 v[66:67], v[36:37], v[32:33], -v[20:21]
	ds_read_b128 v[20:23], v74 offset:4240
	ds_read_b128 v[24:27], v49 offset:2304
	v_add_f64 v[36:37], v[28:29], v[30:31]
	v_mul_f64 v[28:29], v[42:43], v[46:47]
	v_mul_f64 v[14:15], v[14:15], v[52:53]
	v_fma_f64 v[54:55], v[40:41], v[44:45], -v[28:29]
	v_fma_f64 v[50:51], v[12:13], v[50:51], -v[14:15]
	ds_read_b128 v[12:15], v74 offset:4256
	ds_read_b128 v[28:31], v74 offset:4272
	ds_read_b128 v[32:35], v49 offset:2560
	v_mul_f64 v[10:11], v[10:11], v[18:19]
	v_fma_f64 v[52:53], v[8:9], v[16:17], -v[10:11]
	ds_read_b128 v[8:11], v49 offset:2816
	v_mul_f64 v[2:3], v[2:3], v[6:7]
	v_fma_f64 v[62:63], v[0:1], v[4:5], -v[2:3]
	ds_read_b128 v[0:3], v49 offset:3072
	ds_read_b128 v[4:7], v74 offset:4288
	v_add_f64 v[56:57], v[56:57], 0
	s_waitcnt lgkmcnt(6)
	v_mul_f64 v[38:39], v[20:21], v[26:27]
	v_add_f64 v[56:57], v[56:57], v[58:59]
	v_fmac_f64_e32 v[38:39], v[22:23], v[24:25]
	s_waitcnt lgkmcnt(3)
	v_mul_f64 v[18:19], v[12:13], v[34:35]
	v_add_f64 v[56:57], v[56:57], v[60:61]
	v_add_f64 v[16:17], v[36:37], v[38:39]
	v_fmac_f64_e32 v[18:19], v[14:15], v[32:33]
	v_add_f64 v[56:57], v[56:57], v[64:65]
	v_add_f64 v[36:37], v[16:17], v[18:19]
	s_waitcnt lgkmcnt(2)
	v_mul_f64 v[38:39], v[28:29], v[10:11]
	v_mul_f64 v[16:17], v[22:23], v[26:27]
	s_load_dwordx2 s[0:1], s[4:5], 0x68
	v_add_f64 v[56:57], v[56:57], v[66:67]
	v_fmac_f64_e32 v[38:39], v[30:31], v[8:9]
	v_fma_f64 v[68:69], v[20:21], v[24:25], -v[16:17]
	ds_read_b128 v[16:19], v74 offset:4304
	ds_read_b128 v[20:23], v49 offset:3328
	s_waitcnt lgkmcnt(0)
	v_mul_f64 v[26:27], v[4:5], v[2:3]
	v_add_f64 v[54:55], v[56:57], v[54:55]
	v_add_f64 v[24:25], v[36:37], v[38:39]
	v_fmac_f64_e32 v[26:27], v[6:7], v[0:1]
	v_add_f64 v[50:51], v[54:55], v[50:51]
	v_add_f64 v[70:71], v[24:25], v[26:27]
	ds_read_b128 v[24:27], v49 offset:3584
	ds_read_b128 v[36:39], v74 offset:4320
	v_add_f64 v[50:51], v[50:51], v[52:53]
	v_add_f64 v[50:51], v[50:51], v[62:63]
	v_mul_f64 v[14:15], v[14:15], v[34:35]
	ds_read_b128 v[40:43], v74 offset:4336
	ds_read_b128 v[44:47], v49 offset:3840
	s_mul_i32 s1, s7, s1
	s_mul_hi_u32 s2, s7, s0
	v_add_f64 v[50:51], v[50:51], v[68:69]
	v_fma_f64 v[12:13], v[12:13], v[32:33], -v[14:15]
	v_mul_f64 v[10:11], v[30:31], v[10:11]
	v_mul_f64 v[72:73], v[16:17], v[22:23]
	s_add_i32 s1, s2, s1
	s_mul_i32 s0, s7, s0
	v_add_f64 v[12:13], v[50:51], v[12:13]
	v_fma_f64 v[8:9], v[28:29], v[8:9], -v[10:11]
	v_mul_f64 v[2:3], v[6:7], v[2:3]
	v_fmac_f64_e32 v[72:73], v[18:19], v[20:21]
	s_lshl_b64 s[0:1], s[0:1], 4
	v_add_f64 v[8:9], v[12:13], v[8:9]
	v_fma_f64 v[0:1], v[4:5], v[0:1], -v[2:3]
	v_mul_f64 v[2:3], v[18:19], v[22:23]
	v_add_f64 v[70:71], v[70:71], v[72:73]
	s_waitcnt lgkmcnt(2)
	v_mul_f64 v[72:73], v[36:37], v[26:27]
	s_add_u32 s2, s20, s0
	v_add_f64 v[0:1], v[8:9], v[0:1]
	v_fma_f64 v[2:3], v[16:17], v[20:21], -v[2:3]
	v_fmac_f64_e32 v[72:73], v[38:39], v[24:25]
	s_addc_u32 s3, s21, s1
	s_mul_i32 s0, s6, s23
	s_mul_hi_u32 s1, s6, s22
	v_add_f64 v[0:1], v[0:1], v[2:3]
	v_mul_f64 v[2:3], v[38:39], v[26:27]
	v_add_f64 v[70:71], v[70:71], v[72:73]
	s_waitcnt lgkmcnt(0)
	v_mul_f64 v[72:73], v[40:41], v[46:47]
	s_add_i32 s0, s1, s0
	s_mul_i32 s10, s10, s22
	v_fma_f64 v[2:3], v[36:37], v[24:25], -v[2:3]
	v_fmac_f64_e32 v[72:73], v[42:43], v[44:45]
	s_add_i32 s1, s0, s10
	s_mul_i32 s0, s6, s22
	v_add_f64 v[0:1], v[0:1], v[2:3]
	v_mul_f64 v[2:3], v[42:43], v[46:47]
	v_add_f64 v[70:71], v[70:71], v[72:73]
	s_lshl_b64 s[0:1], s[0:1], 4
	v_fma_f64 v[2:3], v[40:41], v[44:45], -v[2:3]
	s_add_u32 s2, s2, s0
	v_add_f64 v[0:1], v[0:1], v[2:3]
	v_mul_f64 v[2:3], s[24:25], v[70:71]
	v_mul_f64 v[4:5], s[26:27], v[70:71]
	s_addc_u32 s3, s3, s1
	v_fmac_f64_e32 v[2:3], s[26:27], v[0:1]
	v_fma_f64 v[0:1], s[24:25], v[0:1], -v[4:5]
	v_mad_u64_u32 v[4:5], s[0:1], v48, s22, 0
	v_mov_b32_e32 v6, v5
	v_mad_u64_u32 v[6:7], s[0:1], v48, s23, v[6:7]
	v_mov_b32_e32 v5, v6
	v_lshlrev_b64 v[4:5], 4, v[4:5]
	v_mov_b32_e32 v6, s3
	v_add_co_u32_e32 v4, vcc, s2, v4
	v_addc_co_u32_e32 v5, vcc, v6, v5, vcc
	v_add_co_u32_e32 v4, vcc, v4, v49
	v_addc_co_u32_e32 v5, vcc, 0, v5, vcc
	global_store_dwordx4 v[4:5], v[0:3], off
.LBB135_15:
	s_endpgm
	.section	.rodata,"a",@progbits
	.p2align	6, 0x0
	.amdhsa_kernel _ZL23rocblas_trmm_lTx_kernelILi16ELb0E19rocblas_complex_numIdES1_KS1_S1_Ev13rocblas_fill_17rocblas_diagonal_iiT2_lPT3_llS7_llPT4_lli
		.amdhsa_group_segment_fixed_size 8192
		.amdhsa_private_segment_fixed_size 0
		.amdhsa_kernarg_size 116
		.amdhsa_user_sgpr_count 6
		.amdhsa_user_sgpr_private_segment_buffer 1
		.amdhsa_user_sgpr_dispatch_ptr 0
		.amdhsa_user_sgpr_queue_ptr 0
		.amdhsa_user_sgpr_kernarg_segment_ptr 1
		.amdhsa_user_sgpr_dispatch_id 0
		.amdhsa_user_sgpr_flat_scratch_init 0
		.amdhsa_user_sgpr_kernarg_preload_length 0
		.amdhsa_user_sgpr_kernarg_preload_offset 0
		.amdhsa_user_sgpr_private_segment_size 0
		.amdhsa_uses_dynamic_stack 0
		.amdhsa_system_sgpr_private_segment_wavefront_offset 0
		.amdhsa_system_sgpr_workgroup_id_x 1
		.amdhsa_system_sgpr_workgroup_id_y 0
		.amdhsa_system_sgpr_workgroup_id_z 1
		.amdhsa_system_sgpr_workgroup_info 0
		.amdhsa_system_vgpr_workitem_id 1
		.amdhsa_next_free_vgpr 75
		.amdhsa_next_free_sgpr 32
		.amdhsa_accum_offset 76
		.amdhsa_reserve_vcc 1
		.amdhsa_reserve_flat_scratch 0
		.amdhsa_float_round_mode_32 0
		.amdhsa_float_round_mode_16_64 0
		.amdhsa_float_denorm_mode_32 3
		.amdhsa_float_denorm_mode_16_64 3
		.amdhsa_dx10_clamp 1
		.amdhsa_ieee_mode 1
		.amdhsa_fp16_overflow 0
		.amdhsa_tg_split 0
		.amdhsa_exception_fp_ieee_invalid_op 0
		.amdhsa_exception_fp_denorm_src 0
		.amdhsa_exception_fp_ieee_div_zero 0
		.amdhsa_exception_fp_ieee_overflow 0
		.amdhsa_exception_fp_ieee_underflow 0
		.amdhsa_exception_fp_ieee_inexact 0
		.amdhsa_exception_int_div_zero 0
	.end_amdhsa_kernel
	.section	.text._ZL23rocblas_trmm_lTx_kernelILi16ELb0E19rocblas_complex_numIdES1_KS1_S1_Ev13rocblas_fill_17rocblas_diagonal_iiT2_lPT3_llS7_llPT4_lli,"axG",@progbits,_ZL23rocblas_trmm_lTx_kernelILi16ELb0E19rocblas_complex_numIdES1_KS1_S1_Ev13rocblas_fill_17rocblas_diagonal_iiT2_lPT3_llS7_llPT4_lli,comdat
.Lfunc_end135:
	.size	_ZL23rocblas_trmm_lTx_kernelILi16ELb0E19rocblas_complex_numIdES1_KS1_S1_Ev13rocblas_fill_17rocblas_diagonal_iiT2_lPT3_llS7_llPT4_lli, .Lfunc_end135-_ZL23rocblas_trmm_lTx_kernelILi16ELb0E19rocblas_complex_numIdES1_KS1_S1_Ev13rocblas_fill_17rocblas_diagonal_iiT2_lPT3_llS7_llPT4_lli
                                        ; -- End function
	.section	.AMDGPU.csdata,"",@progbits
; Kernel info:
; codeLenInByte = 1860
; NumSgprs: 36
; NumVgprs: 75
; NumAgprs: 0
; TotalNumVgprs: 75
; ScratchSize: 0
; MemoryBound: 0
; FloatMode: 240
; IeeeMode: 1
; LDSByteSize: 8192 bytes/workgroup (compile time only)
; SGPRBlocks: 4
; VGPRBlocks: 9
; NumSGPRsForWavesPerEU: 36
; NumVGPRsForWavesPerEU: 75
; AccumOffset: 76
; Occupancy: 6
; WaveLimiterHint : 0
; COMPUTE_PGM_RSRC2:SCRATCH_EN: 0
; COMPUTE_PGM_RSRC2:USER_SGPR: 6
; COMPUTE_PGM_RSRC2:TRAP_HANDLER: 0
; COMPUTE_PGM_RSRC2:TGID_X_EN: 1
; COMPUTE_PGM_RSRC2:TGID_Y_EN: 0
; COMPUTE_PGM_RSRC2:TGID_Z_EN: 1
; COMPUTE_PGM_RSRC2:TIDIG_COMP_CNT: 1
; COMPUTE_PGM_RSRC3_GFX90A:ACCUM_OFFSET: 18
; COMPUTE_PGM_RSRC3_GFX90A:TG_SPLIT: 0
	.section	.text._ZL23rocblas_trmm_lTx_kernelILi16ELb1E19rocblas_complex_numIdEPKS1_S2_S1_Ev13rocblas_fill_17rocblas_diagonal_iiT2_lPT3_llS8_llPT4_lli,"axG",@progbits,_ZL23rocblas_trmm_lTx_kernelILi16ELb1E19rocblas_complex_numIdEPKS1_S2_S1_Ev13rocblas_fill_17rocblas_diagonal_iiT2_lPT3_llS8_llPT4_lli,comdat
	.globl	_ZL23rocblas_trmm_lTx_kernelILi16ELb1E19rocblas_complex_numIdEPKS1_S2_S1_Ev13rocblas_fill_17rocblas_diagonal_iiT2_lPT3_llS8_llPT4_lli ; -- Begin function _ZL23rocblas_trmm_lTx_kernelILi16ELb1E19rocblas_complex_numIdEPKS1_S2_S1_Ev13rocblas_fill_17rocblas_diagonal_iiT2_lPT3_llS8_llPT4_lli
	.p2align	8
	.type	_ZL23rocblas_trmm_lTx_kernelILi16ELb1E19rocblas_complex_numIdEPKS1_S2_S1_Ev13rocblas_fill_17rocblas_diagonal_iiT2_lPT3_llS8_llPT4_lli,@function
_ZL23rocblas_trmm_lTx_kernelILi16ELb1E19rocblas_complex_numIdEPKS1_S2_S1_Ev13rocblas_fill_17rocblas_diagonal_iiT2_lPT3_llS8_llPT4_lli: ; @_ZL23rocblas_trmm_lTx_kernelILi16ELb1E19rocblas_complex_numIdEPKS1_S2_S1_Ev13rocblas_fill_17rocblas_diagonal_iiT2_lPT3_llS8_llPT4_lli
; %bb.0:
	s_load_dwordx16 s[8:23], s[4:5], 0x10
	s_waitcnt lgkmcnt(0)
	s_mul_i32 s0, s7, s11
	s_mul_hi_u32 s1, s7, s10
	s_add_i32 s1, s1, s0
	s_mul_i32 s0, s7, s10
	s_lshl_b64 s[0:1], s[0:1], 4
	s_add_u32 s0, s8, s0
	s_addc_u32 s1, s9, s1
	s_load_dwordx4 s[8:11], s[0:1], 0x0
	s_waitcnt lgkmcnt(0)
	v_cmp_neq_f64_e64 s[0:1], s[8:9], 0
	v_cmp_neq_f64_e64 s[2:3], s[10:11], 0
	s_or_b64 s[0:1], s[0:1], s[2:3]
	s_andn2_b64 vcc, exec, s[0:1]
	s_cbranch_vccnz .LBB136_15
; %bb.1:
	s_load_dwordx4 s[24:27], s[4:5], 0x0
	s_mov_b32 s0, 0
	s_mov_b32 s2, s0
	;; [unrolled: 1-line block ×3, first 2 shown]
	v_and_b32_e32 v2, 0x3ff, v0
	v_bfe_u32 v48, v0, 10, 10
	s_mov_b32 s1, s0
	v_pk_mov_b32 v[6:7], s[2:3], s[2:3] op_sel:[0,1]
	v_lshlrev_b32_e32 v0, 4, v48
	v_pk_mov_b32 v[4:5], s[0:1], s[0:1] op_sel:[0,1]
	s_waitcnt lgkmcnt(0)
	v_cmp_gt_i32_e64 s[0:1], s26, v48
	v_cmp_gt_i32_e32 vcc, s26, v2
	v_add_lshl_u32 v1, v0, v2, 4
	s_and_b64 s[0:1], s[0:1], vcc
	v_lshlrev_b32_e32 v49, 4, v2
	ds_write_b128 v1, v[4:7]
	ds_write_b128 v1, v[4:7] offset:4096
	s_waitcnt lgkmcnt(0)
	s_barrier
	s_and_saveexec_b64 s[2:3], s[0:1]
	s_cbranch_execz .LBB136_3
; %bb.2:
	s_mul_i32 s0, s7, s17
	s_mul_hi_u32 s1, s7, s16
	s_add_i32 s1, s1, s0
	s_mul_i32 s0, s7, s16
	s_lshl_b64 s[0:1], s[0:1], 4
	s_add_u32 s12, s12, s0
	s_addc_u32 s13, s13, s1
	v_mad_u64_u32 v[4:5], s[0:1], v48, s14, 0
	v_mov_b32_e32 v6, v5
	v_mad_u64_u32 v[6:7], s[0:1], v48, s15, v[6:7]
	v_mov_b32_e32 v5, v6
	v_lshlrev_b64 v[4:5], 4, v[4:5]
	v_mov_b32_e32 v3, s13
	v_add_co_u32_e64 v4, s[0:1], s12, v4
	v_addc_co_u32_e64 v3, s[0:1], v3, v5, s[0:1]
	v_add_co_u32_e64 v4, s[0:1], v4, v49
	v_addc_co_u32_e64 v5, s[0:1], 0, v3, s[0:1]
	global_load_dwordx4 v[4:7], v[4:5], off
	v_add_lshl_u32 v3, v49, v48, 4
	s_waitcnt vmcnt(0)
	v_xor_b32_e32 v7, 0x80000000, v7
	ds_write_b128 v3, v[4:7]
.LBB136_3:
	s_or_b64 exec, exec, s[2:3]
	s_add_i32 s0, s27, -1
	s_ashr_i32 s1, s0, 31
	s_lshr_b32 s1, s1, 28
	s_add_i32 s0, s0, s1
	s_ashr_i32 s1, s0, 4
	s_and_b32 s0, s0, -16
	s_sub_i32 s0, s27, s0
	s_cmp_ge_i32 s6, s1
	s_cselect_b32 s0, s0, 16
	s_lshl_b32 s6, s6, 4
	v_cmp_gt_i32_e64 s[0:1], s0, v48
	s_ashr_i32 s14, s6, 31
	s_and_b64 s[0:1], vcc, s[0:1]
	s_and_saveexec_b64 s[2:3], s[0:1]
	s_cbranch_execz .LBB136_5
; %bb.4:
	s_mul_i32 s12, s7, s23
	s_mul_hi_u32 s13, s7, s22
	s_add_i32 s13, s13, s12
	s_mul_i32 s12, s7, s22
	s_lshl_b64 s[12:13], s[12:13], 4
	s_add_u32 s15, s18, s12
	s_addc_u32 s16, s19, s13
	s_mul_i32 s12, s6, s21
	s_mul_hi_u32 s13, s6, s20
	s_add_i32 s12, s13, s12
	s_mul_i32 s13, s14, s20
	s_add_i32 s13, s12, s13
	s_mul_i32 s12, s6, s20
	s_lshl_b64 s[12:13], s[12:13], 4
	s_add_u32 s15, s15, s12
	s_addc_u32 s16, s16, s13
	v_mad_u64_u32 v[4:5], s[12:13], v48, s20, 0
	v_mov_b32_e32 v6, v5
	v_mad_u64_u32 v[6:7], s[12:13], v48, s21, v[6:7]
	v_mov_b32_e32 v5, v6
	v_lshlrev_b64 v[4:5], 4, v[4:5]
	v_mov_b32_e32 v3, s16
	v_add_co_u32_e32 v4, vcc, s15, v4
	v_addc_co_u32_e32 v3, vcc, v3, v5, vcc
	v_add_co_u32_e32 v4, vcc, v4, v49
	v_addc_co_u32_e32 v5, vcc, 0, v3, vcc
	global_load_dwordx4 v[4:7], v[4:5], off
	v_add_u32_e32 v3, 0x1000, v1
	s_waitcnt vmcnt(0)
	ds_write2_b64 v3, v[4:5], v[6:7] offset1:1
.LBB136_5:
	s_or_b64 exec, exec, s[2:3]
	s_cmpk_eq_i32 s25, 0x84
	s_cselect_b64 s[2:3], -1, 0
	v_cmp_eq_u32_e32 vcc, v48, v2
	s_and_b64 s[12:13], vcc, s[2:3]
	s_and_saveexec_b64 s[2:3], s[12:13]
	s_cbranch_execz .LBB136_7
; %bb.6:
	v_mov_b32_e32 v4, 0
	v_mov_b32_e32 v5, 0x3ff00000
	;; [unrolled: 1-line block ×4, first 2 shown]
	ds_write_b128 v1, v[4:7]
.LBB136_7:
	s_or_b64 exec, exec, s[2:3]
	s_cmpk_lg_i32 s24, 0x7a
	s_waitcnt lgkmcnt(0)
	s_barrier
	s_cbranch_scc0 .LBB136_9
; %bb.8:
	v_cmp_lt_u32_e32 vcc, v2, v48
	s_and_b64 s[2:3], vcc, exec
	s_cbranch_execz .LBB136_10
	s_branch .LBB136_11
.LBB136_9:
	s_mov_b64 s[2:3], 0
.LBB136_10:
	v_cmp_gt_u32_e32 vcc, v2, v48
	s_andn2_b64 s[2:3], s[2:3], exec
	s_and_b64 s[12:13], vcc, exec
	s_or_b64 s[2:3], s[2:3], s[12:13]
.LBB136_11:
	s_and_saveexec_b64 s[12:13], s[2:3]
	s_cbranch_execz .LBB136_13
; %bb.12:
	v_mov_b32_e32 v2, 0
	v_mov_b32_e32 v3, v2
	;; [unrolled: 1-line block ×4, first 2 shown]
	ds_write_b128 v1, v[2:5]
.LBB136_13:
	s_or_b64 exec, exec, s[12:13]
	s_waitcnt lgkmcnt(0)
	s_barrier
	s_and_saveexec_b64 s[2:3], s[0:1]
	s_cbranch_execz .LBB136_15
; %bb.14:
	v_lshlrev_b32_e32 v74, 4, v0
	ds_read_b128 v[12:15], v49
	ds_read_b128 v[16:19], v74 offset:4096
	ds_read_b128 v[8:11], v74 offset:4112
	;; [unrolled: 1-line block ×5, first 2 shown]
	s_waitcnt lgkmcnt(4)
	v_mul_f64 v[24:25], v[16:17], v[14:15]
	v_fmac_f64_e32 v[24:25], v[18:19], v[12:13]
	v_add_f64 v[32:33], v[24:25], 0
	ds_read_b128 v[24:27], v49 offset:512
	ds_read_b128 v[28:31], v49 offset:768
	s_waitcnt lgkmcnt(2)
	v_mul_f64 v[34:35], v[8:9], v[22:23]
	v_fmac_f64_e32 v[34:35], v[10:11], v[20:21]
	v_add_f64 v[32:33], v[32:33], v[34:35]
	s_waitcnt lgkmcnt(1)
	v_mul_f64 v[34:35], v[4:5], v[26:27]
	v_fmac_f64_e32 v[34:35], v[6:7], v[24:25]
	v_add_f64 v[50:51], v[32:33], v[34:35]
	ds_read_b128 v[32:35], v49 offset:1024
	ds_read_b128 v[36:39], v74 offset:4160
	;; [unrolled: 1-line block ×4, first 2 shown]
	s_waitcnt lgkmcnt(4)
	v_mul_f64 v[52:53], v[0:1], v[30:31]
	v_fmac_f64_e32 v[52:53], v[2:3], v[28:29]
	v_add_f64 v[50:51], v[50:51], v[52:53]
	s_waitcnt lgkmcnt(2)
	v_mul_f64 v[52:53], v[36:37], v[34:35]
	v_fmac_f64_e32 v[52:53], v[38:39], v[32:33]
	v_add_f64 v[50:51], v[50:51], v[52:53]
	s_waitcnt lgkmcnt(0)
	v_mul_f64 v[52:53], v[40:41], v[46:47]
	v_fmac_f64_e32 v[52:53], v[42:43], v[44:45]
	v_mul_f64 v[14:15], v[18:19], v[14:15]
	v_add_f64 v[54:55], v[50:51], v[52:53]
	ds_read_b128 v[50:53], v49 offset:1536
	v_fma_f64 v[56:57], v[16:17], v[12:13], -v[14:15]
	ds_read_b128 v[12:15], v74 offset:4192
	v_mul_f64 v[10:11], v[10:11], v[22:23]
	v_fma_f64 v[58:59], v[8:9], v[20:21], -v[10:11]
	ds_read_b128 v[8:11], v74 offset:4208
	ds_read_b128 v[16:19], v49 offset:1792
	v_mul_f64 v[6:7], v[6:7], v[26:27]
	v_mul_f64 v[2:3], v[2:3], v[30:31]
	v_fma_f64 v[60:61], v[4:5], v[24:25], -v[6:7]
	ds_read_b128 v[4:7], v49 offset:2048
	v_fma_f64 v[64:65], v[0:1], v[28:29], -v[2:3]
	ds_read_b128 v[0:3], v74 offset:4224
	s_waitcnt lgkmcnt(4)
	v_mul_f64 v[20:21], v[12:13], v[52:53]
	v_fmac_f64_e32 v[20:21], v[14:15], v[50:51]
	s_waitcnt lgkmcnt(2)
	v_mul_f64 v[62:63], v[8:9], v[18:19]
	v_add_f64 v[54:55], v[54:55], v[20:21]
	v_fmac_f64_e32 v[62:63], v[10:11], v[16:17]
	s_waitcnt lgkmcnt(0)
	v_mul_f64 v[30:31], v[0:1], v[6:7]
	v_mul_f64 v[20:21], v[38:39], v[34:35]
	v_add_f64 v[28:29], v[54:55], v[62:63]
	v_fmac_f64_e32 v[30:31], v[2:3], v[4:5]
	v_fma_f64 v[66:67], v[36:37], v[32:33], -v[20:21]
	ds_read_b128 v[20:23], v74 offset:4240
	ds_read_b128 v[24:27], v49 offset:2304
	v_add_f64 v[36:37], v[28:29], v[30:31]
	v_mul_f64 v[28:29], v[42:43], v[46:47]
	v_mul_f64 v[14:15], v[14:15], v[52:53]
	v_fma_f64 v[54:55], v[40:41], v[44:45], -v[28:29]
	v_fma_f64 v[50:51], v[12:13], v[50:51], -v[14:15]
	ds_read_b128 v[12:15], v74 offset:4256
	ds_read_b128 v[28:31], v74 offset:4272
	;; [unrolled: 1-line block ×3, first 2 shown]
	v_mul_f64 v[10:11], v[10:11], v[18:19]
	v_fma_f64 v[52:53], v[8:9], v[16:17], -v[10:11]
	ds_read_b128 v[8:11], v49 offset:2816
	v_mul_f64 v[2:3], v[2:3], v[6:7]
	v_fma_f64 v[62:63], v[0:1], v[4:5], -v[2:3]
	ds_read_b128 v[0:3], v49 offset:3072
	ds_read_b128 v[4:7], v74 offset:4288
	v_add_f64 v[56:57], v[56:57], 0
	s_waitcnt lgkmcnt(6)
	v_mul_f64 v[38:39], v[20:21], v[26:27]
	v_add_f64 v[56:57], v[56:57], v[58:59]
	v_fmac_f64_e32 v[38:39], v[22:23], v[24:25]
	s_waitcnt lgkmcnt(3)
	v_mul_f64 v[18:19], v[12:13], v[34:35]
	v_add_f64 v[56:57], v[56:57], v[60:61]
	v_add_f64 v[16:17], v[36:37], v[38:39]
	v_fmac_f64_e32 v[18:19], v[14:15], v[32:33]
	v_add_f64 v[56:57], v[56:57], v[64:65]
	v_add_f64 v[36:37], v[16:17], v[18:19]
	s_waitcnt lgkmcnt(2)
	v_mul_f64 v[38:39], v[28:29], v[10:11]
	v_mul_f64 v[16:17], v[22:23], v[26:27]
	s_load_dwordx2 s[12:13], s[4:5], 0x60
	s_load_dwordx4 s[0:3], s[4:5], 0x50
	v_add_f64 v[56:57], v[56:57], v[66:67]
	v_fmac_f64_e32 v[38:39], v[30:31], v[8:9]
	v_fma_f64 v[68:69], v[20:21], v[24:25], -v[16:17]
	ds_read_b128 v[16:19], v74 offset:4304
	ds_read_b128 v[20:23], v49 offset:3328
	s_waitcnt lgkmcnt(0)
	v_mul_f64 v[26:27], v[4:5], v[2:3]
	v_add_f64 v[54:55], v[56:57], v[54:55]
	v_add_f64 v[24:25], v[36:37], v[38:39]
	v_fmac_f64_e32 v[26:27], v[6:7], v[0:1]
	v_add_f64 v[50:51], v[54:55], v[50:51]
	v_add_f64 v[70:71], v[24:25], v[26:27]
	ds_read_b128 v[24:27], v49 offset:3584
	ds_read_b128 v[36:39], v74 offset:4320
	v_add_f64 v[50:51], v[50:51], v[52:53]
	v_add_f64 v[50:51], v[50:51], v[62:63]
	v_mul_f64 v[14:15], v[14:15], v[34:35]
	ds_read_b128 v[40:43], v74 offset:4336
	ds_read_b128 v[44:47], v49 offset:3840
	s_mul_i32 s4, s7, s13
	s_mul_hi_u32 s5, s7, s12
	v_add_f64 v[50:51], v[50:51], v[68:69]
	v_fma_f64 v[12:13], v[12:13], v[32:33], -v[14:15]
	v_mul_f64 v[10:11], v[30:31], v[10:11]
	v_mul_f64 v[72:73], v[16:17], v[22:23]
	s_add_i32 s5, s5, s4
	s_mul_i32 s4, s7, s12
	v_add_f64 v[12:13], v[50:51], v[12:13]
	v_fma_f64 v[8:9], v[28:29], v[8:9], -v[10:11]
	v_mul_f64 v[2:3], v[6:7], v[2:3]
	v_fmac_f64_e32 v[72:73], v[18:19], v[20:21]
	s_lshl_b64 s[4:5], s[4:5], 4
	v_add_f64 v[8:9], v[12:13], v[8:9]
	v_fma_f64 v[0:1], v[4:5], v[0:1], -v[2:3]
	v_mul_f64 v[2:3], v[18:19], v[22:23]
	v_add_f64 v[70:71], v[70:71], v[72:73]
	s_waitcnt lgkmcnt(2)
	v_mul_f64 v[72:73], v[36:37], v[26:27]
	s_add_u32 s4, s0, s4
	v_add_f64 v[0:1], v[8:9], v[0:1]
	v_fma_f64 v[2:3], v[16:17], v[20:21], -v[2:3]
	v_fmac_f64_e32 v[72:73], v[38:39], v[24:25]
	s_addc_u32 s5, s1, s5
	s_mul_i32 s0, s6, s3
	s_mul_hi_u32 s1, s6, s2
	v_add_f64 v[0:1], v[0:1], v[2:3]
	v_mul_f64 v[2:3], v[38:39], v[26:27]
	v_add_f64 v[70:71], v[70:71], v[72:73]
	s_waitcnt lgkmcnt(0)
	v_mul_f64 v[72:73], v[40:41], v[46:47]
	s_add_i32 s0, s1, s0
	s_mul_i32 s14, s14, s2
	v_fma_f64 v[2:3], v[36:37], v[24:25], -v[2:3]
	v_fmac_f64_e32 v[72:73], v[42:43], v[44:45]
	s_add_i32 s1, s0, s14
	s_mul_i32 s0, s6, s2
	v_add_f64 v[0:1], v[0:1], v[2:3]
	v_mul_f64 v[2:3], v[42:43], v[46:47]
	v_add_f64 v[70:71], v[70:71], v[72:73]
	s_lshl_b64 s[0:1], s[0:1], 4
	v_fma_f64 v[2:3], v[40:41], v[44:45], -v[2:3]
	s_add_u32 s4, s4, s0
	v_add_f64 v[0:1], v[0:1], v[2:3]
	v_mul_f64 v[2:3], s[8:9], v[70:71]
	v_mul_f64 v[4:5], s[10:11], v[70:71]
	s_addc_u32 s5, s5, s1
	v_fmac_f64_e32 v[2:3], s[10:11], v[0:1]
	v_fma_f64 v[0:1], s[8:9], v[0:1], -v[4:5]
	v_mad_u64_u32 v[4:5], s[0:1], v48, s2, 0
	v_mov_b32_e32 v6, v5
	v_mad_u64_u32 v[6:7], s[0:1], v48, s3, v[6:7]
	v_mov_b32_e32 v5, v6
	v_lshlrev_b64 v[4:5], 4, v[4:5]
	v_mov_b32_e32 v6, s5
	v_add_co_u32_e32 v4, vcc, s4, v4
	v_addc_co_u32_e32 v5, vcc, v6, v5, vcc
	v_add_co_u32_e32 v4, vcc, v4, v49
	v_addc_co_u32_e32 v5, vcc, 0, v5, vcc
	global_store_dwordx4 v[4:5], v[0:3], off
.LBB136_15:
	s_endpgm
	.section	.rodata,"a",@progbits
	.p2align	6, 0x0
	.amdhsa_kernel _ZL23rocblas_trmm_lTx_kernelILi16ELb1E19rocblas_complex_numIdEPKS1_S2_S1_Ev13rocblas_fill_17rocblas_diagonal_iiT2_lPT3_llS8_llPT4_lli
		.amdhsa_group_segment_fixed_size 8192
		.amdhsa_private_segment_fixed_size 0
		.amdhsa_kernarg_size 108
		.amdhsa_user_sgpr_count 6
		.amdhsa_user_sgpr_private_segment_buffer 1
		.amdhsa_user_sgpr_dispatch_ptr 0
		.amdhsa_user_sgpr_queue_ptr 0
		.amdhsa_user_sgpr_kernarg_segment_ptr 1
		.amdhsa_user_sgpr_dispatch_id 0
		.amdhsa_user_sgpr_flat_scratch_init 0
		.amdhsa_user_sgpr_kernarg_preload_length 0
		.amdhsa_user_sgpr_kernarg_preload_offset 0
		.amdhsa_user_sgpr_private_segment_size 0
		.amdhsa_uses_dynamic_stack 0
		.amdhsa_system_sgpr_private_segment_wavefront_offset 0
		.amdhsa_system_sgpr_workgroup_id_x 1
		.amdhsa_system_sgpr_workgroup_id_y 0
		.amdhsa_system_sgpr_workgroup_id_z 1
		.amdhsa_system_sgpr_workgroup_info 0
		.amdhsa_system_vgpr_workitem_id 1
		.amdhsa_next_free_vgpr 75
		.amdhsa_next_free_sgpr 28
		.amdhsa_accum_offset 76
		.amdhsa_reserve_vcc 1
		.amdhsa_reserve_flat_scratch 0
		.amdhsa_float_round_mode_32 0
		.amdhsa_float_round_mode_16_64 0
		.amdhsa_float_denorm_mode_32 3
		.amdhsa_float_denorm_mode_16_64 3
		.amdhsa_dx10_clamp 1
		.amdhsa_ieee_mode 1
		.amdhsa_fp16_overflow 0
		.amdhsa_tg_split 0
		.amdhsa_exception_fp_ieee_invalid_op 0
		.amdhsa_exception_fp_denorm_src 0
		.amdhsa_exception_fp_ieee_div_zero 0
		.amdhsa_exception_fp_ieee_overflow 0
		.amdhsa_exception_fp_ieee_underflow 0
		.amdhsa_exception_fp_ieee_inexact 0
		.amdhsa_exception_int_div_zero 0
	.end_amdhsa_kernel
	.section	.text._ZL23rocblas_trmm_lTx_kernelILi16ELb1E19rocblas_complex_numIdEPKS1_S2_S1_Ev13rocblas_fill_17rocblas_diagonal_iiT2_lPT3_llS8_llPT4_lli,"axG",@progbits,_ZL23rocblas_trmm_lTx_kernelILi16ELb1E19rocblas_complex_numIdEPKS1_S2_S1_Ev13rocblas_fill_17rocblas_diagonal_iiT2_lPT3_llS8_llPT4_lli,comdat
.Lfunc_end136:
	.size	_ZL23rocblas_trmm_lTx_kernelILi16ELb1E19rocblas_complex_numIdEPKS1_S2_S1_Ev13rocblas_fill_17rocblas_diagonal_iiT2_lPT3_llS8_llPT4_lli, .Lfunc_end136-_ZL23rocblas_trmm_lTx_kernelILi16ELb1E19rocblas_complex_numIdEPKS1_S2_S1_Ev13rocblas_fill_17rocblas_diagonal_iiT2_lPT3_llS8_llPT4_lli
                                        ; -- End function
	.section	.AMDGPU.csdata,"",@progbits
; Kernel info:
; codeLenInByte = 1908
; NumSgprs: 32
; NumVgprs: 75
; NumAgprs: 0
; TotalNumVgprs: 75
; ScratchSize: 0
; MemoryBound: 0
; FloatMode: 240
; IeeeMode: 1
; LDSByteSize: 8192 bytes/workgroup (compile time only)
; SGPRBlocks: 3
; VGPRBlocks: 9
; NumSGPRsForWavesPerEU: 32
; NumVGPRsForWavesPerEU: 75
; AccumOffset: 76
; Occupancy: 6
; WaveLimiterHint : 0
; COMPUTE_PGM_RSRC2:SCRATCH_EN: 0
; COMPUTE_PGM_RSRC2:USER_SGPR: 6
; COMPUTE_PGM_RSRC2:TRAP_HANDLER: 0
; COMPUTE_PGM_RSRC2:TGID_X_EN: 1
; COMPUTE_PGM_RSRC2:TGID_Y_EN: 0
; COMPUTE_PGM_RSRC2:TGID_Z_EN: 1
; COMPUTE_PGM_RSRC2:TIDIG_COMP_CNT: 1
; COMPUTE_PGM_RSRC3_GFX90A:ACCUM_OFFSET: 18
; COMPUTE_PGM_RSRC3_GFX90A:TG_SPLIT: 0
	.section	.text._ZL23rocblas_trmm_lTx_kernelILi16ELb1E19rocblas_complex_numIdES1_KS1_S1_Ev13rocblas_fill_17rocblas_diagonal_iiT2_lPT3_llS7_llPT4_lli,"axG",@progbits,_ZL23rocblas_trmm_lTx_kernelILi16ELb1E19rocblas_complex_numIdES1_KS1_S1_Ev13rocblas_fill_17rocblas_diagonal_iiT2_lPT3_llS7_llPT4_lli,comdat
	.globl	_ZL23rocblas_trmm_lTx_kernelILi16ELb1E19rocblas_complex_numIdES1_KS1_S1_Ev13rocblas_fill_17rocblas_diagonal_iiT2_lPT3_llS7_llPT4_lli ; -- Begin function _ZL23rocblas_trmm_lTx_kernelILi16ELb1E19rocblas_complex_numIdES1_KS1_S1_Ev13rocblas_fill_17rocblas_diagonal_iiT2_lPT3_llS7_llPT4_lli
	.p2align	8
	.type	_ZL23rocblas_trmm_lTx_kernelILi16ELb1E19rocblas_complex_numIdES1_KS1_S1_Ev13rocblas_fill_17rocblas_diagonal_iiT2_lPT3_llS7_llPT4_lli,@function
_ZL23rocblas_trmm_lTx_kernelILi16ELb1E19rocblas_complex_numIdES1_KS1_S1_Ev13rocblas_fill_17rocblas_diagonal_iiT2_lPT3_llS7_llPT4_lli: ; @_ZL23rocblas_trmm_lTx_kernelILi16ELb1E19rocblas_complex_numIdES1_KS1_S1_Ev13rocblas_fill_17rocblas_diagonal_iiT2_lPT3_llS7_llPT4_lli
; %bb.0:
	s_load_dwordx4 s[24:27], s[4:5], 0x10
	s_waitcnt lgkmcnt(0)
	v_cmp_neq_f64_e64 s[0:1], s[24:25], 0
	v_cmp_neq_f64_e64 s[2:3], s[26:27], 0
	s_or_b64 s[0:1], s[0:1], s[2:3]
	s_andn2_b64 vcc, exec, s[0:1]
	s_cbranch_vccnz .LBB137_15
; %bb.1:
	s_load_dwordx4 s[28:31], s[4:5], 0x0
	s_load_dwordx16 s[8:23], s[4:5], 0x28
	s_mov_b32 s0, 0
	s_mov_b32 s2, s0
	s_mov_b32 s3, s0
	v_and_b32_e32 v2, 0x3ff, v0
	v_bfe_u32 v48, v0, 10, 10
	s_mov_b32 s1, s0
	v_pk_mov_b32 v[6:7], s[2:3], s[2:3] op_sel:[0,1]
	v_lshlrev_b32_e32 v0, 4, v48
	v_pk_mov_b32 v[4:5], s[0:1], s[0:1] op_sel:[0,1]
	s_waitcnt lgkmcnt(0)
	v_cmp_gt_i32_e64 s[0:1], s30, v48
	v_cmp_gt_i32_e32 vcc, s30, v2
	v_add_lshl_u32 v1, v0, v2, 4
	s_and_b64 s[0:1], s[0:1], vcc
	v_lshlrev_b32_e32 v49, 4, v2
	ds_write_b128 v1, v[4:7]
	ds_write_b128 v1, v[4:7] offset:4096
	s_waitcnt lgkmcnt(0)
	s_barrier
	s_and_saveexec_b64 s[2:3], s[0:1]
	s_cbranch_execz .LBB137_3
; %bb.2:
	s_mul_i32 s0, s7, s13
	s_mul_hi_u32 s1, s7, s12
	s_add_i32 s1, s1, s0
	s_mul_i32 s0, s7, s12
	s_lshl_b64 s[0:1], s[0:1], 4
	s_add_u32 s8, s8, s0
	s_addc_u32 s9, s9, s1
	v_mad_u64_u32 v[4:5], s[0:1], v48, s10, 0
	v_mov_b32_e32 v6, v5
	v_mad_u64_u32 v[6:7], s[0:1], v48, s11, v[6:7]
	v_mov_b32_e32 v5, v6
	v_lshlrev_b64 v[4:5], 4, v[4:5]
	v_mov_b32_e32 v3, s9
	v_add_co_u32_e64 v4, s[0:1], s8, v4
	v_addc_co_u32_e64 v3, s[0:1], v3, v5, s[0:1]
	v_add_co_u32_e64 v4, s[0:1], v4, v49
	v_addc_co_u32_e64 v5, s[0:1], 0, v3, s[0:1]
	global_load_dwordx4 v[4:7], v[4:5], off
	v_add_lshl_u32 v3, v49, v48, 4
	s_waitcnt vmcnt(0)
	v_xor_b32_e32 v7, 0x80000000, v7
	ds_write_b128 v3, v[4:7]
.LBB137_3:
	s_or_b64 exec, exec, s[2:3]
	s_add_i32 s0, s31, -1
	s_ashr_i32 s1, s0, 31
	s_lshr_b32 s1, s1, 28
	s_add_i32 s0, s0, s1
	s_ashr_i32 s1, s0, 4
	s_and_b32 s0, s0, -16
	s_sub_i32 s0, s31, s0
	s_cmp_ge_i32 s6, s1
	s_cselect_b32 s0, s0, 16
	s_lshl_b32 s6, s6, 4
	v_cmp_gt_i32_e64 s[0:1], s0, v48
	s_ashr_i32 s10, s6, 31
	s_and_b64 s[0:1], vcc, s[0:1]
	s_and_saveexec_b64 s[2:3], s[0:1]
	s_cbranch_execz .LBB137_5
; %bb.4:
	s_mul_i32 s8, s7, s19
	s_mul_hi_u32 s9, s7, s18
	s_add_i32 s9, s9, s8
	s_mul_i32 s8, s7, s18
	s_lshl_b64 s[8:9], s[8:9], 4
	s_add_u32 s11, s14, s8
	s_addc_u32 s12, s15, s9
	s_mul_i32 s8, s6, s17
	s_mul_hi_u32 s9, s6, s16
	s_add_i32 s8, s9, s8
	s_mul_i32 s9, s10, s16
	s_add_i32 s9, s8, s9
	s_mul_i32 s8, s6, s16
	s_lshl_b64 s[8:9], s[8:9], 4
	s_add_u32 s11, s11, s8
	s_addc_u32 s12, s12, s9
	v_mad_u64_u32 v[4:5], s[8:9], v48, s16, 0
	v_mov_b32_e32 v6, v5
	v_mad_u64_u32 v[6:7], s[8:9], v48, s17, v[6:7]
	v_mov_b32_e32 v5, v6
	v_lshlrev_b64 v[4:5], 4, v[4:5]
	v_mov_b32_e32 v3, s12
	v_add_co_u32_e32 v4, vcc, s11, v4
	v_addc_co_u32_e32 v3, vcc, v3, v5, vcc
	v_add_co_u32_e32 v4, vcc, v4, v49
	v_addc_co_u32_e32 v5, vcc, 0, v3, vcc
	global_load_dwordx4 v[4:7], v[4:5], off
	v_add_u32_e32 v3, 0x1000, v1
	s_waitcnt vmcnt(0)
	ds_write2_b64 v3, v[4:5], v[6:7] offset1:1
.LBB137_5:
	s_or_b64 exec, exec, s[2:3]
	s_cmpk_eq_i32 s29, 0x84
	s_cselect_b64 s[2:3], -1, 0
	v_cmp_eq_u32_e32 vcc, v48, v2
	s_and_b64 s[8:9], vcc, s[2:3]
	s_and_saveexec_b64 s[2:3], s[8:9]
	s_cbranch_execz .LBB137_7
; %bb.6:
	v_mov_b32_e32 v4, 0
	v_mov_b32_e32 v5, 0x3ff00000
	v_mov_b32_e32 v6, v4
	v_mov_b32_e32 v7, v4
	ds_write_b128 v1, v[4:7]
.LBB137_7:
	s_or_b64 exec, exec, s[2:3]
	s_cmpk_lg_i32 s28, 0x7a
	s_waitcnt lgkmcnt(0)
	s_barrier
	s_cbranch_scc0 .LBB137_9
; %bb.8:
	v_cmp_lt_u32_e32 vcc, v2, v48
	s_and_b64 s[2:3], vcc, exec
	s_cbranch_execz .LBB137_10
	s_branch .LBB137_11
.LBB137_9:
	s_mov_b64 s[2:3], 0
.LBB137_10:
	v_cmp_gt_u32_e32 vcc, v2, v48
	s_andn2_b64 s[2:3], s[2:3], exec
	s_and_b64 s[8:9], vcc, exec
	s_or_b64 s[2:3], s[2:3], s[8:9]
.LBB137_11:
	s_and_saveexec_b64 s[8:9], s[2:3]
	s_cbranch_execz .LBB137_13
; %bb.12:
	v_mov_b32_e32 v2, 0
	v_mov_b32_e32 v3, v2
	v_mov_b32_e32 v4, v2
	v_mov_b32_e32 v5, v2
	ds_write_b128 v1, v[2:5]
.LBB137_13:
	s_or_b64 exec, exec, s[8:9]
	s_waitcnt lgkmcnt(0)
	s_barrier
	s_and_saveexec_b64 s[2:3], s[0:1]
	s_cbranch_execz .LBB137_15
; %bb.14:
	v_lshlrev_b32_e32 v74, 4, v0
	ds_read_b128 v[12:15], v49
	ds_read_b128 v[16:19], v74 offset:4096
	ds_read_b128 v[8:11], v74 offset:4112
	;; [unrolled: 1-line block ×5, first 2 shown]
	s_waitcnt lgkmcnt(4)
	v_mul_f64 v[24:25], v[16:17], v[14:15]
	v_fmac_f64_e32 v[24:25], v[18:19], v[12:13]
	v_add_f64 v[32:33], v[24:25], 0
	ds_read_b128 v[24:27], v49 offset:512
	ds_read_b128 v[28:31], v49 offset:768
	s_waitcnt lgkmcnt(2)
	v_mul_f64 v[34:35], v[8:9], v[22:23]
	v_fmac_f64_e32 v[34:35], v[10:11], v[20:21]
	v_add_f64 v[32:33], v[32:33], v[34:35]
	s_waitcnt lgkmcnt(1)
	v_mul_f64 v[34:35], v[4:5], v[26:27]
	v_fmac_f64_e32 v[34:35], v[6:7], v[24:25]
	v_add_f64 v[50:51], v[32:33], v[34:35]
	ds_read_b128 v[32:35], v49 offset:1024
	ds_read_b128 v[36:39], v74 offset:4160
	;; [unrolled: 1-line block ×4, first 2 shown]
	s_waitcnt lgkmcnt(4)
	v_mul_f64 v[52:53], v[0:1], v[30:31]
	v_fmac_f64_e32 v[52:53], v[2:3], v[28:29]
	v_add_f64 v[50:51], v[50:51], v[52:53]
	s_waitcnt lgkmcnt(2)
	v_mul_f64 v[52:53], v[36:37], v[34:35]
	v_fmac_f64_e32 v[52:53], v[38:39], v[32:33]
	v_add_f64 v[50:51], v[50:51], v[52:53]
	s_waitcnt lgkmcnt(0)
	v_mul_f64 v[52:53], v[40:41], v[46:47]
	v_fmac_f64_e32 v[52:53], v[42:43], v[44:45]
	v_mul_f64 v[14:15], v[18:19], v[14:15]
	v_add_f64 v[54:55], v[50:51], v[52:53]
	ds_read_b128 v[50:53], v49 offset:1536
	v_fma_f64 v[56:57], v[16:17], v[12:13], -v[14:15]
	ds_read_b128 v[12:15], v74 offset:4192
	v_mul_f64 v[10:11], v[10:11], v[22:23]
	v_fma_f64 v[58:59], v[8:9], v[20:21], -v[10:11]
	ds_read_b128 v[8:11], v74 offset:4208
	ds_read_b128 v[16:19], v49 offset:1792
	v_mul_f64 v[6:7], v[6:7], v[26:27]
	v_mul_f64 v[2:3], v[2:3], v[30:31]
	v_fma_f64 v[60:61], v[4:5], v[24:25], -v[6:7]
	ds_read_b128 v[4:7], v49 offset:2048
	v_fma_f64 v[64:65], v[0:1], v[28:29], -v[2:3]
	ds_read_b128 v[0:3], v74 offset:4224
	s_waitcnt lgkmcnt(4)
	v_mul_f64 v[20:21], v[12:13], v[52:53]
	v_fmac_f64_e32 v[20:21], v[14:15], v[50:51]
	s_waitcnt lgkmcnt(2)
	v_mul_f64 v[62:63], v[8:9], v[18:19]
	v_add_f64 v[54:55], v[54:55], v[20:21]
	v_fmac_f64_e32 v[62:63], v[10:11], v[16:17]
	s_waitcnt lgkmcnt(0)
	v_mul_f64 v[30:31], v[0:1], v[6:7]
	v_mul_f64 v[20:21], v[38:39], v[34:35]
	v_add_f64 v[28:29], v[54:55], v[62:63]
	v_fmac_f64_e32 v[30:31], v[2:3], v[4:5]
	v_fma_f64 v[66:67], v[36:37], v[32:33], -v[20:21]
	ds_read_b128 v[20:23], v74 offset:4240
	ds_read_b128 v[24:27], v49 offset:2304
	v_add_f64 v[36:37], v[28:29], v[30:31]
	v_mul_f64 v[28:29], v[42:43], v[46:47]
	v_mul_f64 v[14:15], v[14:15], v[52:53]
	v_fma_f64 v[54:55], v[40:41], v[44:45], -v[28:29]
	v_fma_f64 v[50:51], v[12:13], v[50:51], -v[14:15]
	ds_read_b128 v[12:15], v74 offset:4256
	ds_read_b128 v[28:31], v74 offset:4272
	;; [unrolled: 1-line block ×3, first 2 shown]
	v_mul_f64 v[10:11], v[10:11], v[18:19]
	v_fma_f64 v[52:53], v[8:9], v[16:17], -v[10:11]
	ds_read_b128 v[8:11], v49 offset:2816
	v_mul_f64 v[2:3], v[2:3], v[6:7]
	v_fma_f64 v[62:63], v[0:1], v[4:5], -v[2:3]
	ds_read_b128 v[0:3], v49 offset:3072
	ds_read_b128 v[4:7], v74 offset:4288
	v_add_f64 v[56:57], v[56:57], 0
	s_waitcnt lgkmcnt(6)
	v_mul_f64 v[38:39], v[20:21], v[26:27]
	v_add_f64 v[56:57], v[56:57], v[58:59]
	v_fmac_f64_e32 v[38:39], v[22:23], v[24:25]
	s_waitcnt lgkmcnt(3)
	v_mul_f64 v[18:19], v[12:13], v[34:35]
	v_add_f64 v[56:57], v[56:57], v[60:61]
	v_add_f64 v[16:17], v[36:37], v[38:39]
	v_fmac_f64_e32 v[18:19], v[14:15], v[32:33]
	v_add_f64 v[56:57], v[56:57], v[64:65]
	v_add_f64 v[36:37], v[16:17], v[18:19]
	s_waitcnt lgkmcnt(2)
	v_mul_f64 v[38:39], v[28:29], v[10:11]
	v_mul_f64 v[16:17], v[22:23], v[26:27]
	s_load_dwordx2 s[0:1], s[4:5], 0x68
	v_add_f64 v[56:57], v[56:57], v[66:67]
	v_fmac_f64_e32 v[38:39], v[30:31], v[8:9]
	v_fma_f64 v[68:69], v[20:21], v[24:25], -v[16:17]
	ds_read_b128 v[16:19], v74 offset:4304
	ds_read_b128 v[20:23], v49 offset:3328
	s_waitcnt lgkmcnt(0)
	v_mul_f64 v[26:27], v[4:5], v[2:3]
	v_add_f64 v[54:55], v[56:57], v[54:55]
	v_add_f64 v[24:25], v[36:37], v[38:39]
	v_fmac_f64_e32 v[26:27], v[6:7], v[0:1]
	v_add_f64 v[50:51], v[54:55], v[50:51]
	v_add_f64 v[70:71], v[24:25], v[26:27]
	ds_read_b128 v[24:27], v49 offset:3584
	ds_read_b128 v[36:39], v74 offset:4320
	v_add_f64 v[50:51], v[50:51], v[52:53]
	v_add_f64 v[50:51], v[50:51], v[62:63]
	v_mul_f64 v[14:15], v[14:15], v[34:35]
	ds_read_b128 v[40:43], v74 offset:4336
	ds_read_b128 v[44:47], v49 offset:3840
	s_mul_i32 s1, s7, s1
	s_mul_hi_u32 s2, s7, s0
	v_add_f64 v[50:51], v[50:51], v[68:69]
	v_fma_f64 v[12:13], v[12:13], v[32:33], -v[14:15]
	v_mul_f64 v[10:11], v[30:31], v[10:11]
	v_mul_f64 v[72:73], v[16:17], v[22:23]
	s_add_i32 s1, s2, s1
	s_mul_i32 s0, s7, s0
	v_add_f64 v[12:13], v[50:51], v[12:13]
	v_fma_f64 v[8:9], v[28:29], v[8:9], -v[10:11]
	v_mul_f64 v[2:3], v[6:7], v[2:3]
	v_fmac_f64_e32 v[72:73], v[18:19], v[20:21]
	s_lshl_b64 s[0:1], s[0:1], 4
	v_add_f64 v[8:9], v[12:13], v[8:9]
	v_fma_f64 v[0:1], v[4:5], v[0:1], -v[2:3]
	v_mul_f64 v[2:3], v[18:19], v[22:23]
	v_add_f64 v[70:71], v[70:71], v[72:73]
	s_waitcnt lgkmcnt(2)
	v_mul_f64 v[72:73], v[36:37], v[26:27]
	s_add_u32 s2, s20, s0
	v_add_f64 v[0:1], v[8:9], v[0:1]
	v_fma_f64 v[2:3], v[16:17], v[20:21], -v[2:3]
	v_fmac_f64_e32 v[72:73], v[38:39], v[24:25]
	s_addc_u32 s3, s21, s1
	s_mul_i32 s0, s6, s23
	s_mul_hi_u32 s1, s6, s22
	v_add_f64 v[0:1], v[0:1], v[2:3]
	v_mul_f64 v[2:3], v[38:39], v[26:27]
	v_add_f64 v[70:71], v[70:71], v[72:73]
	s_waitcnt lgkmcnt(0)
	v_mul_f64 v[72:73], v[40:41], v[46:47]
	s_add_i32 s0, s1, s0
	s_mul_i32 s10, s10, s22
	v_fma_f64 v[2:3], v[36:37], v[24:25], -v[2:3]
	v_fmac_f64_e32 v[72:73], v[42:43], v[44:45]
	s_add_i32 s1, s0, s10
	s_mul_i32 s0, s6, s22
	v_add_f64 v[0:1], v[0:1], v[2:3]
	v_mul_f64 v[2:3], v[42:43], v[46:47]
	v_add_f64 v[70:71], v[70:71], v[72:73]
	s_lshl_b64 s[0:1], s[0:1], 4
	v_fma_f64 v[2:3], v[40:41], v[44:45], -v[2:3]
	s_add_u32 s2, s2, s0
	v_add_f64 v[0:1], v[0:1], v[2:3]
	v_mul_f64 v[2:3], s[24:25], v[70:71]
	v_mul_f64 v[4:5], s[26:27], v[70:71]
	s_addc_u32 s3, s3, s1
	v_fmac_f64_e32 v[2:3], s[26:27], v[0:1]
	v_fma_f64 v[0:1], s[24:25], v[0:1], -v[4:5]
	v_mad_u64_u32 v[4:5], s[0:1], v48, s22, 0
	v_mov_b32_e32 v6, v5
	v_mad_u64_u32 v[6:7], s[0:1], v48, s23, v[6:7]
	v_mov_b32_e32 v5, v6
	v_lshlrev_b64 v[4:5], 4, v[4:5]
	v_mov_b32_e32 v6, s3
	v_add_co_u32_e32 v4, vcc, s2, v4
	v_addc_co_u32_e32 v5, vcc, v6, v5, vcc
	v_add_co_u32_e32 v4, vcc, v4, v49
	v_addc_co_u32_e32 v5, vcc, 0, v5, vcc
	global_store_dwordx4 v[4:5], v[0:3], off
.LBB137_15:
	s_endpgm
	.section	.rodata,"a",@progbits
	.p2align	6, 0x0
	.amdhsa_kernel _ZL23rocblas_trmm_lTx_kernelILi16ELb1E19rocblas_complex_numIdES1_KS1_S1_Ev13rocblas_fill_17rocblas_diagonal_iiT2_lPT3_llS7_llPT4_lli
		.amdhsa_group_segment_fixed_size 8192
		.amdhsa_private_segment_fixed_size 0
		.amdhsa_kernarg_size 116
		.amdhsa_user_sgpr_count 6
		.amdhsa_user_sgpr_private_segment_buffer 1
		.amdhsa_user_sgpr_dispatch_ptr 0
		.amdhsa_user_sgpr_queue_ptr 0
		.amdhsa_user_sgpr_kernarg_segment_ptr 1
		.amdhsa_user_sgpr_dispatch_id 0
		.amdhsa_user_sgpr_flat_scratch_init 0
		.amdhsa_user_sgpr_kernarg_preload_length 0
		.amdhsa_user_sgpr_kernarg_preload_offset 0
		.amdhsa_user_sgpr_private_segment_size 0
		.amdhsa_uses_dynamic_stack 0
		.amdhsa_system_sgpr_private_segment_wavefront_offset 0
		.amdhsa_system_sgpr_workgroup_id_x 1
		.amdhsa_system_sgpr_workgroup_id_y 0
		.amdhsa_system_sgpr_workgroup_id_z 1
		.amdhsa_system_sgpr_workgroup_info 0
		.amdhsa_system_vgpr_workitem_id 1
		.amdhsa_next_free_vgpr 75
		.amdhsa_next_free_sgpr 32
		.amdhsa_accum_offset 76
		.amdhsa_reserve_vcc 1
		.amdhsa_reserve_flat_scratch 0
		.amdhsa_float_round_mode_32 0
		.amdhsa_float_round_mode_16_64 0
		.amdhsa_float_denorm_mode_32 3
		.amdhsa_float_denorm_mode_16_64 3
		.amdhsa_dx10_clamp 1
		.amdhsa_ieee_mode 1
		.amdhsa_fp16_overflow 0
		.amdhsa_tg_split 0
		.amdhsa_exception_fp_ieee_invalid_op 0
		.amdhsa_exception_fp_denorm_src 0
		.amdhsa_exception_fp_ieee_div_zero 0
		.amdhsa_exception_fp_ieee_overflow 0
		.amdhsa_exception_fp_ieee_underflow 0
		.amdhsa_exception_fp_ieee_inexact 0
		.amdhsa_exception_int_div_zero 0
	.end_amdhsa_kernel
	.section	.text._ZL23rocblas_trmm_lTx_kernelILi16ELb1E19rocblas_complex_numIdES1_KS1_S1_Ev13rocblas_fill_17rocblas_diagonal_iiT2_lPT3_llS7_llPT4_lli,"axG",@progbits,_ZL23rocblas_trmm_lTx_kernelILi16ELb1E19rocblas_complex_numIdES1_KS1_S1_Ev13rocblas_fill_17rocblas_diagonal_iiT2_lPT3_llS7_llPT4_lli,comdat
.Lfunc_end137:
	.size	_ZL23rocblas_trmm_lTx_kernelILi16ELb1E19rocblas_complex_numIdES1_KS1_S1_Ev13rocblas_fill_17rocblas_diagonal_iiT2_lPT3_llS7_llPT4_lli, .Lfunc_end137-_ZL23rocblas_trmm_lTx_kernelILi16ELb1E19rocblas_complex_numIdES1_KS1_S1_Ev13rocblas_fill_17rocblas_diagonal_iiT2_lPT3_llS7_llPT4_lli
                                        ; -- End function
	.section	.AMDGPU.csdata,"",@progbits
; Kernel info:
; codeLenInByte = 1868
; NumSgprs: 36
; NumVgprs: 75
; NumAgprs: 0
; TotalNumVgprs: 75
; ScratchSize: 0
; MemoryBound: 0
; FloatMode: 240
; IeeeMode: 1
; LDSByteSize: 8192 bytes/workgroup (compile time only)
; SGPRBlocks: 4
; VGPRBlocks: 9
; NumSGPRsForWavesPerEU: 36
; NumVGPRsForWavesPerEU: 75
; AccumOffset: 76
; Occupancy: 6
; WaveLimiterHint : 0
; COMPUTE_PGM_RSRC2:SCRATCH_EN: 0
; COMPUTE_PGM_RSRC2:USER_SGPR: 6
; COMPUTE_PGM_RSRC2:TRAP_HANDLER: 0
; COMPUTE_PGM_RSRC2:TGID_X_EN: 1
; COMPUTE_PGM_RSRC2:TGID_Y_EN: 0
; COMPUTE_PGM_RSRC2:TGID_Z_EN: 1
; COMPUTE_PGM_RSRC2:TIDIG_COMP_CNT: 1
; COMPUTE_PGM_RSRC3_GFX90A:ACCUM_OFFSET: 18
; COMPUTE_PGM_RSRC3_GFX90A:TG_SPLIT: 0
	.section	.text._ZL23rocblas_trmm_rNx_kernelILi16E19rocblas_complex_numIdEPKS1_S2_S1_Ev13rocblas_fill_17rocblas_diagonal_iiT1_lPT2_llS8_llPT3_lli,"axG",@progbits,_ZL23rocblas_trmm_rNx_kernelILi16E19rocblas_complex_numIdEPKS1_S2_S1_Ev13rocblas_fill_17rocblas_diagonal_iiT1_lPT2_llS8_llPT3_lli,comdat
	.globl	_ZL23rocblas_trmm_rNx_kernelILi16E19rocblas_complex_numIdEPKS1_S2_S1_Ev13rocblas_fill_17rocblas_diagonal_iiT1_lPT2_llS8_llPT3_lli ; -- Begin function _ZL23rocblas_trmm_rNx_kernelILi16E19rocblas_complex_numIdEPKS1_S2_S1_Ev13rocblas_fill_17rocblas_diagonal_iiT1_lPT2_llS8_llPT3_lli
	.p2align	8
	.type	_ZL23rocblas_trmm_rNx_kernelILi16E19rocblas_complex_numIdEPKS1_S2_S1_Ev13rocblas_fill_17rocblas_diagonal_iiT1_lPT2_llS8_llPT3_lli,@function
_ZL23rocblas_trmm_rNx_kernelILi16E19rocblas_complex_numIdEPKS1_S2_S1_Ev13rocblas_fill_17rocblas_diagonal_iiT1_lPT2_llS8_llPT3_lli: ; @_ZL23rocblas_trmm_rNx_kernelILi16E19rocblas_complex_numIdEPKS1_S2_S1_Ev13rocblas_fill_17rocblas_diagonal_iiT1_lPT2_llS8_llPT3_lli
; %bb.0:
	s_load_dwordx16 s[8:23], s[4:5], 0x10
	s_waitcnt lgkmcnt(0)
	s_mul_i32 s0, s7, s11
	s_mul_hi_u32 s1, s7, s10
	s_add_i32 s1, s1, s0
	s_mul_i32 s0, s7, s10
	s_lshl_b64 s[0:1], s[0:1], 4
	s_add_u32 s0, s8, s0
	s_addc_u32 s1, s9, s1
	s_load_dwordx4 s[8:11], s[0:1], 0x0
	s_waitcnt lgkmcnt(0)
	v_cmp_neq_f64_e64 s[0:1], s[8:9], 0
	v_cmp_neq_f64_e64 s[2:3], s[10:11], 0
	s_or_b64 s[0:1], s[0:1], s[2:3]
	s_andn2_b64 vcc, exec, s[0:1]
	s_cbranch_vccnz .LBB138_15
; %bb.1:
	s_load_dwordx4 s[24:27], s[4:5], 0x0
	s_mov_b32 s0, 0
	s_mov_b32 s2, s0
	;; [unrolled: 1-line block ×3, first 2 shown]
	v_and_b32_e32 v2, 0x3ff, v0
	v_bfe_u32 v48, v0, 10, 10
	s_mov_b32 s1, s0
	v_pk_mov_b32 v[6:7], s[2:3], s[2:3] op_sel:[0,1]
	v_lshlrev_b32_e32 v0, 4, v48
	v_pk_mov_b32 v[4:5], s[0:1], s[0:1] op_sel:[0,1]
	s_waitcnt lgkmcnt(0)
	v_cmp_gt_i32_e32 vcc, s27, v48
	v_cmp_gt_i32_e64 s[0:1], s27, v2
	v_add_lshl_u32 v1, v0, v2, 4
	s_and_b64 s[0:1], vcc, s[0:1]
	v_lshlrev_b32_e32 v49, 4, v2
	ds_write_b128 v1, v[4:7]
	ds_write_b128 v1, v[4:7] offset:4096
	s_and_saveexec_b64 s[2:3], s[0:1]
	s_cbranch_execz .LBB138_3
; %bb.2:
	s_mul_i32 s0, s7, s17
	s_mul_hi_u32 s1, s7, s16
	s_add_i32 s1, s1, s0
	s_mul_i32 s0, s7, s16
	s_lshl_b64 s[0:1], s[0:1], 4
	s_add_u32 s12, s12, s0
	s_addc_u32 s13, s13, s1
	v_mad_u64_u32 v[4:5], s[0:1], v48, s14, 0
	v_mov_b32_e32 v6, v5
	v_mad_u64_u32 v[6:7], s[0:1], v48, s15, v[6:7]
	v_mov_b32_e32 v5, v6
	v_lshlrev_b64 v[4:5], 4, v[4:5]
	v_mov_b32_e32 v3, s13
	v_add_co_u32_e64 v4, s[0:1], s12, v4
	v_addc_co_u32_e64 v3, s[0:1], v3, v5, s[0:1]
	v_add_co_u32_e64 v4, s[0:1], v4, v49
	v_addc_co_u32_e64 v5, s[0:1], 0, v3, s[0:1]
	global_load_dwordx4 v[4:7], v[4:5], off
	s_waitcnt vmcnt(0)
	ds_write2_b64 v1, v[4:5], v[6:7] offset1:1
.LBB138_3:
	s_or_b64 exec, exec, s[2:3]
	s_add_i32 s0, s26, -1
	s_ashr_i32 s1, s0, 31
	s_lshr_b32 s1, s1, 28
	s_add_i32 s0, s0, s1
	s_ashr_i32 s1, s0, 4
	s_and_b32 s0, s0, -16
	s_sub_i32 s0, s26, s0
	s_cmp_ge_i32 s6, s1
	s_cselect_b32 s0, s0, 16
	s_lshl_b32 s2, s6, 4
	v_cmp_gt_i32_e64 s[0:1], s0, v2
	s_ashr_i32 s3, s2, 31
	s_and_b64 s[0:1], vcc, s[0:1]
	s_and_saveexec_b64 s[12:13], s[0:1]
	s_cbranch_execz .LBB138_5
; %bb.4:
	s_mul_i32 s6, s7, s23
	s_mul_hi_u32 s14, s7, s22
	s_add_i32 s15, s14, s6
	s_mul_i32 s14, s7, s22
	s_lshl_b64 s[14:15], s[14:15], 4
	s_add_u32 s6, s18, s14
	s_addc_u32 s16, s19, s15
	s_lshl_b64 s[14:15], s[2:3], 4
	s_add_u32 s6, s6, s14
	s_addc_u32 s16, s16, s15
	v_mad_u64_u32 v[4:5], s[14:15], v48, s20, 0
	v_mov_b32_e32 v6, v5
	v_mad_u64_u32 v[6:7], s[14:15], v48, s21, v[6:7]
	v_mov_b32_e32 v5, v6
	v_lshlrev_b64 v[4:5], 4, v[4:5]
	v_mov_b32_e32 v3, s16
	v_add_co_u32_e32 v4, vcc, s6, v4
	v_addc_co_u32_e32 v3, vcc, v3, v5, vcc
	v_add_co_u32_e32 v4, vcc, v4, v49
	v_addc_co_u32_e32 v5, vcc, 0, v3, vcc
	global_load_dwordx4 v[4:7], v[4:5], off
	v_add_u32_e32 v3, 0x1000, v1
	s_waitcnt vmcnt(0)
	ds_write2_b64 v3, v[4:5], v[6:7] offset1:1
.LBB138_5:
	s_or_b64 exec, exec, s[12:13]
	s_cmpk_eq_i32 s25, 0x84
	s_cselect_b64 s[12:13], -1, 0
	v_cmp_eq_u32_e32 vcc, v48, v2
	s_and_b64 s[14:15], vcc, s[12:13]
	s_and_saveexec_b64 s[12:13], s[14:15]
	s_cbranch_execz .LBB138_7
; %bb.6:
	v_mov_b32_e32 v4, 0
	v_mov_b32_e32 v5, 0x3ff00000
	;; [unrolled: 1-line block ×4, first 2 shown]
	ds_write_b128 v1, v[4:7]
.LBB138_7:
	s_or_b64 exec, exec, s[12:13]
	s_cmpk_lg_i32 s24, 0x79
	s_cbranch_scc0 .LBB138_9
; %bb.8:
	v_cmp_lt_u32_e32 vcc, v2, v48
	s_and_b64 s[12:13], vcc, exec
	s_cbranch_execz .LBB138_10
	s_branch .LBB138_11
.LBB138_9:
	s_mov_b64 s[12:13], 0
.LBB138_10:
	v_cmp_gt_u32_e32 vcc, v2, v48
	s_andn2_b64 s[12:13], s[12:13], exec
	s_and_b64 s[14:15], vcc, exec
	s_or_b64 s[12:13], s[12:13], s[14:15]
.LBB138_11:
	s_and_saveexec_b64 s[14:15], s[12:13]
	s_cbranch_execz .LBB138_13
; %bb.12:
	v_mov_b32_e32 v2, 0
	v_mov_b32_e32 v3, v2
	;; [unrolled: 1-line block ×4, first 2 shown]
	ds_write_b128 v1, v[2:5]
.LBB138_13:
	s_or_b64 exec, exec, s[14:15]
	s_waitcnt lgkmcnt(0)
	s_barrier
	s_and_saveexec_b64 s[12:13], s[0:1]
	s_cbranch_execz .LBB138_15
; %bb.14:
	v_lshlrev_b32_e32 v74, 4, v0
	ds_read_b128 v[12:15], v49 offset:4096
	ds_read_b128 v[16:19], v74
	ds_read_b128 v[8:11], v74 offset:16
	ds_read_b128 v[4:7], v74 offset:32
	;; [unrolled: 1-line block ×4, first 2 shown]
	s_waitcnt lgkmcnt(4)
	v_mul_f64 v[24:25], v[16:17], v[14:15]
	v_fmac_f64_e32 v[24:25], v[18:19], v[12:13]
	v_add_f64 v[32:33], v[24:25], 0
	ds_read_b128 v[24:27], v49 offset:4608
	ds_read_b128 v[28:31], v49 offset:4864
	s_waitcnt lgkmcnt(2)
	v_mul_f64 v[34:35], v[8:9], v[22:23]
	v_fmac_f64_e32 v[34:35], v[10:11], v[20:21]
	v_add_f64 v[32:33], v[32:33], v[34:35]
	s_waitcnt lgkmcnt(1)
	v_mul_f64 v[34:35], v[4:5], v[26:27]
	v_fmac_f64_e32 v[34:35], v[6:7], v[24:25]
	v_add_f64 v[50:51], v[32:33], v[34:35]
	ds_read_b128 v[32:35], v49 offset:5120
	ds_read_b128 v[36:39], v74 offset:64
	ds_read_b128 v[40:43], v74 offset:80
	ds_read_b128 v[44:47], v49 offset:5376
	s_waitcnt lgkmcnt(4)
	v_mul_f64 v[52:53], v[0:1], v[30:31]
	v_fmac_f64_e32 v[52:53], v[2:3], v[28:29]
	v_add_f64 v[50:51], v[50:51], v[52:53]
	s_waitcnt lgkmcnt(2)
	v_mul_f64 v[52:53], v[36:37], v[34:35]
	v_fmac_f64_e32 v[52:53], v[38:39], v[32:33]
	v_add_f64 v[50:51], v[50:51], v[52:53]
	s_waitcnt lgkmcnt(0)
	v_mul_f64 v[52:53], v[40:41], v[46:47]
	v_fmac_f64_e32 v[52:53], v[42:43], v[44:45]
	v_mul_f64 v[14:15], v[18:19], v[14:15]
	v_add_f64 v[54:55], v[50:51], v[52:53]
	ds_read_b128 v[50:53], v49 offset:5632
	v_fma_f64 v[56:57], v[16:17], v[12:13], -v[14:15]
	ds_read_b128 v[12:15], v74 offset:96
	v_mul_f64 v[10:11], v[10:11], v[22:23]
	v_fma_f64 v[58:59], v[8:9], v[20:21], -v[10:11]
	ds_read_b128 v[8:11], v74 offset:112
	ds_read_b128 v[16:19], v49 offset:5888
	v_mul_f64 v[6:7], v[6:7], v[26:27]
	v_mul_f64 v[2:3], v[2:3], v[30:31]
	v_fma_f64 v[60:61], v[4:5], v[24:25], -v[6:7]
	ds_read_b128 v[4:7], v49 offset:6144
	v_fma_f64 v[64:65], v[0:1], v[28:29], -v[2:3]
	ds_read_b128 v[0:3], v74 offset:128
	s_waitcnt lgkmcnt(4)
	v_mul_f64 v[20:21], v[12:13], v[52:53]
	v_fmac_f64_e32 v[20:21], v[14:15], v[50:51]
	s_waitcnt lgkmcnt(2)
	v_mul_f64 v[62:63], v[8:9], v[18:19]
	v_add_f64 v[54:55], v[54:55], v[20:21]
	v_fmac_f64_e32 v[62:63], v[10:11], v[16:17]
	s_waitcnt lgkmcnt(0)
	v_mul_f64 v[30:31], v[0:1], v[6:7]
	v_mul_f64 v[20:21], v[38:39], v[34:35]
	v_add_f64 v[28:29], v[54:55], v[62:63]
	v_fmac_f64_e32 v[30:31], v[2:3], v[4:5]
	v_fma_f64 v[66:67], v[36:37], v[32:33], -v[20:21]
	ds_read_b128 v[20:23], v74 offset:144
	ds_read_b128 v[24:27], v49 offset:6400
	v_add_f64 v[36:37], v[28:29], v[30:31]
	v_mul_f64 v[28:29], v[42:43], v[46:47]
	v_mul_f64 v[14:15], v[14:15], v[52:53]
	v_fma_f64 v[54:55], v[40:41], v[44:45], -v[28:29]
	v_fma_f64 v[50:51], v[12:13], v[50:51], -v[14:15]
	ds_read_b128 v[12:15], v74 offset:160
	ds_read_b128 v[28:31], v74 offset:176
	;; [unrolled: 1-line block ×3, first 2 shown]
	v_mul_f64 v[10:11], v[10:11], v[18:19]
	v_fma_f64 v[52:53], v[8:9], v[16:17], -v[10:11]
	ds_read_b128 v[8:11], v49 offset:6912
	v_mul_f64 v[2:3], v[2:3], v[6:7]
	v_fma_f64 v[62:63], v[0:1], v[4:5], -v[2:3]
	ds_read_b128 v[0:3], v49 offset:7168
	ds_read_b128 v[4:7], v74 offset:192
	v_add_f64 v[56:57], v[56:57], 0
	s_waitcnt lgkmcnt(6)
	v_mul_f64 v[38:39], v[20:21], v[26:27]
	v_add_f64 v[56:57], v[56:57], v[58:59]
	v_fmac_f64_e32 v[38:39], v[22:23], v[24:25]
	s_waitcnt lgkmcnt(3)
	v_mul_f64 v[18:19], v[12:13], v[34:35]
	v_add_f64 v[56:57], v[56:57], v[60:61]
	v_add_f64 v[16:17], v[36:37], v[38:39]
	v_fmac_f64_e32 v[18:19], v[14:15], v[32:33]
	v_add_f64 v[56:57], v[56:57], v[64:65]
	v_add_f64 v[36:37], v[16:17], v[18:19]
	s_waitcnt lgkmcnt(2)
	v_mul_f64 v[38:39], v[28:29], v[10:11]
	v_mul_f64 v[16:17], v[22:23], v[26:27]
	v_add_f64 v[56:57], v[56:57], v[66:67]
	v_fmac_f64_e32 v[38:39], v[30:31], v[8:9]
	v_fma_f64 v[68:69], v[20:21], v[24:25], -v[16:17]
	ds_read_b128 v[16:19], v74 offset:208
	ds_read_b128 v[20:23], v49 offset:7424
	s_waitcnt lgkmcnt(2)
	v_mul_f64 v[26:27], v[4:5], v[2:3]
	v_add_f64 v[54:55], v[56:57], v[54:55]
	v_add_f64 v[24:25], v[36:37], v[38:39]
	v_fmac_f64_e32 v[26:27], v[6:7], v[0:1]
	v_add_f64 v[50:51], v[54:55], v[50:51]
	v_add_f64 v[70:71], v[24:25], v[26:27]
	ds_read_b128 v[24:27], v49 offset:7680
	ds_read_b128 v[36:39], v74 offset:224
	s_load_dwordx2 s[0:1], s[4:5], 0x60
	s_load_dwordx4 s[12:15], s[4:5], 0x50
	v_add_f64 v[50:51], v[50:51], v[52:53]
	v_add_f64 v[50:51], v[50:51], v[62:63]
	v_mul_f64 v[14:15], v[14:15], v[34:35]
	ds_read_b128 v[40:43], v74 offset:240
	ds_read_b128 v[44:47], v49 offset:7936
	v_add_f64 v[50:51], v[50:51], v[68:69]
	v_fma_f64 v[12:13], v[12:13], v[32:33], -v[14:15]
	v_mul_f64 v[10:11], v[30:31], v[10:11]
	s_waitcnt lgkmcnt(0)
	v_mul_f64 v[72:73], v[16:17], v[22:23]
	v_add_f64 v[12:13], v[50:51], v[12:13]
	v_fma_f64 v[8:9], v[28:29], v[8:9], -v[10:11]
	v_mul_f64 v[2:3], v[6:7], v[2:3]
	v_fmac_f64_e32 v[72:73], v[18:19], v[20:21]
	v_add_f64 v[8:9], v[12:13], v[8:9]
	v_fma_f64 v[0:1], v[4:5], v[0:1], -v[2:3]
	v_mul_f64 v[2:3], v[18:19], v[22:23]
	v_add_f64 v[70:71], v[70:71], v[72:73]
	v_mul_f64 v[72:73], v[36:37], v[26:27]
	s_mul_i32 s1, s7, s1
	s_mul_hi_u32 s4, s7, s0
	v_add_f64 v[0:1], v[8:9], v[0:1]
	v_fma_f64 v[2:3], v[16:17], v[20:21], -v[2:3]
	v_fmac_f64_e32 v[72:73], v[38:39], v[24:25]
	s_add_i32 s1, s4, s1
	s_mul_i32 s0, s7, s0
	v_add_f64 v[0:1], v[0:1], v[2:3]
	v_mul_f64 v[2:3], v[38:39], v[26:27]
	v_add_f64 v[70:71], v[70:71], v[72:73]
	v_mul_f64 v[72:73], v[40:41], v[46:47]
	s_lshl_b64 s[0:1], s[0:1], 4
	v_fma_f64 v[2:3], v[36:37], v[24:25], -v[2:3]
	v_fmac_f64_e32 v[72:73], v[42:43], v[44:45]
	s_add_u32 s4, s12, s0
	v_add_f64 v[0:1], v[0:1], v[2:3]
	v_mul_f64 v[2:3], v[42:43], v[46:47]
	v_add_f64 v[70:71], v[70:71], v[72:73]
	s_addc_u32 s5, s13, s1
	s_lshl_b64 s[0:1], s[2:3], 4
	v_fma_f64 v[2:3], v[40:41], v[44:45], -v[2:3]
	s_add_u32 s2, s4, s0
	v_add_f64 v[0:1], v[0:1], v[2:3]
	v_mul_f64 v[2:3], s[8:9], v[70:71]
	v_mul_f64 v[4:5], s[10:11], v[70:71]
	s_addc_u32 s3, s5, s1
	v_fmac_f64_e32 v[2:3], s[10:11], v[0:1]
	v_fma_f64 v[0:1], s[8:9], v[0:1], -v[4:5]
	v_mad_u64_u32 v[4:5], s[0:1], v48, s14, 0
	v_mov_b32_e32 v6, v5
	v_mad_u64_u32 v[6:7], s[0:1], v48, s15, v[6:7]
	v_mov_b32_e32 v5, v6
	v_lshlrev_b64 v[4:5], 4, v[4:5]
	v_mov_b32_e32 v6, s3
	v_add_co_u32_e32 v4, vcc, s2, v4
	v_addc_co_u32_e32 v5, vcc, v6, v5, vcc
	v_add_co_u32_e32 v4, vcc, v4, v49
	v_addc_co_u32_e32 v5, vcc, 0, v5, vcc
	global_store_dwordx4 v[4:5], v[0:3], off
.LBB138_15:
	s_endpgm
	.section	.rodata,"a",@progbits
	.p2align	6, 0x0
	.amdhsa_kernel _ZL23rocblas_trmm_rNx_kernelILi16E19rocblas_complex_numIdEPKS1_S2_S1_Ev13rocblas_fill_17rocblas_diagonal_iiT1_lPT2_llS8_llPT3_lli
		.amdhsa_group_segment_fixed_size 8192
		.amdhsa_private_segment_fixed_size 0
		.amdhsa_kernarg_size 108
		.amdhsa_user_sgpr_count 6
		.amdhsa_user_sgpr_private_segment_buffer 1
		.amdhsa_user_sgpr_dispatch_ptr 0
		.amdhsa_user_sgpr_queue_ptr 0
		.amdhsa_user_sgpr_kernarg_segment_ptr 1
		.amdhsa_user_sgpr_dispatch_id 0
		.amdhsa_user_sgpr_flat_scratch_init 0
		.amdhsa_user_sgpr_kernarg_preload_length 0
		.amdhsa_user_sgpr_kernarg_preload_offset 0
		.amdhsa_user_sgpr_private_segment_size 0
		.amdhsa_uses_dynamic_stack 0
		.amdhsa_system_sgpr_private_segment_wavefront_offset 0
		.amdhsa_system_sgpr_workgroup_id_x 1
		.amdhsa_system_sgpr_workgroup_id_y 0
		.amdhsa_system_sgpr_workgroup_id_z 1
		.amdhsa_system_sgpr_workgroup_info 0
		.amdhsa_system_vgpr_workitem_id 1
		.amdhsa_next_free_vgpr 75
		.amdhsa_next_free_sgpr 28
		.amdhsa_accum_offset 76
		.amdhsa_reserve_vcc 1
		.amdhsa_reserve_flat_scratch 0
		.amdhsa_float_round_mode_32 0
		.amdhsa_float_round_mode_16_64 0
		.amdhsa_float_denorm_mode_32 3
		.amdhsa_float_denorm_mode_16_64 3
		.amdhsa_dx10_clamp 1
		.amdhsa_ieee_mode 1
		.amdhsa_fp16_overflow 0
		.amdhsa_tg_split 0
		.amdhsa_exception_fp_ieee_invalid_op 0
		.amdhsa_exception_fp_denorm_src 0
		.amdhsa_exception_fp_ieee_div_zero 0
		.amdhsa_exception_fp_ieee_overflow 0
		.amdhsa_exception_fp_ieee_underflow 0
		.amdhsa_exception_fp_ieee_inexact 0
		.amdhsa_exception_int_div_zero 0
	.end_amdhsa_kernel
	.section	.text._ZL23rocblas_trmm_rNx_kernelILi16E19rocblas_complex_numIdEPKS1_S2_S1_Ev13rocblas_fill_17rocblas_diagonal_iiT1_lPT2_llS8_llPT3_lli,"axG",@progbits,_ZL23rocblas_trmm_rNx_kernelILi16E19rocblas_complex_numIdEPKS1_S2_S1_Ev13rocblas_fill_17rocblas_diagonal_iiT1_lPT2_llS8_llPT3_lli,comdat
.Lfunc_end138:
	.size	_ZL23rocblas_trmm_rNx_kernelILi16E19rocblas_complex_numIdEPKS1_S2_S1_Ev13rocblas_fill_17rocblas_diagonal_iiT1_lPT2_llS8_llPT3_lli, .Lfunc_end138-_ZL23rocblas_trmm_rNx_kernelILi16E19rocblas_complex_numIdEPKS1_S2_S1_Ev13rocblas_fill_17rocblas_diagonal_iiT1_lPT2_llS8_llPT3_lli
                                        ; -- End function
	.section	.AMDGPU.csdata,"",@progbits
; Kernel info:
; codeLenInByte = 1824
; NumSgprs: 32
; NumVgprs: 75
; NumAgprs: 0
; TotalNumVgprs: 75
; ScratchSize: 0
; MemoryBound: 0
; FloatMode: 240
; IeeeMode: 1
; LDSByteSize: 8192 bytes/workgroup (compile time only)
; SGPRBlocks: 3
; VGPRBlocks: 9
; NumSGPRsForWavesPerEU: 32
; NumVGPRsForWavesPerEU: 75
; AccumOffset: 76
; Occupancy: 6
; WaveLimiterHint : 0
; COMPUTE_PGM_RSRC2:SCRATCH_EN: 0
; COMPUTE_PGM_RSRC2:USER_SGPR: 6
; COMPUTE_PGM_RSRC2:TRAP_HANDLER: 0
; COMPUTE_PGM_RSRC2:TGID_X_EN: 1
; COMPUTE_PGM_RSRC2:TGID_Y_EN: 0
; COMPUTE_PGM_RSRC2:TGID_Z_EN: 1
; COMPUTE_PGM_RSRC2:TIDIG_COMP_CNT: 1
; COMPUTE_PGM_RSRC3_GFX90A:ACCUM_OFFSET: 18
; COMPUTE_PGM_RSRC3_GFX90A:TG_SPLIT: 0
	.section	.text._ZL23rocblas_trmm_rNx_kernelILi16E19rocblas_complex_numIdES1_KS1_S1_Ev13rocblas_fill_17rocblas_diagonal_iiT1_lPT2_llS7_llPT3_lli,"axG",@progbits,_ZL23rocblas_trmm_rNx_kernelILi16E19rocblas_complex_numIdES1_KS1_S1_Ev13rocblas_fill_17rocblas_diagonal_iiT1_lPT2_llS7_llPT3_lli,comdat
	.globl	_ZL23rocblas_trmm_rNx_kernelILi16E19rocblas_complex_numIdES1_KS1_S1_Ev13rocblas_fill_17rocblas_diagonal_iiT1_lPT2_llS7_llPT3_lli ; -- Begin function _ZL23rocblas_trmm_rNx_kernelILi16E19rocblas_complex_numIdES1_KS1_S1_Ev13rocblas_fill_17rocblas_diagonal_iiT1_lPT2_llS7_llPT3_lli
	.p2align	8
	.type	_ZL23rocblas_trmm_rNx_kernelILi16E19rocblas_complex_numIdES1_KS1_S1_Ev13rocblas_fill_17rocblas_diagonal_iiT1_lPT2_llS7_llPT3_lli,@function
_ZL23rocblas_trmm_rNx_kernelILi16E19rocblas_complex_numIdES1_KS1_S1_Ev13rocblas_fill_17rocblas_diagonal_iiT1_lPT2_llS7_llPT3_lli: ; @_ZL23rocblas_trmm_rNx_kernelILi16E19rocblas_complex_numIdES1_KS1_S1_Ev13rocblas_fill_17rocblas_diagonal_iiT1_lPT2_llS7_llPT3_lli
; %bb.0:
	s_load_dwordx4 s[24:27], s[4:5], 0x10
	s_waitcnt lgkmcnt(0)
	v_cmp_neq_f64_e64 s[0:1], s[24:25], 0
	v_cmp_neq_f64_e64 s[2:3], s[26:27], 0
	s_or_b64 s[0:1], s[0:1], s[2:3]
	s_andn2_b64 vcc, exec, s[0:1]
	s_cbranch_vccnz .LBB139_15
; %bb.1:
	s_load_dwordx4 s[28:31], s[4:5], 0x0
	s_load_dwordx16 s[8:23], s[4:5], 0x28
	s_mov_b32 s0, 0
	s_mov_b32 s2, s0
	;; [unrolled: 1-line block ×3, first 2 shown]
	v_and_b32_e32 v2, 0x3ff, v0
	v_bfe_u32 v48, v0, 10, 10
	s_mov_b32 s1, s0
	v_pk_mov_b32 v[6:7], s[2:3], s[2:3] op_sel:[0,1]
	v_lshlrev_b32_e32 v0, 4, v48
	v_pk_mov_b32 v[4:5], s[0:1], s[0:1] op_sel:[0,1]
	s_waitcnt lgkmcnt(0)
	v_cmp_gt_i32_e32 vcc, s31, v48
	v_cmp_gt_i32_e64 s[0:1], s31, v2
	v_add_lshl_u32 v1, v0, v2, 4
	s_and_b64 s[0:1], vcc, s[0:1]
	v_lshlrev_b32_e32 v49, 4, v2
	ds_write_b128 v1, v[4:7]
	ds_write_b128 v1, v[4:7] offset:4096
	s_and_saveexec_b64 s[2:3], s[0:1]
	s_cbranch_execz .LBB139_3
; %bb.2:
	s_mul_i32 s0, s7, s13
	s_mul_hi_u32 s1, s7, s12
	s_add_i32 s1, s1, s0
	s_mul_i32 s0, s7, s12
	s_lshl_b64 s[0:1], s[0:1], 4
	s_add_u32 s8, s8, s0
	s_addc_u32 s9, s9, s1
	v_mad_u64_u32 v[4:5], s[0:1], v48, s10, 0
	v_mov_b32_e32 v6, v5
	v_mad_u64_u32 v[6:7], s[0:1], v48, s11, v[6:7]
	v_mov_b32_e32 v5, v6
	v_lshlrev_b64 v[4:5], 4, v[4:5]
	v_mov_b32_e32 v3, s9
	v_add_co_u32_e64 v4, s[0:1], s8, v4
	v_addc_co_u32_e64 v3, s[0:1], v3, v5, s[0:1]
	v_add_co_u32_e64 v4, s[0:1], v4, v49
	v_addc_co_u32_e64 v5, s[0:1], 0, v3, s[0:1]
	global_load_dwordx4 v[4:7], v[4:5], off
	s_waitcnt vmcnt(0)
	ds_write2_b64 v1, v[4:5], v[6:7] offset1:1
.LBB139_3:
	s_or_b64 exec, exec, s[2:3]
	s_add_i32 s0, s30, -1
	s_ashr_i32 s1, s0, 31
	s_lshr_b32 s1, s1, 28
	s_add_i32 s0, s0, s1
	s_ashr_i32 s1, s0, 4
	s_and_b32 s0, s0, -16
	s_sub_i32 s0, s30, s0
	s_cmp_ge_i32 s6, s1
	s_cselect_b32 s0, s0, 16
	s_lshl_b32 s2, s6, 4
	v_cmp_gt_i32_e64 s[0:1], s0, v2
	s_ashr_i32 s3, s2, 31
	s_and_b64 s[0:1], vcc, s[0:1]
	s_and_saveexec_b64 s[8:9], s[0:1]
	s_cbranch_execz .LBB139_5
; %bb.4:
	s_mul_i32 s6, s7, s19
	s_mul_hi_u32 s10, s7, s18
	s_add_i32 s11, s10, s6
	s_mul_i32 s10, s7, s18
	s_lshl_b64 s[10:11], s[10:11], 4
	s_add_u32 s6, s14, s10
	s_addc_u32 s12, s15, s11
	s_lshl_b64 s[10:11], s[2:3], 4
	s_add_u32 s6, s6, s10
	s_addc_u32 s12, s12, s11
	v_mad_u64_u32 v[4:5], s[10:11], v48, s16, 0
	v_mov_b32_e32 v6, v5
	v_mad_u64_u32 v[6:7], s[10:11], v48, s17, v[6:7]
	v_mov_b32_e32 v5, v6
	v_lshlrev_b64 v[4:5], 4, v[4:5]
	v_mov_b32_e32 v3, s12
	v_add_co_u32_e32 v4, vcc, s6, v4
	v_addc_co_u32_e32 v3, vcc, v3, v5, vcc
	v_add_co_u32_e32 v4, vcc, v4, v49
	v_addc_co_u32_e32 v5, vcc, 0, v3, vcc
	global_load_dwordx4 v[4:7], v[4:5], off
	v_add_u32_e32 v3, 0x1000, v1
	s_waitcnt vmcnt(0)
	ds_write2_b64 v3, v[4:5], v[6:7] offset1:1
.LBB139_5:
	s_or_b64 exec, exec, s[8:9]
	s_cmpk_eq_i32 s29, 0x84
	s_cselect_b64 s[8:9], -1, 0
	v_cmp_eq_u32_e32 vcc, v48, v2
	s_and_b64 s[10:11], vcc, s[8:9]
	s_and_saveexec_b64 s[8:9], s[10:11]
	s_cbranch_execz .LBB139_7
; %bb.6:
	v_mov_b32_e32 v4, 0
	v_mov_b32_e32 v5, 0x3ff00000
	;; [unrolled: 1-line block ×4, first 2 shown]
	ds_write_b128 v1, v[4:7]
.LBB139_7:
	s_or_b64 exec, exec, s[8:9]
	s_cmpk_lg_i32 s28, 0x79
	s_cbranch_scc0 .LBB139_9
; %bb.8:
	v_cmp_lt_u32_e32 vcc, v2, v48
	s_and_b64 s[8:9], vcc, exec
	s_cbranch_execz .LBB139_10
	s_branch .LBB139_11
.LBB139_9:
	s_mov_b64 s[8:9], 0
.LBB139_10:
	v_cmp_gt_u32_e32 vcc, v2, v48
	s_andn2_b64 s[8:9], s[8:9], exec
	s_and_b64 s[10:11], vcc, exec
	s_or_b64 s[8:9], s[8:9], s[10:11]
.LBB139_11:
	s_and_saveexec_b64 s[10:11], s[8:9]
	s_cbranch_execz .LBB139_13
; %bb.12:
	v_mov_b32_e32 v2, 0
	v_mov_b32_e32 v3, v2
	v_mov_b32_e32 v4, v2
	v_mov_b32_e32 v5, v2
	ds_write_b128 v1, v[2:5]
.LBB139_13:
	s_or_b64 exec, exec, s[10:11]
	s_waitcnt lgkmcnt(0)
	s_barrier
	s_and_saveexec_b64 s[8:9], s[0:1]
	s_cbranch_execz .LBB139_15
; %bb.14:
	v_lshlrev_b32_e32 v74, 4, v0
	ds_read_b128 v[12:15], v49 offset:4096
	ds_read_b128 v[16:19], v74
	ds_read_b128 v[8:11], v74 offset:16
	ds_read_b128 v[4:7], v74 offset:32
	;; [unrolled: 1-line block ×4, first 2 shown]
	s_waitcnt lgkmcnt(4)
	v_mul_f64 v[24:25], v[16:17], v[14:15]
	v_fmac_f64_e32 v[24:25], v[18:19], v[12:13]
	v_add_f64 v[32:33], v[24:25], 0
	ds_read_b128 v[24:27], v49 offset:4608
	ds_read_b128 v[28:31], v49 offset:4864
	s_waitcnt lgkmcnt(2)
	v_mul_f64 v[34:35], v[8:9], v[22:23]
	v_fmac_f64_e32 v[34:35], v[10:11], v[20:21]
	v_add_f64 v[32:33], v[32:33], v[34:35]
	s_waitcnt lgkmcnt(1)
	v_mul_f64 v[34:35], v[4:5], v[26:27]
	v_fmac_f64_e32 v[34:35], v[6:7], v[24:25]
	v_add_f64 v[50:51], v[32:33], v[34:35]
	ds_read_b128 v[32:35], v49 offset:5120
	ds_read_b128 v[36:39], v74 offset:64
	;; [unrolled: 1-line block ×4, first 2 shown]
	s_waitcnt lgkmcnt(4)
	v_mul_f64 v[52:53], v[0:1], v[30:31]
	v_fmac_f64_e32 v[52:53], v[2:3], v[28:29]
	v_add_f64 v[50:51], v[50:51], v[52:53]
	s_waitcnt lgkmcnt(2)
	v_mul_f64 v[52:53], v[36:37], v[34:35]
	v_fmac_f64_e32 v[52:53], v[38:39], v[32:33]
	v_add_f64 v[50:51], v[50:51], v[52:53]
	s_waitcnt lgkmcnt(0)
	v_mul_f64 v[52:53], v[40:41], v[46:47]
	v_fmac_f64_e32 v[52:53], v[42:43], v[44:45]
	v_mul_f64 v[14:15], v[18:19], v[14:15]
	v_add_f64 v[54:55], v[50:51], v[52:53]
	ds_read_b128 v[50:53], v49 offset:5632
	v_fma_f64 v[56:57], v[16:17], v[12:13], -v[14:15]
	ds_read_b128 v[12:15], v74 offset:96
	v_mul_f64 v[10:11], v[10:11], v[22:23]
	v_fma_f64 v[58:59], v[8:9], v[20:21], -v[10:11]
	ds_read_b128 v[8:11], v74 offset:112
	ds_read_b128 v[16:19], v49 offset:5888
	v_mul_f64 v[6:7], v[6:7], v[26:27]
	v_mul_f64 v[2:3], v[2:3], v[30:31]
	v_fma_f64 v[60:61], v[4:5], v[24:25], -v[6:7]
	ds_read_b128 v[4:7], v49 offset:6144
	v_fma_f64 v[64:65], v[0:1], v[28:29], -v[2:3]
	ds_read_b128 v[0:3], v74 offset:128
	s_waitcnt lgkmcnt(4)
	v_mul_f64 v[20:21], v[12:13], v[52:53]
	v_fmac_f64_e32 v[20:21], v[14:15], v[50:51]
	s_waitcnt lgkmcnt(2)
	v_mul_f64 v[62:63], v[8:9], v[18:19]
	v_add_f64 v[54:55], v[54:55], v[20:21]
	v_fmac_f64_e32 v[62:63], v[10:11], v[16:17]
	s_waitcnt lgkmcnt(0)
	v_mul_f64 v[30:31], v[0:1], v[6:7]
	v_mul_f64 v[20:21], v[38:39], v[34:35]
	v_add_f64 v[28:29], v[54:55], v[62:63]
	v_fmac_f64_e32 v[30:31], v[2:3], v[4:5]
	v_fma_f64 v[66:67], v[36:37], v[32:33], -v[20:21]
	ds_read_b128 v[20:23], v74 offset:144
	ds_read_b128 v[24:27], v49 offset:6400
	v_add_f64 v[36:37], v[28:29], v[30:31]
	v_mul_f64 v[28:29], v[42:43], v[46:47]
	v_mul_f64 v[14:15], v[14:15], v[52:53]
	v_fma_f64 v[54:55], v[40:41], v[44:45], -v[28:29]
	v_fma_f64 v[50:51], v[12:13], v[50:51], -v[14:15]
	ds_read_b128 v[12:15], v74 offset:160
	ds_read_b128 v[28:31], v74 offset:176
	;; [unrolled: 1-line block ×3, first 2 shown]
	v_mul_f64 v[10:11], v[10:11], v[18:19]
	v_fma_f64 v[52:53], v[8:9], v[16:17], -v[10:11]
	ds_read_b128 v[8:11], v49 offset:6912
	v_mul_f64 v[2:3], v[2:3], v[6:7]
	v_fma_f64 v[62:63], v[0:1], v[4:5], -v[2:3]
	ds_read_b128 v[0:3], v49 offset:7168
	ds_read_b128 v[4:7], v74 offset:192
	v_add_f64 v[56:57], v[56:57], 0
	s_waitcnt lgkmcnt(6)
	v_mul_f64 v[38:39], v[20:21], v[26:27]
	v_add_f64 v[56:57], v[56:57], v[58:59]
	v_fmac_f64_e32 v[38:39], v[22:23], v[24:25]
	s_waitcnt lgkmcnt(3)
	v_mul_f64 v[18:19], v[12:13], v[34:35]
	v_add_f64 v[56:57], v[56:57], v[60:61]
	v_add_f64 v[16:17], v[36:37], v[38:39]
	v_fmac_f64_e32 v[18:19], v[14:15], v[32:33]
	v_add_f64 v[56:57], v[56:57], v[64:65]
	v_add_f64 v[36:37], v[16:17], v[18:19]
	s_waitcnt lgkmcnt(2)
	v_mul_f64 v[38:39], v[28:29], v[10:11]
	v_mul_f64 v[16:17], v[22:23], v[26:27]
	v_add_f64 v[56:57], v[56:57], v[66:67]
	v_fmac_f64_e32 v[38:39], v[30:31], v[8:9]
	v_fma_f64 v[68:69], v[20:21], v[24:25], -v[16:17]
	ds_read_b128 v[16:19], v74 offset:208
	ds_read_b128 v[20:23], v49 offset:7424
	s_waitcnt lgkmcnt(2)
	v_mul_f64 v[26:27], v[4:5], v[2:3]
	v_add_f64 v[54:55], v[56:57], v[54:55]
	v_add_f64 v[24:25], v[36:37], v[38:39]
	v_fmac_f64_e32 v[26:27], v[6:7], v[0:1]
	v_add_f64 v[50:51], v[54:55], v[50:51]
	v_add_f64 v[70:71], v[24:25], v[26:27]
	ds_read_b128 v[24:27], v49 offset:7680
	ds_read_b128 v[36:39], v74 offset:224
	s_load_dwordx2 s[0:1], s[4:5], 0x68
	v_add_f64 v[50:51], v[50:51], v[52:53]
	v_add_f64 v[50:51], v[50:51], v[62:63]
	v_mul_f64 v[14:15], v[14:15], v[34:35]
	ds_read_b128 v[40:43], v74 offset:240
	ds_read_b128 v[44:47], v49 offset:7936
	v_add_f64 v[50:51], v[50:51], v[68:69]
	v_fma_f64 v[12:13], v[12:13], v[32:33], -v[14:15]
	v_mul_f64 v[10:11], v[30:31], v[10:11]
	s_waitcnt lgkmcnt(0)
	v_mul_f64 v[72:73], v[16:17], v[22:23]
	v_add_f64 v[12:13], v[50:51], v[12:13]
	v_fma_f64 v[8:9], v[28:29], v[8:9], -v[10:11]
	v_mul_f64 v[2:3], v[6:7], v[2:3]
	v_fmac_f64_e32 v[72:73], v[18:19], v[20:21]
	v_add_f64 v[8:9], v[12:13], v[8:9]
	v_fma_f64 v[0:1], v[4:5], v[0:1], -v[2:3]
	v_mul_f64 v[2:3], v[18:19], v[22:23]
	v_add_f64 v[70:71], v[70:71], v[72:73]
	v_mul_f64 v[72:73], v[36:37], v[26:27]
	s_mul_i32 s1, s7, s1
	s_mul_hi_u32 s4, s7, s0
	v_add_f64 v[0:1], v[8:9], v[0:1]
	v_fma_f64 v[2:3], v[16:17], v[20:21], -v[2:3]
	v_fmac_f64_e32 v[72:73], v[38:39], v[24:25]
	s_add_i32 s1, s4, s1
	s_mul_i32 s0, s7, s0
	v_add_f64 v[0:1], v[0:1], v[2:3]
	v_mul_f64 v[2:3], v[38:39], v[26:27]
	v_add_f64 v[70:71], v[70:71], v[72:73]
	v_mul_f64 v[72:73], v[40:41], v[46:47]
	s_lshl_b64 s[0:1], s[0:1], 4
	v_fma_f64 v[2:3], v[36:37], v[24:25], -v[2:3]
	v_fmac_f64_e32 v[72:73], v[42:43], v[44:45]
	s_add_u32 s4, s20, s0
	v_add_f64 v[0:1], v[0:1], v[2:3]
	v_mul_f64 v[2:3], v[42:43], v[46:47]
	v_add_f64 v[70:71], v[70:71], v[72:73]
	s_addc_u32 s5, s21, s1
	s_lshl_b64 s[0:1], s[2:3], 4
	v_fma_f64 v[2:3], v[40:41], v[44:45], -v[2:3]
	s_add_u32 s2, s4, s0
	v_add_f64 v[0:1], v[0:1], v[2:3]
	v_mul_f64 v[2:3], s[24:25], v[70:71]
	v_mul_f64 v[4:5], s[26:27], v[70:71]
	s_addc_u32 s3, s5, s1
	v_fmac_f64_e32 v[2:3], s[26:27], v[0:1]
	v_fma_f64 v[0:1], s[24:25], v[0:1], -v[4:5]
	v_mad_u64_u32 v[4:5], s[0:1], v48, s22, 0
	v_mov_b32_e32 v6, v5
	v_mad_u64_u32 v[6:7], s[0:1], v48, s23, v[6:7]
	v_mov_b32_e32 v5, v6
	v_lshlrev_b64 v[4:5], 4, v[4:5]
	v_mov_b32_e32 v6, s3
	v_add_co_u32_e32 v4, vcc, s2, v4
	v_addc_co_u32_e32 v5, vcc, v6, v5, vcc
	v_add_co_u32_e32 v4, vcc, v4, v49
	v_addc_co_u32_e32 v5, vcc, 0, v5, vcc
	global_store_dwordx4 v[4:5], v[0:3], off
.LBB139_15:
	s_endpgm
	.section	.rodata,"a",@progbits
	.p2align	6, 0x0
	.amdhsa_kernel _ZL23rocblas_trmm_rNx_kernelILi16E19rocblas_complex_numIdES1_KS1_S1_Ev13rocblas_fill_17rocblas_diagonal_iiT1_lPT2_llS7_llPT3_lli
		.amdhsa_group_segment_fixed_size 8192
		.amdhsa_private_segment_fixed_size 0
		.amdhsa_kernarg_size 116
		.amdhsa_user_sgpr_count 6
		.amdhsa_user_sgpr_private_segment_buffer 1
		.amdhsa_user_sgpr_dispatch_ptr 0
		.amdhsa_user_sgpr_queue_ptr 0
		.amdhsa_user_sgpr_kernarg_segment_ptr 1
		.amdhsa_user_sgpr_dispatch_id 0
		.amdhsa_user_sgpr_flat_scratch_init 0
		.amdhsa_user_sgpr_kernarg_preload_length 0
		.amdhsa_user_sgpr_kernarg_preload_offset 0
		.amdhsa_user_sgpr_private_segment_size 0
		.amdhsa_uses_dynamic_stack 0
		.amdhsa_system_sgpr_private_segment_wavefront_offset 0
		.amdhsa_system_sgpr_workgroup_id_x 1
		.amdhsa_system_sgpr_workgroup_id_y 0
		.amdhsa_system_sgpr_workgroup_id_z 1
		.amdhsa_system_sgpr_workgroup_info 0
		.amdhsa_system_vgpr_workitem_id 1
		.amdhsa_next_free_vgpr 75
		.amdhsa_next_free_sgpr 32
		.amdhsa_accum_offset 76
		.amdhsa_reserve_vcc 1
		.amdhsa_reserve_flat_scratch 0
		.amdhsa_float_round_mode_32 0
		.amdhsa_float_round_mode_16_64 0
		.amdhsa_float_denorm_mode_32 3
		.amdhsa_float_denorm_mode_16_64 3
		.amdhsa_dx10_clamp 1
		.amdhsa_ieee_mode 1
		.amdhsa_fp16_overflow 0
		.amdhsa_tg_split 0
		.amdhsa_exception_fp_ieee_invalid_op 0
		.amdhsa_exception_fp_denorm_src 0
		.amdhsa_exception_fp_ieee_div_zero 0
		.amdhsa_exception_fp_ieee_overflow 0
		.amdhsa_exception_fp_ieee_underflow 0
		.amdhsa_exception_fp_ieee_inexact 0
		.amdhsa_exception_int_div_zero 0
	.end_amdhsa_kernel
	.section	.text._ZL23rocblas_trmm_rNx_kernelILi16E19rocblas_complex_numIdES1_KS1_S1_Ev13rocblas_fill_17rocblas_diagonal_iiT1_lPT2_llS7_llPT3_lli,"axG",@progbits,_ZL23rocblas_trmm_rNx_kernelILi16E19rocblas_complex_numIdES1_KS1_S1_Ev13rocblas_fill_17rocblas_diagonal_iiT1_lPT2_llS7_llPT3_lli,comdat
.Lfunc_end139:
	.size	_ZL23rocblas_trmm_rNx_kernelILi16E19rocblas_complex_numIdES1_KS1_S1_Ev13rocblas_fill_17rocblas_diagonal_iiT1_lPT2_llS7_llPT3_lli, .Lfunc_end139-_ZL23rocblas_trmm_rNx_kernelILi16E19rocblas_complex_numIdES1_KS1_S1_Ev13rocblas_fill_17rocblas_diagonal_iiT1_lPT2_llS7_llPT3_lli
                                        ; -- End function
	.section	.AMDGPU.csdata,"",@progbits
; Kernel info:
; codeLenInByte = 1784
; NumSgprs: 36
; NumVgprs: 75
; NumAgprs: 0
; TotalNumVgprs: 75
; ScratchSize: 0
; MemoryBound: 0
; FloatMode: 240
; IeeeMode: 1
; LDSByteSize: 8192 bytes/workgroup (compile time only)
; SGPRBlocks: 4
; VGPRBlocks: 9
; NumSGPRsForWavesPerEU: 36
; NumVGPRsForWavesPerEU: 75
; AccumOffset: 76
; Occupancy: 6
; WaveLimiterHint : 0
; COMPUTE_PGM_RSRC2:SCRATCH_EN: 0
; COMPUTE_PGM_RSRC2:USER_SGPR: 6
; COMPUTE_PGM_RSRC2:TRAP_HANDLER: 0
; COMPUTE_PGM_RSRC2:TGID_X_EN: 1
; COMPUTE_PGM_RSRC2:TGID_Y_EN: 0
; COMPUTE_PGM_RSRC2:TGID_Z_EN: 1
; COMPUTE_PGM_RSRC2:TIDIG_COMP_CNT: 1
; COMPUTE_PGM_RSRC3_GFX90A:ACCUM_OFFSET: 18
; COMPUTE_PGM_RSRC3_GFX90A:TG_SPLIT: 0
	.section	.text._ZL23rocblas_trmm_rTx_kernelILi16ELb0E19rocblas_complex_numIdEPKS1_S2_S1_Ev13rocblas_fill_17rocblas_diagonal_iiT2_lPT3_llS8_llPT4_lli,"axG",@progbits,_ZL23rocblas_trmm_rTx_kernelILi16ELb0E19rocblas_complex_numIdEPKS1_S2_S1_Ev13rocblas_fill_17rocblas_diagonal_iiT2_lPT3_llS8_llPT4_lli,comdat
	.globl	_ZL23rocblas_trmm_rTx_kernelILi16ELb0E19rocblas_complex_numIdEPKS1_S2_S1_Ev13rocblas_fill_17rocblas_diagonal_iiT2_lPT3_llS8_llPT4_lli ; -- Begin function _ZL23rocblas_trmm_rTx_kernelILi16ELb0E19rocblas_complex_numIdEPKS1_S2_S1_Ev13rocblas_fill_17rocblas_diagonal_iiT2_lPT3_llS8_llPT4_lli
	.p2align	8
	.type	_ZL23rocblas_trmm_rTx_kernelILi16ELb0E19rocblas_complex_numIdEPKS1_S2_S1_Ev13rocblas_fill_17rocblas_diagonal_iiT2_lPT3_llS8_llPT4_lli,@function
_ZL23rocblas_trmm_rTx_kernelILi16ELb0E19rocblas_complex_numIdEPKS1_S2_S1_Ev13rocblas_fill_17rocblas_diagonal_iiT2_lPT3_llS8_llPT4_lli: ; @_ZL23rocblas_trmm_rTx_kernelILi16ELb0E19rocblas_complex_numIdEPKS1_S2_S1_Ev13rocblas_fill_17rocblas_diagonal_iiT2_lPT3_llS8_llPT4_lli
; %bb.0:
	s_load_dwordx16 s[8:23], s[4:5], 0x10
	s_waitcnt lgkmcnt(0)
	s_mul_i32 s0, s7, s11
	s_mul_hi_u32 s1, s7, s10
	s_add_i32 s1, s1, s0
	s_mul_i32 s0, s7, s10
	s_lshl_b64 s[0:1], s[0:1], 4
	s_add_u32 s0, s8, s0
	s_addc_u32 s1, s9, s1
	s_load_dwordx4 s[8:11], s[0:1], 0x0
	s_waitcnt lgkmcnt(0)
	v_cmp_neq_f64_e64 s[0:1], s[8:9], 0
	v_cmp_neq_f64_e64 s[2:3], s[10:11], 0
	s_or_b64 s[0:1], s[0:1], s[2:3]
	s_andn2_b64 vcc, exec, s[0:1]
	s_cbranch_vccnz .LBB140_15
; %bb.1:
	s_load_dwordx4 s[24:27], s[4:5], 0x0
	s_mov_b32 s0, 0
	s_mov_b32 s2, s0
	;; [unrolled: 1-line block ×3, first 2 shown]
	v_and_b32_e32 v1, 0x3ff, v0
	v_bfe_u32 v48, v0, 10, 10
	s_mov_b32 s1, s0
	v_pk_mov_b32 v[4:5], s[2:3], s[2:3] op_sel:[0,1]
	v_lshlrev_b32_e32 v50, 4, v48
	v_pk_mov_b32 v[2:3], s[0:1], s[0:1] op_sel:[0,1]
	s_waitcnt lgkmcnt(0)
	v_cmp_gt_i32_e32 vcc, s27, v48
	v_cmp_gt_i32_e64 s[0:1], s27, v1
	v_add_lshl_u32 v0, v50, v1, 4
	s_and_b64 s[0:1], vcc, s[0:1]
	v_lshlrev_b32_e32 v49, 4, v1
	ds_write_b128 v0, v[2:5]
	ds_write_b128 v0, v[2:5] offset:4096
	s_and_saveexec_b64 s[2:3], s[0:1]
	s_cbranch_execz .LBB140_3
; %bb.2:
	s_mul_i32 s0, s7, s17
	s_mul_hi_u32 s1, s7, s16
	s_add_i32 s1, s1, s0
	s_mul_i32 s0, s7, s16
	s_lshl_b64 s[0:1], s[0:1], 4
	s_add_u32 s12, s12, s0
	s_addc_u32 s13, s13, s1
	v_mad_u64_u32 v[2:3], s[0:1], v48, s14, 0
	v_mov_b32_e32 v4, v3
	v_mad_u64_u32 v[4:5], s[0:1], v48, s15, v[4:5]
	v_mov_b32_e32 v3, v4
	v_lshlrev_b64 v[2:3], 4, v[2:3]
	v_mov_b32_e32 v4, s13
	v_add_co_u32_e64 v2, s[0:1], s12, v2
	v_addc_co_u32_e64 v3, s[0:1], v4, v3, s[0:1]
	v_add_co_u32_e64 v2, s[0:1], v2, v49
	v_addc_co_u32_e64 v3, s[0:1], 0, v3, s[0:1]
	global_load_dwordx4 v[2:5], v[2:3], off
	s_waitcnt vmcnt(0)
	ds_write2_b64 v0, v[2:3], v[4:5] offset1:1
.LBB140_3:
	s_or_b64 exec, exec, s[2:3]
	s_add_i32 s0, s26, -1
	s_ashr_i32 s1, s0, 31
	s_lshr_b32 s1, s1, 28
	s_add_i32 s0, s0, s1
	s_ashr_i32 s1, s0, 4
	s_and_b32 s0, s0, -16
	s_sub_i32 s0, s26, s0
	s_cmp_ge_i32 s6, s1
	s_cselect_b32 s0, s0, 16
	s_lshl_b32 s2, s6, 4
	v_cmp_gt_i32_e64 s[0:1], s0, v1
	s_ashr_i32 s3, s2, 31
	s_and_b64 s[0:1], vcc, s[0:1]
	s_and_saveexec_b64 s[12:13], s[0:1]
	s_cbranch_execz .LBB140_5
; %bb.4:
	s_mul_i32 s6, s7, s23
	s_mul_hi_u32 s14, s7, s22
	s_add_i32 s15, s14, s6
	s_mul_i32 s14, s7, s22
	s_lshl_b64 s[14:15], s[14:15], 4
	s_add_u32 s6, s18, s14
	s_addc_u32 s16, s19, s15
	s_lshl_b64 s[14:15], s[2:3], 4
	s_add_u32 s6, s6, s14
	s_addc_u32 s16, s16, s15
	v_mad_u64_u32 v[2:3], s[14:15], v48, s20, 0
	v_mov_b32_e32 v4, v3
	v_mad_u64_u32 v[4:5], s[14:15], v48, s21, v[4:5]
	v_mov_b32_e32 v3, v4
	v_lshlrev_b64 v[2:3], 4, v[2:3]
	v_mov_b32_e32 v4, s16
	v_add_co_u32_e32 v2, vcc, s6, v2
	v_addc_co_u32_e32 v3, vcc, v4, v3, vcc
	v_add_co_u32_e32 v2, vcc, v2, v49
	v_addc_co_u32_e32 v3, vcc, 0, v3, vcc
	global_load_dwordx4 v[2:5], v[2:3], off
	v_add_u32_e32 v6, 0x1000, v0
	s_waitcnt vmcnt(0)
	ds_write2_b64 v6, v[2:3], v[4:5] offset1:1
.LBB140_5:
	s_or_b64 exec, exec, s[12:13]
	s_cmpk_eq_i32 s25, 0x84
	s_cselect_b64 s[12:13], -1, 0
	v_cmp_eq_u32_e32 vcc, v48, v1
	s_and_b64 s[14:15], vcc, s[12:13]
	s_and_saveexec_b64 s[12:13], s[14:15]
	s_cbranch_execz .LBB140_7
; %bb.6:
	v_mov_b32_e32 v2, 0
	v_mov_b32_e32 v3, 0x3ff00000
	;; [unrolled: 1-line block ×4, first 2 shown]
	ds_write_b128 v0, v[2:5]
.LBB140_7:
	s_or_b64 exec, exec, s[12:13]
	s_cmpk_lg_i32 s24, 0x79
	s_cbranch_scc0 .LBB140_9
; %bb.8:
	v_cmp_lt_u32_e32 vcc, v1, v48
	s_and_b64 s[12:13], vcc, exec
	s_cbranch_execz .LBB140_10
	s_branch .LBB140_11
.LBB140_9:
	s_mov_b64 s[12:13], 0
.LBB140_10:
	v_cmp_gt_u32_e32 vcc, v1, v48
	s_andn2_b64 s[12:13], s[12:13], exec
	s_and_b64 s[14:15], vcc, exec
	s_or_b64 s[12:13], s[12:13], s[14:15]
.LBB140_11:
	s_and_saveexec_b64 s[14:15], s[12:13]
	s_cbranch_execz .LBB140_13
; %bb.12:
	v_mov_b32_e32 v2, 0
	v_mov_b32_e32 v3, v2
	v_mov_b32_e32 v4, v2
	v_mov_b32_e32 v5, v2
	ds_write_b128 v0, v[2:5]
.LBB140_13:
	s_or_b64 exec, exec, s[14:15]
	s_waitcnt lgkmcnt(0)
	s_barrier
	s_and_saveexec_b64 s[12:13], s[0:1]
	s_cbranch_execz .LBB140_15
; %bb.14:
	ds_read_b128 v[0:3], v50
	ds_read_b128 v[4:7], v50 offset:256
	ds_read_b128 v[8:11], v49 offset:4096
	;; [unrolled: 1-line block ×3, first 2 shown]
	s_load_dwordx2 s[0:1], s[4:5], 0x60
	s_load_dwordx4 s[12:15], s[4:5], 0x50
	s_waitcnt lgkmcnt(0)
	v_mul_f64 v[16:17], v[0:1], v[10:11]
	v_fmac_f64_e32 v[16:17], v[2:3], v[8:9]
	v_add_f64 v[34:35], v[16:17], 0
	ds_read_b128 v[16:19], v49 offset:4608
	ds_read_b128 v[20:23], v50 offset:512
	v_mul_f64 v[32:33], v[4:5], v[14:15]
	v_fmac_f64_e32 v[32:33], v[6:7], v[12:13]
	ds_read_b128 v[24:27], v50 offset:768
	ds_read_b128 v[28:31], v49 offset:4864
	v_add_f64 v[32:33], v[34:35], v[32:33]
	s_waitcnt lgkmcnt(2)
	v_mul_f64 v[34:35], v[20:21], v[18:19]
	v_fmac_f64_e32 v[34:35], v[22:23], v[16:17]
	v_add_f64 v[52:53], v[32:33], v[34:35]
	ds_read_b128 v[32:35], v49 offset:5120
	ds_read_b128 v[36:39], v50 offset:1024
	;; [unrolled: 1-line block ×4, first 2 shown]
	s_waitcnt lgkmcnt(4)
	v_mul_f64 v[54:55], v[24:25], v[30:31]
	v_fmac_f64_e32 v[54:55], v[26:27], v[28:29]
	v_add_f64 v[52:53], v[52:53], v[54:55]
	s_waitcnt lgkmcnt(2)
	v_mul_f64 v[54:55], v[36:37], v[34:35]
	v_fmac_f64_e32 v[54:55], v[38:39], v[32:33]
	v_add_f64 v[52:53], v[52:53], v[54:55]
	s_waitcnt lgkmcnt(0)
	v_mul_f64 v[54:55], v[40:41], v[46:47]
	v_fmac_f64_e32 v[54:55], v[42:43], v[44:45]
	v_mul_f64 v[2:3], v[2:3], v[10:11]
	v_add_f64 v[56:57], v[52:53], v[54:55]
	ds_read_b128 v[52:55], v49 offset:5632
	v_fma_f64 v[58:59], v[0:1], v[8:9], -v[2:3]
	ds_read_b128 v[0:3], v50 offset:1536
	v_mul_f64 v[6:7], v[6:7], v[14:15]
	v_fma_f64 v[60:61], v[4:5], v[12:13], -v[6:7]
	ds_read_b128 v[4:7], v50 offset:1792
	ds_read_b128 v[8:11], v49 offset:5888
	v_add_f64 v[58:59], v[58:59], 0
	s_waitcnt lgkmcnt(2)
	v_mul_f64 v[12:13], v[0:1], v[54:55]
	v_fmac_f64_e32 v[12:13], v[2:3], v[52:53]
	v_add_f64 v[56:57], v[56:57], v[12:13]
	v_mul_f64 v[12:13], v[22:23], v[18:19]
	v_fma_f64 v[62:63], v[20:21], v[16:17], -v[12:13]
	v_mul_f64 v[16:17], v[26:27], v[30:31]
	ds_read_b128 v[12:15], v49 offset:6144
	v_fma_f64 v[66:67], v[24:25], v[28:29], -v[16:17]
	ds_read_b128 v[16:19], v50 offset:2048
	s_waitcnt lgkmcnt(2)
	v_mul_f64 v[64:65], v[4:5], v[10:11]
	v_fmac_f64_e32 v[64:65], v[6:7], v[8:9]
	v_mul_f64 v[20:21], v[38:39], v[34:35]
	v_add_f64 v[28:29], v[56:57], v[64:65]
	s_waitcnt lgkmcnt(0)
	v_mul_f64 v[30:31], v[16:17], v[14:15]
	v_fmac_f64_e32 v[30:31], v[18:19], v[12:13]
	v_fma_f64 v[68:69], v[36:37], v[32:33], -v[20:21]
	ds_read_b128 v[20:23], v50 offset:2304
	ds_read_b128 v[24:27], v49 offset:6400
	v_add_f64 v[36:37], v[28:29], v[30:31]
	v_mul_f64 v[28:29], v[42:43], v[46:47]
	v_mul_f64 v[2:3], v[2:3], v[54:55]
	v_fma_f64 v[56:57], v[40:41], v[44:45], -v[28:29]
	v_fma_f64 v[52:53], v[0:1], v[52:53], -v[2:3]
	ds_read_b128 v[0:3], v50 offset:2560
	ds_read_b128 v[28:31], v50 offset:2816
	;; [unrolled: 1-line block ×3, first 2 shown]
	s_waitcnt lgkmcnt(3)
	v_mul_f64 v[38:39], v[20:21], v[26:27]
	v_fmac_f64_e32 v[38:39], v[22:23], v[24:25]
	v_mul_f64 v[6:7], v[6:7], v[10:11]
	v_fma_f64 v[54:55], v[4:5], v[8:9], -v[6:7]
	s_waitcnt lgkmcnt(0)
	v_mul_f64 v[10:11], v[0:1], v[34:35]
	v_add_f64 v[8:9], v[36:37], v[38:39]
	v_fmac_f64_e32 v[10:11], v[2:3], v[32:33]
	ds_read_b128 v[4:7], v49 offset:6912
	v_add_f64 v[36:37], v[8:9], v[10:11]
	v_mul_f64 v[8:9], v[18:19], v[14:15]
	v_add_f64 v[58:59], v[58:59], v[60:61]
	v_fma_f64 v[64:65], v[16:17], v[12:13], -v[8:9]
	ds_read_b128 v[8:11], v49 offset:7168
	ds_read_b128 v[12:15], v50 offset:3072
	v_add_f64 v[58:59], v[58:59], v[62:63]
	v_add_f64 v[58:59], v[58:59], v[66:67]
	;; [unrolled: 1-line block ×4, first 2 shown]
	s_waitcnt lgkmcnt(2)
	v_mul_f64 v[38:39], v[28:29], v[6:7]
	v_mul_f64 v[16:17], v[22:23], v[26:27]
	v_add_f64 v[52:53], v[56:57], v[52:53]
	v_fmac_f64_e32 v[38:39], v[30:31], v[4:5]
	v_fma_f64 v[70:71], v[20:21], v[24:25], -v[16:17]
	ds_read_b128 v[16:19], v50 offset:3328
	ds_read_b128 v[20:23], v49 offset:7424
	s_waitcnt lgkmcnt(2)
	v_mul_f64 v[26:27], v[12:13], v[10:11]
	v_add_f64 v[52:53], v[52:53], v[54:55]
	v_add_f64 v[24:25], v[36:37], v[38:39]
	v_fmac_f64_e32 v[26:27], v[14:15], v[8:9]
	v_add_f64 v[52:53], v[52:53], v[64:65]
	v_mul_f64 v[2:3], v[2:3], v[34:35]
	v_add_f64 v[72:73], v[24:25], v[26:27]
	ds_read_b128 v[24:27], v49 offset:7680
	ds_read_b128 v[36:39], v50 offset:3584
	v_add_f64 v[52:53], v[52:53], v[70:71]
	v_fma_f64 v[0:1], v[0:1], v[32:33], -v[2:3]
	v_mul_f64 v[2:3], v[30:31], v[6:7]
	v_add_f64 v[0:1], v[52:53], v[0:1]
	v_fma_f64 v[2:3], v[28:29], v[4:5], -v[2:3]
	ds_read_b128 v[40:43], v50 offset:3840
	ds_read_b128 v[44:47], v49 offset:7936
	v_add_f64 v[0:1], v[0:1], v[2:3]
	v_mul_f64 v[2:3], v[14:15], v[10:11]
	s_waitcnt lgkmcnt(4)
	v_mul_f64 v[74:75], v[16:17], v[22:23]
	v_fma_f64 v[2:3], v[12:13], v[8:9], -v[2:3]
	v_fmac_f64_e32 v[74:75], v[18:19], v[20:21]
	v_add_f64 v[0:1], v[0:1], v[2:3]
	v_mul_f64 v[2:3], v[18:19], v[22:23]
	v_add_f64 v[50:51], v[72:73], v[74:75]
	s_waitcnt lgkmcnt(2)
	v_mul_f64 v[72:73], v[36:37], v[26:27]
	s_mul_i32 s1, s7, s1
	s_mul_hi_u32 s4, s7, s0
	v_fma_f64 v[2:3], v[16:17], v[20:21], -v[2:3]
	v_fmac_f64_e32 v[72:73], v[38:39], v[24:25]
	s_add_i32 s1, s4, s1
	s_mul_i32 s0, s7, s0
	v_add_f64 v[0:1], v[0:1], v[2:3]
	v_mul_f64 v[2:3], v[38:39], v[26:27]
	v_add_f64 v[50:51], v[50:51], v[72:73]
	s_waitcnt lgkmcnt(0)
	v_mul_f64 v[72:73], v[40:41], v[46:47]
	s_lshl_b64 s[0:1], s[0:1], 4
	v_fma_f64 v[2:3], v[36:37], v[24:25], -v[2:3]
	v_fmac_f64_e32 v[72:73], v[42:43], v[44:45]
	s_add_u32 s4, s12, s0
	v_add_f64 v[0:1], v[0:1], v[2:3]
	v_mul_f64 v[2:3], v[42:43], v[46:47]
	v_add_f64 v[50:51], v[50:51], v[72:73]
	s_addc_u32 s5, s13, s1
	s_lshl_b64 s[0:1], s[2:3], 4
	v_fma_f64 v[2:3], v[40:41], v[44:45], -v[2:3]
	s_add_u32 s2, s4, s0
	v_add_f64 v[0:1], v[0:1], v[2:3]
	v_mul_f64 v[2:3], s[8:9], v[50:51]
	v_mul_f64 v[4:5], s[10:11], v[50:51]
	s_addc_u32 s3, s5, s1
	v_fmac_f64_e32 v[2:3], s[10:11], v[0:1]
	v_fma_f64 v[0:1], s[8:9], v[0:1], -v[4:5]
	v_mad_u64_u32 v[4:5], s[0:1], v48, s14, 0
	v_mov_b32_e32 v6, v5
	v_mad_u64_u32 v[6:7], s[0:1], v48, s15, v[6:7]
	v_mov_b32_e32 v5, v6
	v_lshlrev_b64 v[4:5], 4, v[4:5]
	v_mov_b32_e32 v6, s3
	v_add_co_u32_e32 v4, vcc, s2, v4
	v_addc_co_u32_e32 v5, vcc, v6, v5, vcc
	v_add_co_u32_e32 v4, vcc, v4, v49
	v_addc_co_u32_e32 v5, vcc, 0, v5, vcc
	global_store_dwordx4 v[4:5], v[0:3], off
.LBB140_15:
	s_endpgm
	.section	.rodata,"a",@progbits
	.p2align	6, 0x0
	.amdhsa_kernel _ZL23rocblas_trmm_rTx_kernelILi16ELb0E19rocblas_complex_numIdEPKS1_S2_S1_Ev13rocblas_fill_17rocblas_diagonal_iiT2_lPT3_llS8_llPT4_lli
		.amdhsa_group_segment_fixed_size 8192
		.amdhsa_private_segment_fixed_size 0
		.amdhsa_kernarg_size 108
		.amdhsa_user_sgpr_count 6
		.amdhsa_user_sgpr_private_segment_buffer 1
		.amdhsa_user_sgpr_dispatch_ptr 0
		.amdhsa_user_sgpr_queue_ptr 0
		.amdhsa_user_sgpr_kernarg_segment_ptr 1
		.amdhsa_user_sgpr_dispatch_id 0
		.amdhsa_user_sgpr_flat_scratch_init 0
		.amdhsa_user_sgpr_kernarg_preload_length 0
		.amdhsa_user_sgpr_kernarg_preload_offset 0
		.amdhsa_user_sgpr_private_segment_size 0
		.amdhsa_uses_dynamic_stack 0
		.amdhsa_system_sgpr_private_segment_wavefront_offset 0
		.amdhsa_system_sgpr_workgroup_id_x 1
		.amdhsa_system_sgpr_workgroup_id_y 0
		.amdhsa_system_sgpr_workgroup_id_z 1
		.amdhsa_system_sgpr_workgroup_info 0
		.amdhsa_system_vgpr_workitem_id 1
		.amdhsa_next_free_vgpr 76
		.amdhsa_next_free_sgpr 28
		.amdhsa_accum_offset 76
		.amdhsa_reserve_vcc 1
		.amdhsa_reserve_flat_scratch 0
		.amdhsa_float_round_mode_32 0
		.amdhsa_float_round_mode_16_64 0
		.amdhsa_float_denorm_mode_32 3
		.amdhsa_float_denorm_mode_16_64 3
		.amdhsa_dx10_clamp 1
		.amdhsa_ieee_mode 1
		.amdhsa_fp16_overflow 0
		.amdhsa_tg_split 0
		.amdhsa_exception_fp_ieee_invalid_op 0
		.amdhsa_exception_fp_denorm_src 0
		.amdhsa_exception_fp_ieee_div_zero 0
		.amdhsa_exception_fp_ieee_overflow 0
		.amdhsa_exception_fp_ieee_underflow 0
		.amdhsa_exception_fp_ieee_inexact 0
		.amdhsa_exception_int_div_zero 0
	.end_amdhsa_kernel
	.section	.text._ZL23rocblas_trmm_rTx_kernelILi16ELb0E19rocblas_complex_numIdEPKS1_S2_S1_Ev13rocblas_fill_17rocblas_diagonal_iiT2_lPT3_llS8_llPT4_lli,"axG",@progbits,_ZL23rocblas_trmm_rTx_kernelILi16ELb0E19rocblas_complex_numIdEPKS1_S2_S1_Ev13rocblas_fill_17rocblas_diagonal_iiT2_lPT3_llS8_llPT4_lli,comdat
.Lfunc_end140:
	.size	_ZL23rocblas_trmm_rTx_kernelILi16ELb0E19rocblas_complex_numIdEPKS1_S2_S1_Ev13rocblas_fill_17rocblas_diagonal_iiT2_lPT3_llS8_llPT4_lli, .Lfunc_end140-_ZL23rocblas_trmm_rTx_kernelILi16ELb0E19rocblas_complex_numIdEPKS1_S2_S1_Ev13rocblas_fill_17rocblas_diagonal_iiT2_lPT3_llS8_llPT4_lli
                                        ; -- End function
	.section	.AMDGPU.csdata,"",@progbits
; Kernel info:
; codeLenInByte = 1824
; NumSgprs: 32
; NumVgprs: 76
; NumAgprs: 0
; TotalNumVgprs: 76
; ScratchSize: 0
; MemoryBound: 0
; FloatMode: 240
; IeeeMode: 1
; LDSByteSize: 8192 bytes/workgroup (compile time only)
; SGPRBlocks: 3
; VGPRBlocks: 9
; NumSGPRsForWavesPerEU: 32
; NumVGPRsForWavesPerEU: 76
; AccumOffset: 76
; Occupancy: 6
; WaveLimiterHint : 0
; COMPUTE_PGM_RSRC2:SCRATCH_EN: 0
; COMPUTE_PGM_RSRC2:USER_SGPR: 6
; COMPUTE_PGM_RSRC2:TRAP_HANDLER: 0
; COMPUTE_PGM_RSRC2:TGID_X_EN: 1
; COMPUTE_PGM_RSRC2:TGID_Y_EN: 0
; COMPUTE_PGM_RSRC2:TGID_Z_EN: 1
; COMPUTE_PGM_RSRC2:TIDIG_COMP_CNT: 1
; COMPUTE_PGM_RSRC3_GFX90A:ACCUM_OFFSET: 18
; COMPUTE_PGM_RSRC3_GFX90A:TG_SPLIT: 0
	.section	.text._ZL23rocblas_trmm_rTx_kernelILi16ELb0E19rocblas_complex_numIdES1_KS1_S1_Ev13rocblas_fill_17rocblas_diagonal_iiT2_lPT3_llS7_llPT4_lli,"axG",@progbits,_ZL23rocblas_trmm_rTx_kernelILi16ELb0E19rocblas_complex_numIdES1_KS1_S1_Ev13rocblas_fill_17rocblas_diagonal_iiT2_lPT3_llS7_llPT4_lli,comdat
	.globl	_ZL23rocblas_trmm_rTx_kernelILi16ELb0E19rocblas_complex_numIdES1_KS1_S1_Ev13rocblas_fill_17rocblas_diagonal_iiT2_lPT3_llS7_llPT4_lli ; -- Begin function _ZL23rocblas_trmm_rTx_kernelILi16ELb0E19rocblas_complex_numIdES1_KS1_S1_Ev13rocblas_fill_17rocblas_diagonal_iiT2_lPT3_llS7_llPT4_lli
	.p2align	8
	.type	_ZL23rocblas_trmm_rTx_kernelILi16ELb0E19rocblas_complex_numIdES1_KS1_S1_Ev13rocblas_fill_17rocblas_diagonal_iiT2_lPT3_llS7_llPT4_lli,@function
_ZL23rocblas_trmm_rTx_kernelILi16ELb0E19rocblas_complex_numIdES1_KS1_S1_Ev13rocblas_fill_17rocblas_diagonal_iiT2_lPT3_llS7_llPT4_lli: ; @_ZL23rocblas_trmm_rTx_kernelILi16ELb0E19rocblas_complex_numIdES1_KS1_S1_Ev13rocblas_fill_17rocblas_diagonal_iiT2_lPT3_llS7_llPT4_lli
; %bb.0:
	s_load_dwordx4 s[24:27], s[4:5], 0x10
	s_waitcnt lgkmcnt(0)
	v_cmp_neq_f64_e64 s[0:1], s[24:25], 0
	v_cmp_neq_f64_e64 s[2:3], s[26:27], 0
	s_or_b64 s[0:1], s[0:1], s[2:3]
	s_andn2_b64 vcc, exec, s[0:1]
	s_cbranch_vccnz .LBB141_15
; %bb.1:
	s_load_dwordx4 s[28:31], s[4:5], 0x0
	s_load_dwordx16 s[8:23], s[4:5], 0x28
	s_mov_b32 s0, 0
	s_mov_b32 s2, s0
	;; [unrolled: 1-line block ×3, first 2 shown]
	v_and_b32_e32 v1, 0x3ff, v0
	v_bfe_u32 v48, v0, 10, 10
	s_mov_b32 s1, s0
	v_pk_mov_b32 v[4:5], s[2:3], s[2:3] op_sel:[0,1]
	v_lshlrev_b32_e32 v50, 4, v48
	v_pk_mov_b32 v[2:3], s[0:1], s[0:1] op_sel:[0,1]
	s_waitcnt lgkmcnt(0)
	v_cmp_gt_i32_e32 vcc, s31, v48
	v_cmp_gt_i32_e64 s[0:1], s31, v1
	v_add_lshl_u32 v0, v50, v1, 4
	s_and_b64 s[0:1], vcc, s[0:1]
	v_lshlrev_b32_e32 v49, 4, v1
	ds_write_b128 v0, v[2:5]
	ds_write_b128 v0, v[2:5] offset:4096
	s_and_saveexec_b64 s[2:3], s[0:1]
	s_cbranch_execz .LBB141_3
; %bb.2:
	s_mul_i32 s0, s7, s13
	s_mul_hi_u32 s1, s7, s12
	s_add_i32 s1, s1, s0
	s_mul_i32 s0, s7, s12
	s_lshl_b64 s[0:1], s[0:1], 4
	s_add_u32 s8, s8, s0
	s_addc_u32 s9, s9, s1
	v_mad_u64_u32 v[2:3], s[0:1], v48, s10, 0
	v_mov_b32_e32 v4, v3
	v_mad_u64_u32 v[4:5], s[0:1], v48, s11, v[4:5]
	v_mov_b32_e32 v3, v4
	v_lshlrev_b64 v[2:3], 4, v[2:3]
	v_mov_b32_e32 v4, s9
	v_add_co_u32_e64 v2, s[0:1], s8, v2
	v_addc_co_u32_e64 v3, s[0:1], v4, v3, s[0:1]
	v_add_co_u32_e64 v2, s[0:1], v2, v49
	v_addc_co_u32_e64 v3, s[0:1], 0, v3, s[0:1]
	global_load_dwordx4 v[2:5], v[2:3], off
	s_waitcnt vmcnt(0)
	ds_write2_b64 v0, v[2:3], v[4:5] offset1:1
.LBB141_3:
	s_or_b64 exec, exec, s[2:3]
	s_add_i32 s0, s30, -1
	s_ashr_i32 s1, s0, 31
	s_lshr_b32 s1, s1, 28
	s_add_i32 s0, s0, s1
	s_ashr_i32 s1, s0, 4
	s_and_b32 s0, s0, -16
	s_sub_i32 s0, s30, s0
	s_cmp_ge_i32 s6, s1
	s_cselect_b32 s0, s0, 16
	s_lshl_b32 s2, s6, 4
	v_cmp_gt_i32_e64 s[0:1], s0, v1
	s_ashr_i32 s3, s2, 31
	s_and_b64 s[0:1], vcc, s[0:1]
	s_and_saveexec_b64 s[8:9], s[0:1]
	s_cbranch_execz .LBB141_5
; %bb.4:
	s_mul_i32 s6, s7, s19
	s_mul_hi_u32 s10, s7, s18
	s_add_i32 s11, s10, s6
	s_mul_i32 s10, s7, s18
	s_lshl_b64 s[10:11], s[10:11], 4
	s_add_u32 s6, s14, s10
	s_addc_u32 s12, s15, s11
	s_lshl_b64 s[10:11], s[2:3], 4
	s_add_u32 s6, s6, s10
	s_addc_u32 s12, s12, s11
	v_mad_u64_u32 v[2:3], s[10:11], v48, s16, 0
	v_mov_b32_e32 v4, v3
	v_mad_u64_u32 v[4:5], s[10:11], v48, s17, v[4:5]
	v_mov_b32_e32 v3, v4
	v_lshlrev_b64 v[2:3], 4, v[2:3]
	v_mov_b32_e32 v4, s12
	v_add_co_u32_e32 v2, vcc, s6, v2
	v_addc_co_u32_e32 v3, vcc, v4, v3, vcc
	v_add_co_u32_e32 v2, vcc, v2, v49
	v_addc_co_u32_e32 v3, vcc, 0, v3, vcc
	global_load_dwordx4 v[2:5], v[2:3], off
	v_add_u32_e32 v6, 0x1000, v0
	s_waitcnt vmcnt(0)
	ds_write2_b64 v6, v[2:3], v[4:5] offset1:1
.LBB141_5:
	s_or_b64 exec, exec, s[8:9]
	s_cmpk_eq_i32 s29, 0x84
	s_cselect_b64 s[8:9], -1, 0
	v_cmp_eq_u32_e32 vcc, v48, v1
	s_and_b64 s[10:11], vcc, s[8:9]
	s_and_saveexec_b64 s[8:9], s[10:11]
	s_cbranch_execz .LBB141_7
; %bb.6:
	v_mov_b32_e32 v2, 0
	v_mov_b32_e32 v3, 0x3ff00000
	;; [unrolled: 1-line block ×4, first 2 shown]
	ds_write_b128 v0, v[2:5]
.LBB141_7:
	s_or_b64 exec, exec, s[8:9]
	s_cmpk_lg_i32 s28, 0x79
	s_cbranch_scc0 .LBB141_9
; %bb.8:
	v_cmp_lt_u32_e32 vcc, v1, v48
	s_and_b64 s[8:9], vcc, exec
	s_cbranch_execz .LBB141_10
	s_branch .LBB141_11
.LBB141_9:
	s_mov_b64 s[8:9], 0
.LBB141_10:
	v_cmp_gt_u32_e32 vcc, v1, v48
	s_andn2_b64 s[8:9], s[8:9], exec
	s_and_b64 s[10:11], vcc, exec
	s_or_b64 s[8:9], s[8:9], s[10:11]
.LBB141_11:
	s_and_saveexec_b64 s[10:11], s[8:9]
	s_cbranch_execz .LBB141_13
; %bb.12:
	v_mov_b32_e32 v2, 0
	v_mov_b32_e32 v3, v2
	;; [unrolled: 1-line block ×4, first 2 shown]
	ds_write_b128 v0, v[2:5]
.LBB141_13:
	s_or_b64 exec, exec, s[10:11]
	s_waitcnt lgkmcnt(0)
	s_barrier
	s_and_saveexec_b64 s[8:9], s[0:1]
	s_cbranch_execz .LBB141_15
; %bb.14:
	ds_read_b128 v[0:3], v50
	ds_read_b128 v[4:7], v50 offset:256
	ds_read_b128 v[8:11], v49 offset:4096
	;; [unrolled: 1-line block ×3, first 2 shown]
	s_load_dwordx2 s[0:1], s[4:5], 0x68
	s_waitcnt lgkmcnt(0)
	v_mul_f64 v[16:17], v[0:1], v[10:11]
	v_fmac_f64_e32 v[16:17], v[2:3], v[8:9]
	v_add_f64 v[34:35], v[16:17], 0
	ds_read_b128 v[16:19], v49 offset:4608
	ds_read_b128 v[20:23], v50 offset:512
	v_mul_f64 v[32:33], v[4:5], v[14:15]
	v_fmac_f64_e32 v[32:33], v[6:7], v[12:13]
	ds_read_b128 v[24:27], v50 offset:768
	ds_read_b128 v[28:31], v49 offset:4864
	v_add_f64 v[32:33], v[34:35], v[32:33]
	s_waitcnt lgkmcnt(2)
	v_mul_f64 v[34:35], v[20:21], v[18:19]
	v_fmac_f64_e32 v[34:35], v[22:23], v[16:17]
	v_add_f64 v[52:53], v[32:33], v[34:35]
	ds_read_b128 v[32:35], v49 offset:5120
	ds_read_b128 v[36:39], v50 offset:1024
	ds_read_b128 v[40:43], v50 offset:1280
	ds_read_b128 v[44:47], v49 offset:5376
	s_waitcnt lgkmcnt(4)
	v_mul_f64 v[54:55], v[24:25], v[30:31]
	v_fmac_f64_e32 v[54:55], v[26:27], v[28:29]
	v_add_f64 v[52:53], v[52:53], v[54:55]
	s_waitcnt lgkmcnt(2)
	v_mul_f64 v[54:55], v[36:37], v[34:35]
	v_fmac_f64_e32 v[54:55], v[38:39], v[32:33]
	v_add_f64 v[52:53], v[52:53], v[54:55]
	s_waitcnt lgkmcnt(0)
	v_mul_f64 v[54:55], v[40:41], v[46:47]
	v_fmac_f64_e32 v[54:55], v[42:43], v[44:45]
	v_mul_f64 v[2:3], v[2:3], v[10:11]
	v_add_f64 v[56:57], v[52:53], v[54:55]
	ds_read_b128 v[52:55], v49 offset:5632
	v_fma_f64 v[58:59], v[0:1], v[8:9], -v[2:3]
	ds_read_b128 v[0:3], v50 offset:1536
	v_mul_f64 v[6:7], v[6:7], v[14:15]
	v_fma_f64 v[60:61], v[4:5], v[12:13], -v[6:7]
	ds_read_b128 v[4:7], v50 offset:1792
	ds_read_b128 v[8:11], v49 offset:5888
	v_add_f64 v[58:59], v[58:59], 0
	s_waitcnt lgkmcnt(2)
	v_mul_f64 v[12:13], v[0:1], v[54:55]
	v_fmac_f64_e32 v[12:13], v[2:3], v[52:53]
	v_add_f64 v[56:57], v[56:57], v[12:13]
	v_mul_f64 v[12:13], v[22:23], v[18:19]
	v_fma_f64 v[62:63], v[20:21], v[16:17], -v[12:13]
	v_mul_f64 v[16:17], v[26:27], v[30:31]
	ds_read_b128 v[12:15], v49 offset:6144
	v_fma_f64 v[66:67], v[24:25], v[28:29], -v[16:17]
	ds_read_b128 v[16:19], v50 offset:2048
	s_waitcnt lgkmcnt(2)
	v_mul_f64 v[64:65], v[4:5], v[10:11]
	v_fmac_f64_e32 v[64:65], v[6:7], v[8:9]
	v_mul_f64 v[20:21], v[38:39], v[34:35]
	v_add_f64 v[28:29], v[56:57], v[64:65]
	s_waitcnt lgkmcnt(0)
	v_mul_f64 v[30:31], v[16:17], v[14:15]
	v_fmac_f64_e32 v[30:31], v[18:19], v[12:13]
	v_fma_f64 v[68:69], v[36:37], v[32:33], -v[20:21]
	ds_read_b128 v[20:23], v50 offset:2304
	ds_read_b128 v[24:27], v49 offset:6400
	v_add_f64 v[36:37], v[28:29], v[30:31]
	v_mul_f64 v[28:29], v[42:43], v[46:47]
	v_mul_f64 v[2:3], v[2:3], v[54:55]
	v_fma_f64 v[56:57], v[40:41], v[44:45], -v[28:29]
	v_fma_f64 v[52:53], v[0:1], v[52:53], -v[2:3]
	ds_read_b128 v[0:3], v50 offset:2560
	ds_read_b128 v[28:31], v50 offset:2816
	;; [unrolled: 1-line block ×3, first 2 shown]
	s_waitcnt lgkmcnt(3)
	v_mul_f64 v[38:39], v[20:21], v[26:27]
	v_fmac_f64_e32 v[38:39], v[22:23], v[24:25]
	v_mul_f64 v[6:7], v[6:7], v[10:11]
	v_fma_f64 v[54:55], v[4:5], v[8:9], -v[6:7]
	s_waitcnt lgkmcnt(0)
	v_mul_f64 v[10:11], v[0:1], v[34:35]
	v_add_f64 v[8:9], v[36:37], v[38:39]
	v_fmac_f64_e32 v[10:11], v[2:3], v[32:33]
	ds_read_b128 v[4:7], v49 offset:6912
	v_add_f64 v[36:37], v[8:9], v[10:11]
	v_mul_f64 v[8:9], v[18:19], v[14:15]
	v_add_f64 v[58:59], v[58:59], v[60:61]
	v_fma_f64 v[64:65], v[16:17], v[12:13], -v[8:9]
	ds_read_b128 v[8:11], v49 offset:7168
	ds_read_b128 v[12:15], v50 offset:3072
	v_add_f64 v[58:59], v[58:59], v[62:63]
	v_add_f64 v[58:59], v[58:59], v[66:67]
	;; [unrolled: 1-line block ×4, first 2 shown]
	s_waitcnt lgkmcnt(2)
	v_mul_f64 v[38:39], v[28:29], v[6:7]
	v_mul_f64 v[16:17], v[22:23], v[26:27]
	v_add_f64 v[52:53], v[56:57], v[52:53]
	v_fmac_f64_e32 v[38:39], v[30:31], v[4:5]
	v_fma_f64 v[70:71], v[20:21], v[24:25], -v[16:17]
	ds_read_b128 v[16:19], v50 offset:3328
	ds_read_b128 v[20:23], v49 offset:7424
	s_waitcnt lgkmcnt(2)
	v_mul_f64 v[26:27], v[12:13], v[10:11]
	v_add_f64 v[52:53], v[52:53], v[54:55]
	v_add_f64 v[24:25], v[36:37], v[38:39]
	v_fmac_f64_e32 v[26:27], v[14:15], v[8:9]
	v_add_f64 v[52:53], v[52:53], v[64:65]
	v_mul_f64 v[2:3], v[2:3], v[34:35]
	v_add_f64 v[72:73], v[24:25], v[26:27]
	ds_read_b128 v[24:27], v49 offset:7680
	ds_read_b128 v[36:39], v50 offset:3584
	v_add_f64 v[52:53], v[52:53], v[70:71]
	v_fma_f64 v[0:1], v[0:1], v[32:33], -v[2:3]
	v_mul_f64 v[2:3], v[30:31], v[6:7]
	v_add_f64 v[0:1], v[52:53], v[0:1]
	v_fma_f64 v[2:3], v[28:29], v[4:5], -v[2:3]
	ds_read_b128 v[40:43], v50 offset:3840
	ds_read_b128 v[44:47], v49 offset:7936
	v_add_f64 v[0:1], v[0:1], v[2:3]
	v_mul_f64 v[2:3], v[14:15], v[10:11]
	s_waitcnt lgkmcnt(4)
	v_mul_f64 v[74:75], v[16:17], v[22:23]
	v_fma_f64 v[2:3], v[12:13], v[8:9], -v[2:3]
	v_fmac_f64_e32 v[74:75], v[18:19], v[20:21]
	v_add_f64 v[0:1], v[0:1], v[2:3]
	v_mul_f64 v[2:3], v[18:19], v[22:23]
	v_add_f64 v[50:51], v[72:73], v[74:75]
	s_waitcnt lgkmcnt(2)
	v_mul_f64 v[72:73], v[36:37], v[26:27]
	s_mul_i32 s1, s7, s1
	s_mul_hi_u32 s4, s7, s0
	v_fma_f64 v[2:3], v[16:17], v[20:21], -v[2:3]
	v_fmac_f64_e32 v[72:73], v[38:39], v[24:25]
	s_add_i32 s1, s4, s1
	s_mul_i32 s0, s7, s0
	v_add_f64 v[0:1], v[0:1], v[2:3]
	v_mul_f64 v[2:3], v[38:39], v[26:27]
	v_add_f64 v[50:51], v[50:51], v[72:73]
	s_waitcnt lgkmcnt(0)
	v_mul_f64 v[72:73], v[40:41], v[46:47]
	s_lshl_b64 s[0:1], s[0:1], 4
	v_fma_f64 v[2:3], v[36:37], v[24:25], -v[2:3]
	v_fmac_f64_e32 v[72:73], v[42:43], v[44:45]
	s_add_u32 s4, s20, s0
	v_add_f64 v[0:1], v[0:1], v[2:3]
	v_mul_f64 v[2:3], v[42:43], v[46:47]
	v_add_f64 v[50:51], v[50:51], v[72:73]
	s_addc_u32 s5, s21, s1
	s_lshl_b64 s[0:1], s[2:3], 4
	v_fma_f64 v[2:3], v[40:41], v[44:45], -v[2:3]
	s_add_u32 s2, s4, s0
	v_add_f64 v[0:1], v[0:1], v[2:3]
	v_mul_f64 v[2:3], s[24:25], v[50:51]
	v_mul_f64 v[4:5], s[26:27], v[50:51]
	s_addc_u32 s3, s5, s1
	v_fmac_f64_e32 v[2:3], s[26:27], v[0:1]
	v_fma_f64 v[0:1], s[24:25], v[0:1], -v[4:5]
	v_mad_u64_u32 v[4:5], s[0:1], v48, s22, 0
	v_mov_b32_e32 v6, v5
	v_mad_u64_u32 v[6:7], s[0:1], v48, s23, v[6:7]
	v_mov_b32_e32 v5, v6
	v_lshlrev_b64 v[4:5], 4, v[4:5]
	v_mov_b32_e32 v6, s3
	v_add_co_u32_e32 v4, vcc, s2, v4
	v_addc_co_u32_e32 v5, vcc, v6, v5, vcc
	v_add_co_u32_e32 v4, vcc, v4, v49
	v_addc_co_u32_e32 v5, vcc, 0, v5, vcc
	global_store_dwordx4 v[4:5], v[0:3], off
.LBB141_15:
	s_endpgm
	.section	.rodata,"a",@progbits
	.p2align	6, 0x0
	.amdhsa_kernel _ZL23rocblas_trmm_rTx_kernelILi16ELb0E19rocblas_complex_numIdES1_KS1_S1_Ev13rocblas_fill_17rocblas_diagonal_iiT2_lPT3_llS7_llPT4_lli
		.amdhsa_group_segment_fixed_size 8192
		.amdhsa_private_segment_fixed_size 0
		.amdhsa_kernarg_size 116
		.amdhsa_user_sgpr_count 6
		.amdhsa_user_sgpr_private_segment_buffer 1
		.amdhsa_user_sgpr_dispatch_ptr 0
		.amdhsa_user_sgpr_queue_ptr 0
		.amdhsa_user_sgpr_kernarg_segment_ptr 1
		.amdhsa_user_sgpr_dispatch_id 0
		.amdhsa_user_sgpr_flat_scratch_init 0
		.amdhsa_user_sgpr_kernarg_preload_length 0
		.amdhsa_user_sgpr_kernarg_preload_offset 0
		.amdhsa_user_sgpr_private_segment_size 0
		.amdhsa_uses_dynamic_stack 0
		.amdhsa_system_sgpr_private_segment_wavefront_offset 0
		.amdhsa_system_sgpr_workgroup_id_x 1
		.amdhsa_system_sgpr_workgroup_id_y 0
		.amdhsa_system_sgpr_workgroup_id_z 1
		.amdhsa_system_sgpr_workgroup_info 0
		.amdhsa_system_vgpr_workitem_id 1
		.amdhsa_next_free_vgpr 76
		.amdhsa_next_free_sgpr 32
		.amdhsa_accum_offset 76
		.amdhsa_reserve_vcc 1
		.amdhsa_reserve_flat_scratch 0
		.amdhsa_float_round_mode_32 0
		.amdhsa_float_round_mode_16_64 0
		.amdhsa_float_denorm_mode_32 3
		.amdhsa_float_denorm_mode_16_64 3
		.amdhsa_dx10_clamp 1
		.amdhsa_ieee_mode 1
		.amdhsa_fp16_overflow 0
		.amdhsa_tg_split 0
		.amdhsa_exception_fp_ieee_invalid_op 0
		.amdhsa_exception_fp_denorm_src 0
		.amdhsa_exception_fp_ieee_div_zero 0
		.amdhsa_exception_fp_ieee_overflow 0
		.amdhsa_exception_fp_ieee_underflow 0
		.amdhsa_exception_fp_ieee_inexact 0
		.amdhsa_exception_int_div_zero 0
	.end_amdhsa_kernel
	.section	.text._ZL23rocblas_trmm_rTx_kernelILi16ELb0E19rocblas_complex_numIdES1_KS1_S1_Ev13rocblas_fill_17rocblas_diagonal_iiT2_lPT3_llS7_llPT4_lli,"axG",@progbits,_ZL23rocblas_trmm_rTx_kernelILi16ELb0E19rocblas_complex_numIdES1_KS1_S1_Ev13rocblas_fill_17rocblas_diagonal_iiT2_lPT3_llS7_llPT4_lli,comdat
.Lfunc_end141:
	.size	_ZL23rocblas_trmm_rTx_kernelILi16ELb0E19rocblas_complex_numIdES1_KS1_S1_Ev13rocblas_fill_17rocblas_diagonal_iiT2_lPT3_llS7_llPT4_lli, .Lfunc_end141-_ZL23rocblas_trmm_rTx_kernelILi16ELb0E19rocblas_complex_numIdES1_KS1_S1_Ev13rocblas_fill_17rocblas_diagonal_iiT2_lPT3_llS7_llPT4_lli
                                        ; -- End function
	.section	.AMDGPU.csdata,"",@progbits
; Kernel info:
; codeLenInByte = 1784
; NumSgprs: 36
; NumVgprs: 76
; NumAgprs: 0
; TotalNumVgprs: 76
; ScratchSize: 0
; MemoryBound: 0
; FloatMode: 240
; IeeeMode: 1
; LDSByteSize: 8192 bytes/workgroup (compile time only)
; SGPRBlocks: 4
; VGPRBlocks: 9
; NumSGPRsForWavesPerEU: 36
; NumVGPRsForWavesPerEU: 76
; AccumOffset: 76
; Occupancy: 6
; WaveLimiterHint : 0
; COMPUTE_PGM_RSRC2:SCRATCH_EN: 0
; COMPUTE_PGM_RSRC2:USER_SGPR: 6
; COMPUTE_PGM_RSRC2:TRAP_HANDLER: 0
; COMPUTE_PGM_RSRC2:TGID_X_EN: 1
; COMPUTE_PGM_RSRC2:TGID_Y_EN: 0
; COMPUTE_PGM_RSRC2:TGID_Z_EN: 1
; COMPUTE_PGM_RSRC2:TIDIG_COMP_CNT: 1
; COMPUTE_PGM_RSRC3_GFX90A:ACCUM_OFFSET: 18
; COMPUTE_PGM_RSRC3_GFX90A:TG_SPLIT: 0
	.section	.text._ZL23rocblas_trmm_rTx_kernelILi16ELb1E19rocblas_complex_numIdEPKS1_S2_S1_Ev13rocblas_fill_17rocblas_diagonal_iiT2_lPT3_llS8_llPT4_lli,"axG",@progbits,_ZL23rocblas_trmm_rTx_kernelILi16ELb1E19rocblas_complex_numIdEPKS1_S2_S1_Ev13rocblas_fill_17rocblas_diagonal_iiT2_lPT3_llS8_llPT4_lli,comdat
	.globl	_ZL23rocblas_trmm_rTx_kernelILi16ELb1E19rocblas_complex_numIdEPKS1_S2_S1_Ev13rocblas_fill_17rocblas_diagonal_iiT2_lPT3_llS8_llPT4_lli ; -- Begin function _ZL23rocblas_trmm_rTx_kernelILi16ELb1E19rocblas_complex_numIdEPKS1_S2_S1_Ev13rocblas_fill_17rocblas_diagonal_iiT2_lPT3_llS8_llPT4_lli
	.p2align	8
	.type	_ZL23rocblas_trmm_rTx_kernelILi16ELb1E19rocblas_complex_numIdEPKS1_S2_S1_Ev13rocblas_fill_17rocblas_diagonal_iiT2_lPT3_llS8_llPT4_lli,@function
_ZL23rocblas_trmm_rTx_kernelILi16ELb1E19rocblas_complex_numIdEPKS1_S2_S1_Ev13rocblas_fill_17rocblas_diagonal_iiT2_lPT3_llS8_llPT4_lli: ; @_ZL23rocblas_trmm_rTx_kernelILi16ELb1E19rocblas_complex_numIdEPKS1_S2_S1_Ev13rocblas_fill_17rocblas_diagonal_iiT2_lPT3_llS8_llPT4_lli
; %bb.0:
	s_load_dwordx16 s[8:23], s[4:5], 0x10
	s_waitcnt lgkmcnt(0)
	s_mul_i32 s0, s7, s11
	s_mul_hi_u32 s1, s7, s10
	s_add_i32 s1, s1, s0
	s_mul_i32 s0, s7, s10
	s_lshl_b64 s[0:1], s[0:1], 4
	s_add_u32 s0, s8, s0
	s_addc_u32 s1, s9, s1
	s_load_dwordx4 s[8:11], s[0:1], 0x0
	s_waitcnt lgkmcnt(0)
	v_cmp_neq_f64_e64 s[0:1], s[8:9], 0
	v_cmp_neq_f64_e64 s[2:3], s[10:11], 0
	s_or_b64 s[0:1], s[0:1], s[2:3]
	s_andn2_b64 vcc, exec, s[0:1]
	s_cbranch_vccnz .LBB142_15
; %bb.1:
	s_load_dwordx4 s[24:27], s[4:5], 0x0
	s_mov_b32 s0, 0
	s_mov_b32 s2, s0
	;; [unrolled: 1-line block ×3, first 2 shown]
	v_and_b32_e32 v1, 0x3ff, v0
	v_bfe_u32 v48, v0, 10, 10
	s_mov_b32 s1, s0
	v_pk_mov_b32 v[4:5], s[2:3], s[2:3] op_sel:[0,1]
	v_lshlrev_b32_e32 v50, 4, v48
	v_pk_mov_b32 v[2:3], s[0:1], s[0:1] op_sel:[0,1]
	s_waitcnt lgkmcnt(0)
	v_cmp_gt_i32_e32 vcc, s27, v48
	v_cmp_gt_i32_e64 s[0:1], s27, v1
	v_add_lshl_u32 v0, v50, v1, 4
	s_and_b64 s[0:1], vcc, s[0:1]
	v_lshlrev_b32_e32 v49, 4, v1
	ds_write_b128 v0, v[2:5]
	ds_write_b128 v0, v[2:5] offset:4096
	s_and_saveexec_b64 s[2:3], s[0:1]
	s_cbranch_execz .LBB142_3
; %bb.2:
	s_mul_i32 s0, s7, s17
	s_mul_hi_u32 s1, s7, s16
	s_add_i32 s1, s1, s0
	s_mul_i32 s0, s7, s16
	s_lshl_b64 s[0:1], s[0:1], 4
	s_add_u32 s12, s12, s0
	s_addc_u32 s13, s13, s1
	v_mad_u64_u32 v[2:3], s[0:1], v48, s14, 0
	v_mov_b32_e32 v4, v3
	v_mad_u64_u32 v[4:5], s[0:1], v48, s15, v[4:5]
	v_mov_b32_e32 v3, v4
	v_lshlrev_b64 v[2:3], 4, v[2:3]
	v_mov_b32_e32 v4, s13
	v_add_co_u32_e64 v2, s[0:1], s12, v2
	v_addc_co_u32_e64 v3, s[0:1], v4, v3, s[0:1]
	v_add_co_u32_e64 v2, s[0:1], v2, v49
	v_addc_co_u32_e64 v3, s[0:1], 0, v3, s[0:1]
	global_load_dwordx4 v[2:5], v[2:3], off
	s_waitcnt vmcnt(0)
	v_xor_b32_e32 v5, 0x80000000, v5
	ds_write_b128 v0, v[2:5]
.LBB142_3:
	s_or_b64 exec, exec, s[2:3]
	s_add_i32 s0, s26, -1
	s_ashr_i32 s1, s0, 31
	s_lshr_b32 s1, s1, 28
	s_add_i32 s0, s0, s1
	s_ashr_i32 s1, s0, 4
	s_and_b32 s0, s0, -16
	s_sub_i32 s0, s26, s0
	s_cmp_ge_i32 s6, s1
	s_cselect_b32 s0, s0, 16
	s_lshl_b32 s2, s6, 4
	v_cmp_gt_i32_e64 s[0:1], s0, v1
	s_ashr_i32 s3, s2, 31
	s_and_b64 s[0:1], vcc, s[0:1]
	s_and_saveexec_b64 s[12:13], s[0:1]
	s_cbranch_execz .LBB142_5
; %bb.4:
	s_mul_i32 s6, s7, s23
	s_mul_hi_u32 s14, s7, s22
	s_add_i32 s15, s14, s6
	s_mul_i32 s14, s7, s22
	s_lshl_b64 s[14:15], s[14:15], 4
	s_add_u32 s6, s18, s14
	s_addc_u32 s16, s19, s15
	s_lshl_b64 s[14:15], s[2:3], 4
	s_add_u32 s6, s6, s14
	s_addc_u32 s16, s16, s15
	v_mad_u64_u32 v[2:3], s[14:15], v48, s20, 0
	v_mov_b32_e32 v4, v3
	v_mad_u64_u32 v[4:5], s[14:15], v48, s21, v[4:5]
	v_mov_b32_e32 v3, v4
	v_lshlrev_b64 v[2:3], 4, v[2:3]
	v_mov_b32_e32 v4, s16
	v_add_co_u32_e32 v2, vcc, s6, v2
	v_addc_co_u32_e32 v3, vcc, v4, v3, vcc
	v_add_co_u32_e32 v2, vcc, v2, v49
	v_addc_co_u32_e32 v3, vcc, 0, v3, vcc
	global_load_dwordx4 v[2:5], v[2:3], off
	v_add_u32_e32 v6, 0x1000, v0
	s_waitcnt vmcnt(0)
	ds_write2_b64 v6, v[2:3], v[4:5] offset1:1
.LBB142_5:
	s_or_b64 exec, exec, s[12:13]
	s_cmpk_eq_i32 s25, 0x84
	s_cselect_b64 s[12:13], -1, 0
	v_cmp_eq_u32_e32 vcc, v48, v1
	s_and_b64 s[14:15], vcc, s[12:13]
	s_and_saveexec_b64 s[12:13], s[14:15]
	s_cbranch_execz .LBB142_7
; %bb.6:
	v_mov_b32_e32 v2, 0
	v_mov_b32_e32 v3, 0x3ff00000
	;; [unrolled: 1-line block ×4, first 2 shown]
	ds_write_b128 v0, v[2:5]
.LBB142_7:
	s_or_b64 exec, exec, s[12:13]
	s_cmpk_lg_i32 s24, 0x79
	s_cbranch_scc0 .LBB142_9
; %bb.8:
	v_cmp_lt_u32_e32 vcc, v1, v48
	s_and_b64 s[12:13], vcc, exec
	s_cbranch_execz .LBB142_10
	s_branch .LBB142_11
.LBB142_9:
	s_mov_b64 s[12:13], 0
.LBB142_10:
	v_cmp_gt_u32_e32 vcc, v1, v48
	s_andn2_b64 s[12:13], s[12:13], exec
	s_and_b64 s[14:15], vcc, exec
	s_or_b64 s[12:13], s[12:13], s[14:15]
.LBB142_11:
	s_and_saveexec_b64 s[14:15], s[12:13]
	s_cbranch_execz .LBB142_13
; %bb.12:
	v_mov_b32_e32 v2, 0
	v_mov_b32_e32 v3, v2
	;; [unrolled: 1-line block ×4, first 2 shown]
	ds_write_b128 v0, v[2:5]
.LBB142_13:
	s_or_b64 exec, exec, s[14:15]
	s_waitcnt lgkmcnt(0)
	s_barrier
	s_and_saveexec_b64 s[12:13], s[0:1]
	s_cbranch_execz .LBB142_15
; %bb.14:
	ds_read_b128 v[0:3], v50
	ds_read_b128 v[4:7], v50 offset:256
	ds_read_b128 v[8:11], v49 offset:4096
	;; [unrolled: 1-line block ×3, first 2 shown]
	s_load_dwordx2 s[0:1], s[4:5], 0x60
	s_load_dwordx4 s[12:15], s[4:5], 0x50
	s_waitcnt lgkmcnt(0)
	v_mul_f64 v[16:17], v[0:1], v[10:11]
	v_fmac_f64_e32 v[16:17], v[2:3], v[8:9]
	v_add_f64 v[34:35], v[16:17], 0
	ds_read_b128 v[16:19], v49 offset:4608
	ds_read_b128 v[20:23], v50 offset:512
	v_mul_f64 v[32:33], v[4:5], v[14:15]
	v_fmac_f64_e32 v[32:33], v[6:7], v[12:13]
	ds_read_b128 v[24:27], v50 offset:768
	ds_read_b128 v[28:31], v49 offset:4864
	v_add_f64 v[32:33], v[34:35], v[32:33]
	s_waitcnt lgkmcnt(2)
	v_mul_f64 v[34:35], v[20:21], v[18:19]
	v_fmac_f64_e32 v[34:35], v[22:23], v[16:17]
	v_add_f64 v[52:53], v[32:33], v[34:35]
	ds_read_b128 v[32:35], v49 offset:5120
	ds_read_b128 v[36:39], v50 offset:1024
	;; [unrolled: 1-line block ×4, first 2 shown]
	s_waitcnt lgkmcnt(4)
	v_mul_f64 v[54:55], v[24:25], v[30:31]
	v_fmac_f64_e32 v[54:55], v[26:27], v[28:29]
	v_add_f64 v[52:53], v[52:53], v[54:55]
	s_waitcnt lgkmcnt(2)
	v_mul_f64 v[54:55], v[36:37], v[34:35]
	v_fmac_f64_e32 v[54:55], v[38:39], v[32:33]
	v_add_f64 v[52:53], v[52:53], v[54:55]
	s_waitcnt lgkmcnt(0)
	v_mul_f64 v[54:55], v[40:41], v[46:47]
	v_fmac_f64_e32 v[54:55], v[42:43], v[44:45]
	v_mul_f64 v[2:3], v[2:3], v[10:11]
	v_add_f64 v[56:57], v[52:53], v[54:55]
	ds_read_b128 v[52:55], v49 offset:5632
	v_fma_f64 v[58:59], v[0:1], v[8:9], -v[2:3]
	ds_read_b128 v[0:3], v50 offset:1536
	v_mul_f64 v[6:7], v[6:7], v[14:15]
	v_fma_f64 v[60:61], v[4:5], v[12:13], -v[6:7]
	ds_read_b128 v[4:7], v50 offset:1792
	ds_read_b128 v[8:11], v49 offset:5888
	v_add_f64 v[58:59], v[58:59], 0
	s_waitcnt lgkmcnt(2)
	v_mul_f64 v[12:13], v[0:1], v[54:55]
	v_fmac_f64_e32 v[12:13], v[2:3], v[52:53]
	v_add_f64 v[56:57], v[56:57], v[12:13]
	v_mul_f64 v[12:13], v[22:23], v[18:19]
	v_fma_f64 v[62:63], v[20:21], v[16:17], -v[12:13]
	v_mul_f64 v[16:17], v[26:27], v[30:31]
	ds_read_b128 v[12:15], v49 offset:6144
	v_fma_f64 v[66:67], v[24:25], v[28:29], -v[16:17]
	ds_read_b128 v[16:19], v50 offset:2048
	s_waitcnt lgkmcnt(2)
	v_mul_f64 v[64:65], v[4:5], v[10:11]
	v_fmac_f64_e32 v[64:65], v[6:7], v[8:9]
	v_mul_f64 v[20:21], v[38:39], v[34:35]
	v_add_f64 v[28:29], v[56:57], v[64:65]
	s_waitcnt lgkmcnt(0)
	v_mul_f64 v[30:31], v[16:17], v[14:15]
	v_fmac_f64_e32 v[30:31], v[18:19], v[12:13]
	v_fma_f64 v[68:69], v[36:37], v[32:33], -v[20:21]
	ds_read_b128 v[20:23], v50 offset:2304
	ds_read_b128 v[24:27], v49 offset:6400
	v_add_f64 v[36:37], v[28:29], v[30:31]
	v_mul_f64 v[28:29], v[42:43], v[46:47]
	v_mul_f64 v[2:3], v[2:3], v[54:55]
	v_fma_f64 v[56:57], v[40:41], v[44:45], -v[28:29]
	v_fma_f64 v[52:53], v[0:1], v[52:53], -v[2:3]
	ds_read_b128 v[0:3], v50 offset:2560
	ds_read_b128 v[28:31], v50 offset:2816
	;; [unrolled: 1-line block ×3, first 2 shown]
	s_waitcnt lgkmcnt(3)
	v_mul_f64 v[38:39], v[20:21], v[26:27]
	v_fmac_f64_e32 v[38:39], v[22:23], v[24:25]
	v_mul_f64 v[6:7], v[6:7], v[10:11]
	v_fma_f64 v[54:55], v[4:5], v[8:9], -v[6:7]
	s_waitcnt lgkmcnt(0)
	v_mul_f64 v[10:11], v[0:1], v[34:35]
	v_add_f64 v[8:9], v[36:37], v[38:39]
	v_fmac_f64_e32 v[10:11], v[2:3], v[32:33]
	ds_read_b128 v[4:7], v49 offset:6912
	v_add_f64 v[36:37], v[8:9], v[10:11]
	v_mul_f64 v[8:9], v[18:19], v[14:15]
	v_add_f64 v[58:59], v[58:59], v[60:61]
	v_fma_f64 v[64:65], v[16:17], v[12:13], -v[8:9]
	ds_read_b128 v[8:11], v49 offset:7168
	ds_read_b128 v[12:15], v50 offset:3072
	v_add_f64 v[58:59], v[58:59], v[62:63]
	v_add_f64 v[58:59], v[58:59], v[66:67]
	v_add_f64 v[58:59], v[58:59], v[68:69]
	v_add_f64 v[56:57], v[58:59], v[56:57]
	s_waitcnt lgkmcnt(2)
	v_mul_f64 v[38:39], v[28:29], v[6:7]
	v_mul_f64 v[16:17], v[22:23], v[26:27]
	v_add_f64 v[52:53], v[56:57], v[52:53]
	v_fmac_f64_e32 v[38:39], v[30:31], v[4:5]
	v_fma_f64 v[70:71], v[20:21], v[24:25], -v[16:17]
	ds_read_b128 v[16:19], v50 offset:3328
	ds_read_b128 v[20:23], v49 offset:7424
	s_waitcnt lgkmcnt(2)
	v_mul_f64 v[26:27], v[12:13], v[10:11]
	v_add_f64 v[52:53], v[52:53], v[54:55]
	v_add_f64 v[24:25], v[36:37], v[38:39]
	v_fmac_f64_e32 v[26:27], v[14:15], v[8:9]
	v_add_f64 v[52:53], v[52:53], v[64:65]
	v_mul_f64 v[2:3], v[2:3], v[34:35]
	v_add_f64 v[72:73], v[24:25], v[26:27]
	ds_read_b128 v[24:27], v49 offset:7680
	ds_read_b128 v[36:39], v50 offset:3584
	v_add_f64 v[52:53], v[52:53], v[70:71]
	v_fma_f64 v[0:1], v[0:1], v[32:33], -v[2:3]
	v_mul_f64 v[2:3], v[30:31], v[6:7]
	v_add_f64 v[0:1], v[52:53], v[0:1]
	v_fma_f64 v[2:3], v[28:29], v[4:5], -v[2:3]
	ds_read_b128 v[40:43], v50 offset:3840
	ds_read_b128 v[44:47], v49 offset:7936
	v_add_f64 v[0:1], v[0:1], v[2:3]
	v_mul_f64 v[2:3], v[14:15], v[10:11]
	s_waitcnt lgkmcnt(4)
	v_mul_f64 v[74:75], v[16:17], v[22:23]
	v_fma_f64 v[2:3], v[12:13], v[8:9], -v[2:3]
	v_fmac_f64_e32 v[74:75], v[18:19], v[20:21]
	v_add_f64 v[0:1], v[0:1], v[2:3]
	v_mul_f64 v[2:3], v[18:19], v[22:23]
	v_add_f64 v[50:51], v[72:73], v[74:75]
	s_waitcnt lgkmcnt(2)
	v_mul_f64 v[72:73], v[36:37], v[26:27]
	s_mul_i32 s1, s7, s1
	s_mul_hi_u32 s4, s7, s0
	v_fma_f64 v[2:3], v[16:17], v[20:21], -v[2:3]
	v_fmac_f64_e32 v[72:73], v[38:39], v[24:25]
	s_add_i32 s1, s4, s1
	s_mul_i32 s0, s7, s0
	v_add_f64 v[0:1], v[0:1], v[2:3]
	v_mul_f64 v[2:3], v[38:39], v[26:27]
	v_add_f64 v[50:51], v[50:51], v[72:73]
	s_waitcnt lgkmcnt(0)
	v_mul_f64 v[72:73], v[40:41], v[46:47]
	s_lshl_b64 s[0:1], s[0:1], 4
	v_fma_f64 v[2:3], v[36:37], v[24:25], -v[2:3]
	v_fmac_f64_e32 v[72:73], v[42:43], v[44:45]
	s_add_u32 s4, s12, s0
	v_add_f64 v[0:1], v[0:1], v[2:3]
	v_mul_f64 v[2:3], v[42:43], v[46:47]
	v_add_f64 v[50:51], v[50:51], v[72:73]
	s_addc_u32 s5, s13, s1
	s_lshl_b64 s[0:1], s[2:3], 4
	v_fma_f64 v[2:3], v[40:41], v[44:45], -v[2:3]
	s_add_u32 s2, s4, s0
	v_add_f64 v[0:1], v[0:1], v[2:3]
	v_mul_f64 v[2:3], s[8:9], v[50:51]
	v_mul_f64 v[4:5], s[10:11], v[50:51]
	s_addc_u32 s3, s5, s1
	v_fmac_f64_e32 v[2:3], s[10:11], v[0:1]
	v_fma_f64 v[0:1], s[8:9], v[0:1], -v[4:5]
	v_mad_u64_u32 v[4:5], s[0:1], v48, s14, 0
	v_mov_b32_e32 v6, v5
	v_mad_u64_u32 v[6:7], s[0:1], v48, s15, v[6:7]
	v_mov_b32_e32 v5, v6
	v_lshlrev_b64 v[4:5], 4, v[4:5]
	v_mov_b32_e32 v6, s3
	v_add_co_u32_e32 v4, vcc, s2, v4
	v_addc_co_u32_e32 v5, vcc, v6, v5, vcc
	v_add_co_u32_e32 v4, vcc, v4, v49
	v_addc_co_u32_e32 v5, vcc, 0, v5, vcc
	global_store_dwordx4 v[4:5], v[0:3], off
.LBB142_15:
	s_endpgm
	.section	.rodata,"a",@progbits
	.p2align	6, 0x0
	.amdhsa_kernel _ZL23rocblas_trmm_rTx_kernelILi16ELb1E19rocblas_complex_numIdEPKS1_S2_S1_Ev13rocblas_fill_17rocblas_diagonal_iiT2_lPT3_llS8_llPT4_lli
		.amdhsa_group_segment_fixed_size 8192
		.amdhsa_private_segment_fixed_size 0
		.amdhsa_kernarg_size 108
		.amdhsa_user_sgpr_count 6
		.amdhsa_user_sgpr_private_segment_buffer 1
		.amdhsa_user_sgpr_dispatch_ptr 0
		.amdhsa_user_sgpr_queue_ptr 0
		.amdhsa_user_sgpr_kernarg_segment_ptr 1
		.amdhsa_user_sgpr_dispatch_id 0
		.amdhsa_user_sgpr_flat_scratch_init 0
		.amdhsa_user_sgpr_kernarg_preload_length 0
		.amdhsa_user_sgpr_kernarg_preload_offset 0
		.amdhsa_user_sgpr_private_segment_size 0
		.amdhsa_uses_dynamic_stack 0
		.amdhsa_system_sgpr_private_segment_wavefront_offset 0
		.amdhsa_system_sgpr_workgroup_id_x 1
		.amdhsa_system_sgpr_workgroup_id_y 0
		.amdhsa_system_sgpr_workgroup_id_z 1
		.amdhsa_system_sgpr_workgroup_info 0
		.amdhsa_system_vgpr_workitem_id 1
		.amdhsa_next_free_vgpr 76
		.amdhsa_next_free_sgpr 28
		.amdhsa_accum_offset 76
		.amdhsa_reserve_vcc 1
		.amdhsa_reserve_flat_scratch 0
		.amdhsa_float_round_mode_32 0
		.amdhsa_float_round_mode_16_64 0
		.amdhsa_float_denorm_mode_32 3
		.amdhsa_float_denorm_mode_16_64 3
		.amdhsa_dx10_clamp 1
		.amdhsa_ieee_mode 1
		.amdhsa_fp16_overflow 0
		.amdhsa_tg_split 0
		.amdhsa_exception_fp_ieee_invalid_op 0
		.amdhsa_exception_fp_denorm_src 0
		.amdhsa_exception_fp_ieee_div_zero 0
		.amdhsa_exception_fp_ieee_overflow 0
		.amdhsa_exception_fp_ieee_underflow 0
		.amdhsa_exception_fp_ieee_inexact 0
		.amdhsa_exception_int_div_zero 0
	.end_amdhsa_kernel
	.section	.text._ZL23rocblas_trmm_rTx_kernelILi16ELb1E19rocblas_complex_numIdEPKS1_S2_S1_Ev13rocblas_fill_17rocblas_diagonal_iiT2_lPT3_llS8_llPT4_lli,"axG",@progbits,_ZL23rocblas_trmm_rTx_kernelILi16ELb1E19rocblas_complex_numIdEPKS1_S2_S1_Ev13rocblas_fill_17rocblas_diagonal_iiT2_lPT3_llS8_llPT4_lli,comdat
.Lfunc_end142:
	.size	_ZL23rocblas_trmm_rTx_kernelILi16ELb1E19rocblas_complex_numIdEPKS1_S2_S1_Ev13rocblas_fill_17rocblas_diagonal_iiT2_lPT3_llS8_llPT4_lli, .Lfunc_end142-_ZL23rocblas_trmm_rTx_kernelILi16ELb1E19rocblas_complex_numIdEPKS1_S2_S1_Ev13rocblas_fill_17rocblas_diagonal_iiT2_lPT3_llS8_llPT4_lli
                                        ; -- End function
	.section	.AMDGPU.csdata,"",@progbits
; Kernel info:
; codeLenInByte = 1832
; NumSgprs: 32
; NumVgprs: 76
; NumAgprs: 0
; TotalNumVgprs: 76
; ScratchSize: 0
; MemoryBound: 0
; FloatMode: 240
; IeeeMode: 1
; LDSByteSize: 8192 bytes/workgroup (compile time only)
; SGPRBlocks: 3
; VGPRBlocks: 9
; NumSGPRsForWavesPerEU: 32
; NumVGPRsForWavesPerEU: 76
; AccumOffset: 76
; Occupancy: 6
; WaveLimiterHint : 0
; COMPUTE_PGM_RSRC2:SCRATCH_EN: 0
; COMPUTE_PGM_RSRC2:USER_SGPR: 6
; COMPUTE_PGM_RSRC2:TRAP_HANDLER: 0
; COMPUTE_PGM_RSRC2:TGID_X_EN: 1
; COMPUTE_PGM_RSRC2:TGID_Y_EN: 0
; COMPUTE_PGM_RSRC2:TGID_Z_EN: 1
; COMPUTE_PGM_RSRC2:TIDIG_COMP_CNT: 1
; COMPUTE_PGM_RSRC3_GFX90A:ACCUM_OFFSET: 18
; COMPUTE_PGM_RSRC3_GFX90A:TG_SPLIT: 0
	.section	.text._ZL23rocblas_trmm_rTx_kernelILi16ELb1E19rocblas_complex_numIdES1_KS1_S1_Ev13rocblas_fill_17rocblas_diagonal_iiT2_lPT3_llS7_llPT4_lli,"axG",@progbits,_ZL23rocblas_trmm_rTx_kernelILi16ELb1E19rocblas_complex_numIdES1_KS1_S1_Ev13rocblas_fill_17rocblas_diagonal_iiT2_lPT3_llS7_llPT4_lli,comdat
	.globl	_ZL23rocblas_trmm_rTx_kernelILi16ELb1E19rocblas_complex_numIdES1_KS1_S1_Ev13rocblas_fill_17rocblas_diagonal_iiT2_lPT3_llS7_llPT4_lli ; -- Begin function _ZL23rocblas_trmm_rTx_kernelILi16ELb1E19rocblas_complex_numIdES1_KS1_S1_Ev13rocblas_fill_17rocblas_diagonal_iiT2_lPT3_llS7_llPT4_lli
	.p2align	8
	.type	_ZL23rocblas_trmm_rTx_kernelILi16ELb1E19rocblas_complex_numIdES1_KS1_S1_Ev13rocblas_fill_17rocblas_diagonal_iiT2_lPT3_llS7_llPT4_lli,@function
_ZL23rocblas_trmm_rTx_kernelILi16ELb1E19rocblas_complex_numIdES1_KS1_S1_Ev13rocblas_fill_17rocblas_diagonal_iiT2_lPT3_llS7_llPT4_lli: ; @_ZL23rocblas_trmm_rTx_kernelILi16ELb1E19rocblas_complex_numIdES1_KS1_S1_Ev13rocblas_fill_17rocblas_diagonal_iiT2_lPT3_llS7_llPT4_lli
; %bb.0:
	s_load_dwordx4 s[24:27], s[4:5], 0x10
	s_waitcnt lgkmcnt(0)
	v_cmp_neq_f64_e64 s[0:1], s[24:25], 0
	v_cmp_neq_f64_e64 s[2:3], s[26:27], 0
	s_or_b64 s[0:1], s[0:1], s[2:3]
	s_andn2_b64 vcc, exec, s[0:1]
	s_cbranch_vccnz .LBB143_15
; %bb.1:
	s_load_dwordx4 s[28:31], s[4:5], 0x0
	s_load_dwordx16 s[8:23], s[4:5], 0x28
	s_mov_b32 s0, 0
	s_mov_b32 s2, s0
	s_mov_b32 s3, s0
	v_and_b32_e32 v1, 0x3ff, v0
	v_bfe_u32 v48, v0, 10, 10
	s_mov_b32 s1, s0
	v_pk_mov_b32 v[4:5], s[2:3], s[2:3] op_sel:[0,1]
	v_lshlrev_b32_e32 v50, 4, v48
	v_pk_mov_b32 v[2:3], s[0:1], s[0:1] op_sel:[0,1]
	s_waitcnt lgkmcnt(0)
	v_cmp_gt_i32_e32 vcc, s31, v48
	v_cmp_gt_i32_e64 s[0:1], s31, v1
	v_add_lshl_u32 v0, v50, v1, 4
	s_and_b64 s[0:1], vcc, s[0:1]
	v_lshlrev_b32_e32 v49, 4, v1
	ds_write_b128 v0, v[2:5]
	ds_write_b128 v0, v[2:5] offset:4096
	s_and_saveexec_b64 s[2:3], s[0:1]
	s_cbranch_execz .LBB143_3
; %bb.2:
	s_mul_i32 s0, s7, s13
	s_mul_hi_u32 s1, s7, s12
	s_add_i32 s1, s1, s0
	s_mul_i32 s0, s7, s12
	s_lshl_b64 s[0:1], s[0:1], 4
	s_add_u32 s8, s8, s0
	s_addc_u32 s9, s9, s1
	v_mad_u64_u32 v[2:3], s[0:1], v48, s10, 0
	v_mov_b32_e32 v4, v3
	v_mad_u64_u32 v[4:5], s[0:1], v48, s11, v[4:5]
	v_mov_b32_e32 v3, v4
	v_lshlrev_b64 v[2:3], 4, v[2:3]
	v_mov_b32_e32 v4, s9
	v_add_co_u32_e64 v2, s[0:1], s8, v2
	v_addc_co_u32_e64 v3, s[0:1], v4, v3, s[0:1]
	v_add_co_u32_e64 v2, s[0:1], v2, v49
	v_addc_co_u32_e64 v3, s[0:1], 0, v3, s[0:1]
	global_load_dwordx4 v[2:5], v[2:3], off
	s_waitcnt vmcnt(0)
	v_xor_b32_e32 v5, 0x80000000, v5
	ds_write_b128 v0, v[2:5]
.LBB143_3:
	s_or_b64 exec, exec, s[2:3]
	s_add_i32 s0, s30, -1
	s_ashr_i32 s1, s0, 31
	s_lshr_b32 s1, s1, 28
	s_add_i32 s0, s0, s1
	s_ashr_i32 s1, s0, 4
	s_and_b32 s0, s0, -16
	s_sub_i32 s0, s30, s0
	s_cmp_ge_i32 s6, s1
	s_cselect_b32 s0, s0, 16
	s_lshl_b32 s2, s6, 4
	v_cmp_gt_i32_e64 s[0:1], s0, v1
	s_ashr_i32 s3, s2, 31
	s_and_b64 s[0:1], vcc, s[0:1]
	s_and_saveexec_b64 s[8:9], s[0:1]
	s_cbranch_execz .LBB143_5
; %bb.4:
	s_mul_i32 s6, s7, s19
	s_mul_hi_u32 s10, s7, s18
	s_add_i32 s11, s10, s6
	s_mul_i32 s10, s7, s18
	s_lshl_b64 s[10:11], s[10:11], 4
	s_add_u32 s6, s14, s10
	s_addc_u32 s12, s15, s11
	s_lshl_b64 s[10:11], s[2:3], 4
	s_add_u32 s6, s6, s10
	s_addc_u32 s12, s12, s11
	v_mad_u64_u32 v[2:3], s[10:11], v48, s16, 0
	v_mov_b32_e32 v4, v3
	v_mad_u64_u32 v[4:5], s[10:11], v48, s17, v[4:5]
	v_mov_b32_e32 v3, v4
	v_lshlrev_b64 v[2:3], 4, v[2:3]
	v_mov_b32_e32 v4, s12
	v_add_co_u32_e32 v2, vcc, s6, v2
	v_addc_co_u32_e32 v3, vcc, v4, v3, vcc
	v_add_co_u32_e32 v2, vcc, v2, v49
	v_addc_co_u32_e32 v3, vcc, 0, v3, vcc
	global_load_dwordx4 v[2:5], v[2:3], off
	v_add_u32_e32 v6, 0x1000, v0
	s_waitcnt vmcnt(0)
	ds_write2_b64 v6, v[2:3], v[4:5] offset1:1
.LBB143_5:
	s_or_b64 exec, exec, s[8:9]
	s_cmpk_eq_i32 s29, 0x84
	s_cselect_b64 s[8:9], -1, 0
	v_cmp_eq_u32_e32 vcc, v48, v1
	s_and_b64 s[10:11], vcc, s[8:9]
	s_and_saveexec_b64 s[8:9], s[10:11]
	s_cbranch_execz .LBB143_7
; %bb.6:
	v_mov_b32_e32 v2, 0
	v_mov_b32_e32 v3, 0x3ff00000
	;; [unrolled: 1-line block ×4, first 2 shown]
	ds_write_b128 v0, v[2:5]
.LBB143_7:
	s_or_b64 exec, exec, s[8:9]
	s_cmpk_lg_i32 s28, 0x79
	s_cbranch_scc0 .LBB143_9
; %bb.8:
	v_cmp_lt_u32_e32 vcc, v1, v48
	s_and_b64 s[8:9], vcc, exec
	s_cbranch_execz .LBB143_10
	s_branch .LBB143_11
.LBB143_9:
	s_mov_b64 s[8:9], 0
.LBB143_10:
	v_cmp_gt_u32_e32 vcc, v1, v48
	s_andn2_b64 s[8:9], s[8:9], exec
	s_and_b64 s[10:11], vcc, exec
	s_or_b64 s[8:9], s[8:9], s[10:11]
.LBB143_11:
	s_and_saveexec_b64 s[10:11], s[8:9]
	s_cbranch_execz .LBB143_13
; %bb.12:
	v_mov_b32_e32 v2, 0
	v_mov_b32_e32 v3, v2
	;; [unrolled: 1-line block ×4, first 2 shown]
	ds_write_b128 v0, v[2:5]
.LBB143_13:
	s_or_b64 exec, exec, s[10:11]
	s_waitcnt lgkmcnt(0)
	s_barrier
	s_and_saveexec_b64 s[8:9], s[0:1]
	s_cbranch_execz .LBB143_15
; %bb.14:
	ds_read_b128 v[0:3], v50
	ds_read_b128 v[4:7], v50 offset:256
	ds_read_b128 v[8:11], v49 offset:4096
	;; [unrolled: 1-line block ×3, first 2 shown]
	s_load_dwordx2 s[0:1], s[4:5], 0x68
	s_waitcnt lgkmcnt(0)
	v_mul_f64 v[16:17], v[0:1], v[10:11]
	v_fmac_f64_e32 v[16:17], v[2:3], v[8:9]
	v_add_f64 v[34:35], v[16:17], 0
	ds_read_b128 v[16:19], v49 offset:4608
	ds_read_b128 v[20:23], v50 offset:512
	v_mul_f64 v[32:33], v[4:5], v[14:15]
	v_fmac_f64_e32 v[32:33], v[6:7], v[12:13]
	ds_read_b128 v[24:27], v50 offset:768
	ds_read_b128 v[28:31], v49 offset:4864
	v_add_f64 v[32:33], v[34:35], v[32:33]
	s_waitcnt lgkmcnt(2)
	v_mul_f64 v[34:35], v[20:21], v[18:19]
	v_fmac_f64_e32 v[34:35], v[22:23], v[16:17]
	v_add_f64 v[52:53], v[32:33], v[34:35]
	ds_read_b128 v[32:35], v49 offset:5120
	ds_read_b128 v[36:39], v50 offset:1024
	;; [unrolled: 1-line block ×4, first 2 shown]
	s_waitcnt lgkmcnt(4)
	v_mul_f64 v[54:55], v[24:25], v[30:31]
	v_fmac_f64_e32 v[54:55], v[26:27], v[28:29]
	v_add_f64 v[52:53], v[52:53], v[54:55]
	s_waitcnt lgkmcnt(2)
	v_mul_f64 v[54:55], v[36:37], v[34:35]
	v_fmac_f64_e32 v[54:55], v[38:39], v[32:33]
	v_add_f64 v[52:53], v[52:53], v[54:55]
	s_waitcnt lgkmcnt(0)
	v_mul_f64 v[54:55], v[40:41], v[46:47]
	v_fmac_f64_e32 v[54:55], v[42:43], v[44:45]
	v_mul_f64 v[2:3], v[2:3], v[10:11]
	v_add_f64 v[56:57], v[52:53], v[54:55]
	ds_read_b128 v[52:55], v49 offset:5632
	v_fma_f64 v[58:59], v[0:1], v[8:9], -v[2:3]
	ds_read_b128 v[0:3], v50 offset:1536
	v_mul_f64 v[6:7], v[6:7], v[14:15]
	v_fma_f64 v[60:61], v[4:5], v[12:13], -v[6:7]
	ds_read_b128 v[4:7], v50 offset:1792
	ds_read_b128 v[8:11], v49 offset:5888
	v_add_f64 v[58:59], v[58:59], 0
	s_waitcnt lgkmcnt(2)
	v_mul_f64 v[12:13], v[0:1], v[54:55]
	v_fmac_f64_e32 v[12:13], v[2:3], v[52:53]
	v_add_f64 v[56:57], v[56:57], v[12:13]
	v_mul_f64 v[12:13], v[22:23], v[18:19]
	v_fma_f64 v[62:63], v[20:21], v[16:17], -v[12:13]
	v_mul_f64 v[16:17], v[26:27], v[30:31]
	ds_read_b128 v[12:15], v49 offset:6144
	v_fma_f64 v[66:67], v[24:25], v[28:29], -v[16:17]
	ds_read_b128 v[16:19], v50 offset:2048
	s_waitcnt lgkmcnt(2)
	v_mul_f64 v[64:65], v[4:5], v[10:11]
	v_fmac_f64_e32 v[64:65], v[6:7], v[8:9]
	v_mul_f64 v[20:21], v[38:39], v[34:35]
	v_add_f64 v[28:29], v[56:57], v[64:65]
	s_waitcnt lgkmcnt(0)
	v_mul_f64 v[30:31], v[16:17], v[14:15]
	v_fmac_f64_e32 v[30:31], v[18:19], v[12:13]
	v_fma_f64 v[68:69], v[36:37], v[32:33], -v[20:21]
	ds_read_b128 v[20:23], v50 offset:2304
	ds_read_b128 v[24:27], v49 offset:6400
	v_add_f64 v[36:37], v[28:29], v[30:31]
	v_mul_f64 v[28:29], v[42:43], v[46:47]
	v_mul_f64 v[2:3], v[2:3], v[54:55]
	v_fma_f64 v[56:57], v[40:41], v[44:45], -v[28:29]
	v_fma_f64 v[52:53], v[0:1], v[52:53], -v[2:3]
	ds_read_b128 v[0:3], v50 offset:2560
	ds_read_b128 v[28:31], v50 offset:2816
	;; [unrolled: 1-line block ×3, first 2 shown]
	s_waitcnt lgkmcnt(3)
	v_mul_f64 v[38:39], v[20:21], v[26:27]
	v_fmac_f64_e32 v[38:39], v[22:23], v[24:25]
	v_mul_f64 v[6:7], v[6:7], v[10:11]
	v_fma_f64 v[54:55], v[4:5], v[8:9], -v[6:7]
	s_waitcnt lgkmcnt(0)
	v_mul_f64 v[10:11], v[0:1], v[34:35]
	v_add_f64 v[8:9], v[36:37], v[38:39]
	v_fmac_f64_e32 v[10:11], v[2:3], v[32:33]
	ds_read_b128 v[4:7], v49 offset:6912
	v_add_f64 v[36:37], v[8:9], v[10:11]
	v_mul_f64 v[8:9], v[18:19], v[14:15]
	v_add_f64 v[58:59], v[58:59], v[60:61]
	v_fma_f64 v[64:65], v[16:17], v[12:13], -v[8:9]
	ds_read_b128 v[8:11], v49 offset:7168
	ds_read_b128 v[12:15], v50 offset:3072
	v_add_f64 v[58:59], v[58:59], v[62:63]
	v_add_f64 v[58:59], v[58:59], v[66:67]
	;; [unrolled: 1-line block ×4, first 2 shown]
	s_waitcnt lgkmcnt(2)
	v_mul_f64 v[38:39], v[28:29], v[6:7]
	v_mul_f64 v[16:17], v[22:23], v[26:27]
	v_add_f64 v[52:53], v[56:57], v[52:53]
	v_fmac_f64_e32 v[38:39], v[30:31], v[4:5]
	v_fma_f64 v[70:71], v[20:21], v[24:25], -v[16:17]
	ds_read_b128 v[16:19], v50 offset:3328
	ds_read_b128 v[20:23], v49 offset:7424
	s_waitcnt lgkmcnt(2)
	v_mul_f64 v[26:27], v[12:13], v[10:11]
	v_add_f64 v[52:53], v[52:53], v[54:55]
	v_add_f64 v[24:25], v[36:37], v[38:39]
	v_fmac_f64_e32 v[26:27], v[14:15], v[8:9]
	v_add_f64 v[52:53], v[52:53], v[64:65]
	v_mul_f64 v[2:3], v[2:3], v[34:35]
	v_add_f64 v[72:73], v[24:25], v[26:27]
	ds_read_b128 v[24:27], v49 offset:7680
	ds_read_b128 v[36:39], v50 offset:3584
	v_add_f64 v[52:53], v[52:53], v[70:71]
	v_fma_f64 v[0:1], v[0:1], v[32:33], -v[2:3]
	v_mul_f64 v[2:3], v[30:31], v[6:7]
	v_add_f64 v[0:1], v[52:53], v[0:1]
	v_fma_f64 v[2:3], v[28:29], v[4:5], -v[2:3]
	ds_read_b128 v[40:43], v50 offset:3840
	ds_read_b128 v[44:47], v49 offset:7936
	v_add_f64 v[0:1], v[0:1], v[2:3]
	v_mul_f64 v[2:3], v[14:15], v[10:11]
	s_waitcnt lgkmcnt(4)
	v_mul_f64 v[74:75], v[16:17], v[22:23]
	v_fma_f64 v[2:3], v[12:13], v[8:9], -v[2:3]
	v_fmac_f64_e32 v[74:75], v[18:19], v[20:21]
	v_add_f64 v[0:1], v[0:1], v[2:3]
	v_mul_f64 v[2:3], v[18:19], v[22:23]
	v_add_f64 v[50:51], v[72:73], v[74:75]
	s_waitcnt lgkmcnt(2)
	v_mul_f64 v[72:73], v[36:37], v[26:27]
	s_mul_i32 s1, s7, s1
	s_mul_hi_u32 s4, s7, s0
	v_fma_f64 v[2:3], v[16:17], v[20:21], -v[2:3]
	v_fmac_f64_e32 v[72:73], v[38:39], v[24:25]
	s_add_i32 s1, s4, s1
	s_mul_i32 s0, s7, s0
	v_add_f64 v[0:1], v[0:1], v[2:3]
	v_mul_f64 v[2:3], v[38:39], v[26:27]
	v_add_f64 v[50:51], v[50:51], v[72:73]
	s_waitcnt lgkmcnt(0)
	v_mul_f64 v[72:73], v[40:41], v[46:47]
	s_lshl_b64 s[0:1], s[0:1], 4
	v_fma_f64 v[2:3], v[36:37], v[24:25], -v[2:3]
	v_fmac_f64_e32 v[72:73], v[42:43], v[44:45]
	s_add_u32 s4, s20, s0
	v_add_f64 v[0:1], v[0:1], v[2:3]
	v_mul_f64 v[2:3], v[42:43], v[46:47]
	v_add_f64 v[50:51], v[50:51], v[72:73]
	s_addc_u32 s5, s21, s1
	s_lshl_b64 s[0:1], s[2:3], 4
	v_fma_f64 v[2:3], v[40:41], v[44:45], -v[2:3]
	s_add_u32 s2, s4, s0
	v_add_f64 v[0:1], v[0:1], v[2:3]
	v_mul_f64 v[2:3], s[24:25], v[50:51]
	v_mul_f64 v[4:5], s[26:27], v[50:51]
	s_addc_u32 s3, s5, s1
	v_fmac_f64_e32 v[2:3], s[26:27], v[0:1]
	v_fma_f64 v[0:1], s[24:25], v[0:1], -v[4:5]
	v_mad_u64_u32 v[4:5], s[0:1], v48, s22, 0
	v_mov_b32_e32 v6, v5
	v_mad_u64_u32 v[6:7], s[0:1], v48, s23, v[6:7]
	v_mov_b32_e32 v5, v6
	v_lshlrev_b64 v[4:5], 4, v[4:5]
	v_mov_b32_e32 v6, s3
	v_add_co_u32_e32 v4, vcc, s2, v4
	v_addc_co_u32_e32 v5, vcc, v6, v5, vcc
	v_add_co_u32_e32 v4, vcc, v4, v49
	v_addc_co_u32_e32 v5, vcc, 0, v5, vcc
	global_store_dwordx4 v[4:5], v[0:3], off
.LBB143_15:
	s_endpgm
	.section	.rodata,"a",@progbits
	.p2align	6, 0x0
	.amdhsa_kernel _ZL23rocblas_trmm_rTx_kernelILi16ELb1E19rocblas_complex_numIdES1_KS1_S1_Ev13rocblas_fill_17rocblas_diagonal_iiT2_lPT3_llS7_llPT4_lli
		.amdhsa_group_segment_fixed_size 8192
		.amdhsa_private_segment_fixed_size 0
		.amdhsa_kernarg_size 116
		.amdhsa_user_sgpr_count 6
		.amdhsa_user_sgpr_private_segment_buffer 1
		.amdhsa_user_sgpr_dispatch_ptr 0
		.amdhsa_user_sgpr_queue_ptr 0
		.amdhsa_user_sgpr_kernarg_segment_ptr 1
		.amdhsa_user_sgpr_dispatch_id 0
		.amdhsa_user_sgpr_flat_scratch_init 0
		.amdhsa_user_sgpr_kernarg_preload_length 0
		.amdhsa_user_sgpr_kernarg_preload_offset 0
		.amdhsa_user_sgpr_private_segment_size 0
		.amdhsa_uses_dynamic_stack 0
		.amdhsa_system_sgpr_private_segment_wavefront_offset 0
		.amdhsa_system_sgpr_workgroup_id_x 1
		.amdhsa_system_sgpr_workgroup_id_y 0
		.amdhsa_system_sgpr_workgroup_id_z 1
		.amdhsa_system_sgpr_workgroup_info 0
		.amdhsa_system_vgpr_workitem_id 1
		.amdhsa_next_free_vgpr 76
		.amdhsa_next_free_sgpr 32
		.amdhsa_accum_offset 76
		.amdhsa_reserve_vcc 1
		.amdhsa_reserve_flat_scratch 0
		.amdhsa_float_round_mode_32 0
		.amdhsa_float_round_mode_16_64 0
		.amdhsa_float_denorm_mode_32 3
		.amdhsa_float_denorm_mode_16_64 3
		.amdhsa_dx10_clamp 1
		.amdhsa_ieee_mode 1
		.amdhsa_fp16_overflow 0
		.amdhsa_tg_split 0
		.amdhsa_exception_fp_ieee_invalid_op 0
		.amdhsa_exception_fp_denorm_src 0
		.amdhsa_exception_fp_ieee_div_zero 0
		.amdhsa_exception_fp_ieee_overflow 0
		.amdhsa_exception_fp_ieee_underflow 0
		.amdhsa_exception_fp_ieee_inexact 0
		.amdhsa_exception_int_div_zero 0
	.end_amdhsa_kernel
	.section	.text._ZL23rocblas_trmm_rTx_kernelILi16ELb1E19rocblas_complex_numIdES1_KS1_S1_Ev13rocblas_fill_17rocblas_diagonal_iiT2_lPT3_llS7_llPT4_lli,"axG",@progbits,_ZL23rocblas_trmm_rTx_kernelILi16ELb1E19rocblas_complex_numIdES1_KS1_S1_Ev13rocblas_fill_17rocblas_diagonal_iiT2_lPT3_llS7_llPT4_lli,comdat
.Lfunc_end143:
	.size	_ZL23rocblas_trmm_rTx_kernelILi16ELb1E19rocblas_complex_numIdES1_KS1_S1_Ev13rocblas_fill_17rocblas_diagonal_iiT2_lPT3_llS7_llPT4_lli, .Lfunc_end143-_ZL23rocblas_trmm_rTx_kernelILi16ELb1E19rocblas_complex_numIdES1_KS1_S1_Ev13rocblas_fill_17rocblas_diagonal_iiT2_lPT3_llS7_llPT4_lli
                                        ; -- End function
	.section	.AMDGPU.csdata,"",@progbits
; Kernel info:
; codeLenInByte = 1792
; NumSgprs: 36
; NumVgprs: 76
; NumAgprs: 0
; TotalNumVgprs: 76
; ScratchSize: 0
; MemoryBound: 0
; FloatMode: 240
; IeeeMode: 1
; LDSByteSize: 8192 bytes/workgroup (compile time only)
; SGPRBlocks: 4
; VGPRBlocks: 9
; NumSGPRsForWavesPerEU: 36
; NumVGPRsForWavesPerEU: 76
; AccumOffset: 76
; Occupancy: 6
; WaveLimiterHint : 0
; COMPUTE_PGM_RSRC2:SCRATCH_EN: 0
; COMPUTE_PGM_RSRC2:USER_SGPR: 6
; COMPUTE_PGM_RSRC2:TRAP_HANDLER: 0
; COMPUTE_PGM_RSRC2:TGID_X_EN: 1
; COMPUTE_PGM_RSRC2:TGID_Y_EN: 0
; COMPUTE_PGM_RSRC2:TGID_Z_EN: 1
; COMPUTE_PGM_RSRC2:TIDIG_COMP_CNT: 1
; COMPUTE_PGM_RSRC3_GFX90A:ACCUM_OFFSET: 18
; COMPUTE_PGM_RSRC3_GFX90A:TG_SPLIT: 0
	.section	.text._ZL23rocblas_trmm_lNx_kernelILi32EfPKfKS1_KPfEv13rocblas_fill_17rocblas_diagonal_iiT1_lPT2_llS9_llPT3_lli,"axG",@progbits,_ZL23rocblas_trmm_lNx_kernelILi32EfPKfKS1_KPfEv13rocblas_fill_17rocblas_diagonal_iiT1_lPT2_llS9_llPT3_lli,comdat
	.globl	_ZL23rocblas_trmm_lNx_kernelILi32EfPKfKS1_KPfEv13rocblas_fill_17rocblas_diagonal_iiT1_lPT2_llS9_llPT3_lli ; -- Begin function _ZL23rocblas_trmm_lNx_kernelILi32EfPKfKS1_KPfEv13rocblas_fill_17rocblas_diagonal_iiT1_lPT2_llS9_llPT3_lli
	.p2align	8
	.type	_ZL23rocblas_trmm_lNx_kernelILi32EfPKfKS1_KPfEv13rocblas_fill_17rocblas_diagonal_iiT1_lPT2_llS9_llPT3_lli,@function
_ZL23rocblas_trmm_lNx_kernelILi32EfPKfKS1_KPfEv13rocblas_fill_17rocblas_diagonal_iiT1_lPT2_llS9_llPT3_lli: ; @_ZL23rocblas_trmm_lNx_kernelILi32EfPKfKS1_KPfEv13rocblas_fill_17rocblas_diagonal_iiT1_lPT2_llS9_llPT3_lli
; %bb.0:
	s_load_dwordx16 s[8:23], s[4:5], 0x10
	s_waitcnt lgkmcnt(0)
	s_mul_i32 s0, s7, s11
	s_mul_hi_u32 s1, s7, s10
	s_add_i32 s1, s1, s0
	s_mul_i32 s0, s7, s10
	s_lshl_b64 s[0:1], s[0:1], 2
	s_add_u32 s0, s8, s0
	s_addc_u32 s1, s9, s1
	s_load_dword s30, s[0:1], 0x0
	s_waitcnt lgkmcnt(0)
	v_cmp_eq_f32_e64 s[0:1], s30, 0
	s_and_b64 vcc, exec, s[0:1]
	s_cbranch_vccnz .LBB144_15
; %bb.1:
	s_load_dwordx4 s[8:11], s[4:5], 0x0
	s_load_dwordx4 s[0:3], s[4:5], 0x50
	s_mov_b32 s24, s7
	s_mov_b32 s25, 0
	s_lshl_b64 s[28:29], s[24:25], 3
	s_add_u32 s18, s18, s28
	s_addc_u32 s19, s19, s29
	s_waitcnt lgkmcnt(0)
	s_add_u32 s0, s0, s28
	s_addc_u32 s1, s1, s29
	s_load_dwordx2 s[24:25], s[18:19], 0x0
	v_and_b32_e32 v4, 0x3ff, v0
	s_load_dwordx2 s[18:19], s[0:1], 0x0
	v_bfe_u32 v0, v0, 10, 10
	v_lshlrev_b32_e32 v2, 5, v0
	v_add_lshl_u32 v3, v2, v4, 2
	v_mov_b32_e32 v1, 0
	v_cmp_gt_i32_e64 s[0:1], s10, v0
	v_cmp_gt_i32_e32 vcc, s10, v4
	ds_write2st64_b32 v3, v1, v1 offset1:16
	s_and_b64 s[0:1], s[0:1], vcc
	v_lshlrev_b32_e32 v1, 2, v4
	s_and_saveexec_b64 s[26:27], s[0:1]
	s_cbranch_execz .LBB144_3
; %bb.2:
	s_add_u32 s0, s12, s28
	s_addc_u32 s1, s13, s29
	s_load_dwordx2 s[0:1], s[0:1], 0x0
	v_mad_u64_u32 v[6:7], s[12:13], v0, s14, 0
	s_lshl_b64 s[12:13], s[16:17], 2
	v_mov_b32_e32 v8, v7
	s_waitcnt lgkmcnt(0)
	s_add_u32 s7, s0, s12
	s_addc_u32 s10, s1, s13
	v_mad_u64_u32 v[8:9], s[0:1], v0, s15, v[8:9]
	v_mov_b32_e32 v7, v8
	v_lshlrev_b64 v[6:7], 2, v[6:7]
	v_mov_b32_e32 v5, s10
	v_add_co_u32_e64 v6, s[0:1], s7, v6
	v_addc_co_u32_e64 v5, s[0:1], v5, v7, s[0:1]
	v_add_co_u32_e64 v6, s[0:1], v6, v1
	v_addc_co_u32_e64 v7, s[0:1], 0, v5, s[0:1]
	global_load_dword v5, v[6:7], off
	s_waitcnt vmcnt(0)
	ds_write_b32 v3, v5
.LBB144_3:
	s_or_b64 exec, exec, s[26:27]
	s_add_i32 s0, s11, -1
	s_ashr_i32 s1, s0, 31
	s_lshr_b32 s1, s1, 27
	s_add_i32 s0, s0, s1
	s_ashr_i32 s1, s0, 5
	s_andn2_b32 s0, s0, 31
	s_sub_i32 s0, s11, s0
	s_cmp_ge_i32 s6, s1
	s_cselect_b32 s0, s0, 32
	s_lshl_b32 s10, s6, 5
	v_cmp_gt_i32_e64 s[0:1], s0, v0
	s_ashr_i32 s11, s10, 31
	s_and_b64 s[0:1], vcc, s[0:1]
	s_and_saveexec_b64 s[6:7], s[0:1]
	s_cbranch_execz .LBB144_5
; %bb.4:
	s_lshl_b64 s[12:13], s[22:23], 2
	s_waitcnt lgkmcnt(0)
	s_add_u32 s14, s24, s12
	s_addc_u32 s15, s25, s13
	s_mul_i32 s12, s10, s21
	s_mul_hi_u32 s13, s10, s20
	s_add_i32 s12, s13, s12
	s_mul_i32 s13, s11, s20
	s_add_i32 s13, s12, s13
	s_mul_i32 s12, s10, s20
	s_lshl_b64 s[12:13], s[12:13], 2
	s_add_u32 s14, s14, s12
	s_addc_u32 s15, s15, s13
	v_mad_u64_u32 v[6:7], s[12:13], v0, s20, 0
	v_mov_b32_e32 v8, v7
	v_mad_u64_u32 v[8:9], s[12:13], v0, s21, v[8:9]
	v_mov_b32_e32 v7, v8
	v_lshlrev_b64 v[6:7], 2, v[6:7]
	v_mov_b32_e32 v5, s15
	v_add_co_u32_e32 v6, vcc, s14, v6
	v_addc_co_u32_e32 v5, vcc, v5, v7, vcc
	v_add_co_u32_e32 v6, vcc, v6, v1
	v_addc_co_u32_e32 v7, vcc, 0, v5, vcc
	global_load_dword v5, v[6:7], off
	v_add_u32_e32 v6, 0x1000, v3
	s_waitcnt vmcnt(0)
	ds_write_b32 v6, v5
.LBB144_5:
	s_or_b64 exec, exec, s[6:7]
	s_cmpk_eq_i32 s9, 0x84
	s_cselect_b64 s[6:7], -1, 0
	v_cmp_eq_u32_e32 vcc, v0, v4
	s_and_b64 s[12:13], vcc, s[6:7]
	s_and_saveexec_b64 s[6:7], s[12:13]
	s_cbranch_execz .LBB144_7
; %bb.6:
	v_mov_b32_e32 v5, 1.0
	ds_write_b32 v3, v5
.LBB144_7:
	s_or_b64 exec, exec, s[6:7]
	s_cmpk_lg_i32 s8, 0x79
	s_cbranch_scc0 .LBB144_9
; %bb.8:
	v_cmp_lt_u32_e32 vcc, v4, v0
	s_and_b64 s[6:7], vcc, exec
	s_cbranch_execz .LBB144_10
	s_branch .LBB144_11
.LBB144_9:
	s_mov_b64 s[6:7], 0
.LBB144_10:
	v_cmp_gt_u32_e32 vcc, v4, v0
	s_andn2_b64 s[6:7], s[6:7], exec
	s_and_b64 s[8:9], vcc, exec
	s_or_b64 s[6:7], s[6:7], s[8:9]
.LBB144_11:
	s_and_saveexec_b64 s[8:9], s[6:7]
	s_cbranch_execz .LBB144_13
; %bb.12:
	v_mov_b32_e32 v4, 0
	ds_write_b32 v3, v4
.LBB144_13:
	s_or_b64 exec, exec, s[8:9]
	s_waitcnt lgkmcnt(0)
	s_barrier
	s_and_saveexec_b64 s[6:7], s[0:1]
	s_cbranch_execz .LBB144_15
; %bb.14:
	ds_read2_b32 v[18:19], v1 offset1:32
	v_lshlrev_b32_e32 v24, 2, v2
	ds_read_b128 v[2:5], v24 offset:4096
	ds_read_b128 v[6:9], v24 offset:4112
	ds_read2_b32 v[20:21], v1 offset0:64 offset1:96
	ds_read_b128 v[10:13], v24 offset:4128
	ds_read_b128 v[14:17], v24 offset:4144
	ds_read2_b32 v[22:23], v1 offset0:128 offset1:160
	s_load_dwordx2 s[0:1], s[4:5], 0x60
	s_waitcnt lgkmcnt(0)
	v_fma_f32 v18, v18, v2, 0
	v_fmac_f32_e32 v18, v19, v3
	ds_read2_b32 v[2:3], v1 offset0:192 offset1:224
	v_fmac_f32_e32 v18, v20, v4
	v_add_u32_e32 v19, 0x400, v1
	v_fmac_f32_e32 v18, v21, v5
	ds_read2_b32 v[4:5], v19 offset1:32
	v_fmac_f32_e32 v18, v22, v6
	v_fmac_f32_e32 v18, v23, v7
	ds_read2_b32 v[6:7], v19 offset0:64 offset1:96
	s_waitcnt lgkmcnt(2)
	v_fmac_f32_e32 v18, v2, v8
	v_fmac_f32_e32 v18, v3, v9
	ds_read2_b32 v[2:3], v19 offset0:128 offset1:160
	s_waitcnt lgkmcnt(2)
	v_fmac_f32_e32 v18, v4, v10
	v_fmac_f32_e32 v18, v5, v11
	s_waitcnt lgkmcnt(1)
	v_fmac_f32_e32 v18, v6, v12
	v_fmac_f32_e32 v18, v7, v13
	ds_read2_b32 v[6:7], v19 offset0:192 offset1:224
	s_waitcnt lgkmcnt(1)
	v_fmac_f32_e32 v18, v2, v14
	v_add_u32_e32 v19, 0x800, v1
	v_fmac_f32_e32 v18, v3, v15
	ds_read2_b32 v[10:11], v19 offset1:32
	ds_read_b128 v[2:5], v24 offset:4160
	s_waitcnt lgkmcnt(2)
	v_fmac_f32_e32 v18, v6, v16
	v_fmac_f32_e32 v18, v7, v17
	ds_read2_b32 v[12:13], v19 offset0:64 offset1:96
	ds_read_b128 v[6:9], v24 offset:4176
	ds_read2_b32 v[14:15], v19 offset0:128 offset1:160
	s_waitcnt lgkmcnt(3)
	v_fmac_f32_e32 v18, v10, v2
	v_fmac_f32_e32 v18, v11, v3
	ds_read2_b32 v[2:3], v19 offset0:192 offset1:224
	s_waitcnt lgkmcnt(3)
	v_fmac_f32_e32 v18, v12, v4
	v_fmac_f32_e32 v18, v13, v5
	s_waitcnt lgkmcnt(1)
	v_pk_mul_f32 v[4:5], v[14:15], v[6:7]
	v_add_f32_e32 v4, v18, v4
	v_add_u32_e32 v14, 0xc00, v1
	v_add_f32_e32 v12, v4, v5
	s_waitcnt lgkmcnt(0)
	v_pk_mul_f32 v[6:7], v[2:3], v[8:9]
	ds_read2_b32 v[10:11], v14 offset1:32
	ds_read_b128 v[2:5], v24 offset:4192
	v_add_f32_e32 v6, v12, v6
	v_add_f32_e32 v15, v6, v7
	ds_read2_b32 v[12:13], v14 offset0:64 offset1:96
	ds_read_b128 v[6:9], v24 offset:4208
	s_lshl_b64 s[0:1], s[0:1], 2
	s_waitcnt lgkmcnt(2)
	v_pk_mul_f32 v[2:3], v[10:11], v[2:3]
	v_add_f32_e32 v2, v15, v2
	v_add_f32_e32 v10, v2, v3
	ds_read2_b32 v[2:3], v14 offset0:128 offset1:160
	s_waitcnt lgkmcnt(2)
	v_pk_mul_f32 v[4:5], v[12:13], v[4:5]
	v_add_f32_e32 v4, v10, v4
	ds_read2_b32 v[10:11], v14 offset0:192 offset1:224
	s_mul_i32 s4, s10, s3
	s_mul_hi_u32 s5, s10, s2
	s_add_u32 s6, s18, s0
	v_add_f32_e32 v4, v4, v5
	s_waitcnt lgkmcnt(1)
	v_pk_mul_f32 v[2:3], v[2:3], v[6:7]
	s_mul_i32 s11, s11, s2
	s_addc_u32 s7, s19, s1
	s_add_i32 s0, s5, s4
	v_add_f32_e32 v2, v4, v2
	s_add_i32 s1, s0, s11
	s_mul_i32 s0, s10, s2
	v_add_f32_e32 v4, v2, v3
	s_waitcnt lgkmcnt(0)
	v_pk_mul_f32 v[2:3], v[10:11], v[8:9]
	s_lshl_b64 s[0:1], s[0:1], 2
	v_add_f32_e32 v2, v4, v2
	s_add_u32 s4, s6, s0
	v_add_f32_e32 v2, v2, v3
	s_addc_u32 s5, s7, s1
	v_mul_f32_e32 v6, s30, v2
	v_mad_u64_u32 v[2:3], s[0:1], v0, s2, 0
	v_mov_b32_e32 v4, v3
	v_mad_u64_u32 v[4:5], s[0:1], v0, s3, v[4:5]
	v_mov_b32_e32 v3, v4
	v_lshlrev_b64 v[2:3], 2, v[2:3]
	v_mov_b32_e32 v0, s5
	v_add_co_u32_e32 v2, vcc, s4, v2
	v_addc_co_u32_e32 v3, vcc, v0, v3, vcc
	v_add_co_u32_e32 v0, vcc, v2, v1
	v_addc_co_u32_e32 v1, vcc, 0, v3, vcc
	global_store_dword v[0:1], v6, off
.LBB144_15:
	s_endpgm
	.section	.rodata,"a",@progbits
	.p2align	6, 0x0
	.amdhsa_kernel _ZL23rocblas_trmm_lNx_kernelILi32EfPKfKS1_KPfEv13rocblas_fill_17rocblas_diagonal_iiT1_lPT2_llS9_llPT3_lli
		.amdhsa_group_segment_fixed_size 8192
		.amdhsa_private_segment_fixed_size 0
		.amdhsa_kernarg_size 108
		.amdhsa_user_sgpr_count 6
		.amdhsa_user_sgpr_private_segment_buffer 1
		.amdhsa_user_sgpr_dispatch_ptr 0
		.amdhsa_user_sgpr_queue_ptr 0
		.amdhsa_user_sgpr_kernarg_segment_ptr 1
		.amdhsa_user_sgpr_dispatch_id 0
		.amdhsa_user_sgpr_flat_scratch_init 0
		.amdhsa_user_sgpr_kernarg_preload_length 0
		.amdhsa_user_sgpr_kernarg_preload_offset 0
		.amdhsa_user_sgpr_private_segment_size 0
		.amdhsa_uses_dynamic_stack 0
		.amdhsa_system_sgpr_private_segment_wavefront_offset 0
		.amdhsa_system_sgpr_workgroup_id_x 1
		.amdhsa_system_sgpr_workgroup_id_y 0
		.amdhsa_system_sgpr_workgroup_id_z 1
		.amdhsa_system_sgpr_workgroup_info 0
		.amdhsa_system_vgpr_workitem_id 1
		.amdhsa_next_free_vgpr 25
		.amdhsa_next_free_sgpr 31
		.amdhsa_accum_offset 28
		.amdhsa_reserve_vcc 1
		.amdhsa_reserve_flat_scratch 0
		.amdhsa_float_round_mode_32 0
		.amdhsa_float_round_mode_16_64 0
		.amdhsa_float_denorm_mode_32 3
		.amdhsa_float_denorm_mode_16_64 3
		.amdhsa_dx10_clamp 1
		.amdhsa_ieee_mode 1
		.amdhsa_fp16_overflow 0
		.amdhsa_tg_split 0
		.amdhsa_exception_fp_ieee_invalid_op 0
		.amdhsa_exception_fp_denorm_src 0
		.amdhsa_exception_fp_ieee_div_zero 0
		.amdhsa_exception_fp_ieee_overflow 0
		.amdhsa_exception_fp_ieee_underflow 0
		.amdhsa_exception_fp_ieee_inexact 0
		.amdhsa_exception_int_div_zero 0
	.end_amdhsa_kernel
	.section	.text._ZL23rocblas_trmm_lNx_kernelILi32EfPKfKS1_KPfEv13rocblas_fill_17rocblas_diagonal_iiT1_lPT2_llS9_llPT3_lli,"axG",@progbits,_ZL23rocblas_trmm_lNx_kernelILi32EfPKfKS1_KPfEv13rocblas_fill_17rocblas_diagonal_iiT1_lPT2_llS9_llPT3_lli,comdat
.Lfunc_end144:
	.size	_ZL23rocblas_trmm_lNx_kernelILi32EfPKfKS1_KPfEv13rocblas_fill_17rocblas_diagonal_iiT1_lPT2_llS9_llPT3_lli, .Lfunc_end144-_ZL23rocblas_trmm_lNx_kernelILi32EfPKfKS1_KPfEv13rocblas_fill_17rocblas_diagonal_iiT1_lPT2_llS9_llPT3_lli
                                        ; -- End function
	.section	.AMDGPU.csdata,"",@progbits
; Kernel info:
; codeLenInByte = 1228
; NumSgprs: 35
; NumVgprs: 25
; NumAgprs: 0
; TotalNumVgprs: 25
; ScratchSize: 0
; MemoryBound: 0
; FloatMode: 240
; IeeeMode: 1
; LDSByteSize: 8192 bytes/workgroup (compile time only)
; SGPRBlocks: 4
; VGPRBlocks: 3
; NumSGPRsForWavesPerEU: 35
; NumVGPRsForWavesPerEU: 25
; AccumOffset: 28
; Occupancy: 8
; WaveLimiterHint : 1
; COMPUTE_PGM_RSRC2:SCRATCH_EN: 0
; COMPUTE_PGM_RSRC2:USER_SGPR: 6
; COMPUTE_PGM_RSRC2:TRAP_HANDLER: 0
; COMPUTE_PGM_RSRC2:TGID_X_EN: 1
; COMPUTE_PGM_RSRC2:TGID_Y_EN: 0
; COMPUTE_PGM_RSRC2:TGID_Z_EN: 1
; COMPUTE_PGM_RSRC2:TIDIG_COMP_CNT: 1
; COMPUTE_PGM_RSRC3_GFX90A:ACCUM_OFFSET: 6
; COMPUTE_PGM_RSRC3_GFX90A:TG_SPLIT: 0
	.section	.text._ZL23rocblas_trmm_lNx_kernelILi32EffKPKfKPfEv13rocblas_fill_17rocblas_diagonal_iiT1_lPT2_llS9_llPT3_lli,"axG",@progbits,_ZL23rocblas_trmm_lNx_kernelILi32EffKPKfKPfEv13rocblas_fill_17rocblas_diagonal_iiT1_lPT2_llS9_llPT3_lli,comdat
	.globl	_ZL23rocblas_trmm_lNx_kernelILi32EffKPKfKPfEv13rocblas_fill_17rocblas_diagonal_iiT1_lPT2_llS9_llPT3_lli ; -- Begin function _ZL23rocblas_trmm_lNx_kernelILi32EffKPKfKPfEv13rocblas_fill_17rocblas_diagonal_iiT1_lPT2_llS9_llPT3_lli
	.p2align	8
	.type	_ZL23rocblas_trmm_lNx_kernelILi32EffKPKfKPfEv13rocblas_fill_17rocblas_diagonal_iiT1_lPT2_llS9_llPT3_lli,@function
_ZL23rocblas_trmm_lNx_kernelILi32EffKPKfKPfEv13rocblas_fill_17rocblas_diagonal_iiT1_lPT2_llS9_llPT3_lli: ; @_ZL23rocblas_trmm_lNx_kernelILi32EffKPKfKPfEv13rocblas_fill_17rocblas_diagonal_iiT1_lPT2_llS9_llPT3_lli
; %bb.0:
	s_load_dword s30, s[4:5], 0x10
	s_mov_b32 s1, 0
	s_waitcnt lgkmcnt(0)
	v_cmp_eq_f32_e64 s[2:3], s30, 0
	s_and_b64 vcc, exec, s[2:3]
	s_cbranch_vccnz .LBB145_15
; %bb.1:
	s_load_dwordx16 s[8:23], s[4:5], 0x20
	s_load_dwordx4 s[24:27], s[4:5], 0x0
	s_mov_b32 s0, s7
	s_lshl_b64 s[28:29], s[0:1], 3
	v_and_b32_e32 v4, 0x3ff, v0
	s_waitcnt lgkmcnt(0)
	s_add_u32 s0, s14, s28
	s_addc_u32 s1, s15, s29
	s_load_dwordx2 s[14:15], s[0:1], 0x0
	s_add_u32 s0, s20, s28
	s_addc_u32 s1, s21, s29
	s_load_dwordx2 s[2:3], s[0:1], 0x0
	v_bfe_u32 v0, v0, 10, 10
	v_lshlrev_b32_e32 v2, 5, v0
	v_add_lshl_u32 v3, v2, v4, 2
	v_mov_b32_e32 v1, 0
	v_cmp_gt_i32_e64 s[0:1], s26, v0
	v_cmp_gt_i32_e32 vcc, s26, v4
	ds_write2st64_b32 v3, v1, v1 offset1:16
	s_and_b64 s[0:1], s[0:1], vcc
	v_lshlrev_b32_e32 v1, 2, v4
	s_and_saveexec_b64 s[20:21], s[0:1]
	s_cbranch_execz .LBB145_3
; %bb.2:
	s_add_u32 s0, s8, s28
	s_addc_u32 s1, s9, s29
	s_load_dwordx2 s[0:1], s[0:1], 0x0
	v_mad_u64_u32 v[6:7], s[8:9], v0, s10, 0
	s_lshl_b64 s[8:9], s[12:13], 2
	v_mov_b32_e32 v8, v7
	s_waitcnt lgkmcnt(0)
	s_add_u32 s7, s0, s8
	s_addc_u32 s8, s1, s9
	v_mad_u64_u32 v[8:9], s[0:1], v0, s11, v[8:9]
	v_mov_b32_e32 v7, v8
	v_lshlrev_b64 v[6:7], 2, v[6:7]
	v_mov_b32_e32 v5, s8
	v_add_co_u32_e64 v6, s[0:1], s7, v6
	v_addc_co_u32_e64 v5, s[0:1], v5, v7, s[0:1]
	v_add_co_u32_e64 v6, s[0:1], v6, v1
	v_addc_co_u32_e64 v7, s[0:1], 0, v5, s[0:1]
	global_load_dword v5, v[6:7], off
	s_waitcnt vmcnt(0)
	ds_write_b32 v3, v5
.LBB145_3:
	s_or_b64 exec, exec, s[20:21]
	s_add_i32 s0, s27, -1
	s_ashr_i32 s1, s0, 31
	s_lshr_b32 s1, s1, 27
	s_add_i32 s0, s0, s1
	s_ashr_i32 s1, s0, 5
	s_andn2_b32 s0, s0, 31
	s_sub_i32 s0, s27, s0
	s_cmp_ge_i32 s6, s1
	s_cselect_b32 s0, s0, 32
	s_lshl_b32 s10, s6, 5
	v_cmp_gt_i32_e64 s[0:1], s0, v0
	s_ashr_i32 s11, s10, 31
	s_and_b64 s[0:1], vcc, s[0:1]
	s_and_saveexec_b64 s[6:7], s[0:1]
	s_cbranch_execz .LBB145_5
; %bb.4:
	s_lshl_b64 s[8:9], s[18:19], 2
	s_waitcnt lgkmcnt(0)
	s_add_u32 s12, s14, s8
	s_addc_u32 s13, s15, s9
	s_mul_i32 s8, s10, s17
	s_mul_hi_u32 s9, s10, s16
	s_add_i32 s8, s9, s8
	s_mul_i32 s9, s11, s16
	s_add_i32 s9, s8, s9
	s_mul_i32 s8, s10, s16
	s_lshl_b64 s[8:9], s[8:9], 2
	s_add_u32 s12, s12, s8
	s_addc_u32 s13, s13, s9
	v_mad_u64_u32 v[6:7], s[8:9], v0, s16, 0
	v_mov_b32_e32 v8, v7
	v_mad_u64_u32 v[8:9], s[8:9], v0, s17, v[8:9]
	v_mov_b32_e32 v7, v8
	v_lshlrev_b64 v[6:7], 2, v[6:7]
	v_mov_b32_e32 v5, s13
	v_add_co_u32_e32 v6, vcc, s12, v6
	v_addc_co_u32_e32 v5, vcc, v5, v7, vcc
	v_add_co_u32_e32 v6, vcc, v6, v1
	v_addc_co_u32_e32 v7, vcc, 0, v5, vcc
	global_load_dword v5, v[6:7], off
	v_add_u32_e32 v6, 0x1000, v3
	s_waitcnt vmcnt(0)
	ds_write_b32 v6, v5
.LBB145_5:
	s_or_b64 exec, exec, s[6:7]
	s_cmpk_eq_i32 s25, 0x84
	s_cselect_b64 s[6:7], -1, 0
	v_cmp_eq_u32_e32 vcc, v0, v4
	s_and_b64 s[8:9], vcc, s[6:7]
	s_and_saveexec_b64 s[6:7], s[8:9]
	s_cbranch_execz .LBB145_7
; %bb.6:
	v_mov_b32_e32 v5, 1.0
	ds_write_b32 v3, v5
.LBB145_7:
	s_or_b64 exec, exec, s[6:7]
	s_cmpk_lg_i32 s24, 0x79
	s_cbranch_scc0 .LBB145_9
; %bb.8:
	v_cmp_lt_u32_e32 vcc, v4, v0
	s_and_b64 s[6:7], vcc, exec
	s_cbranch_execz .LBB145_10
	s_branch .LBB145_11
.LBB145_9:
	s_mov_b64 s[6:7], 0
.LBB145_10:
	v_cmp_gt_u32_e32 vcc, v4, v0
	s_andn2_b64 s[6:7], s[6:7], exec
	s_and_b64 s[8:9], vcc, exec
	s_or_b64 s[6:7], s[6:7], s[8:9]
.LBB145_11:
	s_and_saveexec_b64 s[8:9], s[6:7]
	s_cbranch_execz .LBB145_13
; %bb.12:
	v_mov_b32_e32 v4, 0
	ds_write_b32 v3, v4
.LBB145_13:
	s_or_b64 exec, exec, s[8:9]
	s_waitcnt lgkmcnt(0)
	s_barrier
	s_and_saveexec_b64 s[6:7], s[0:1]
	s_cbranch_execz .LBB145_15
; %bb.14:
	ds_read2_b32 v[18:19], v1 offset1:32
	v_lshlrev_b32_e32 v24, 2, v2
	ds_read_b128 v[2:5], v24 offset:4096
	ds_read_b128 v[6:9], v24 offset:4112
	ds_read2_b32 v[20:21], v1 offset0:64 offset1:96
	ds_read_b128 v[10:13], v24 offset:4128
	ds_read_b128 v[14:17], v24 offset:4144
	ds_read2_b32 v[22:23], v1 offset0:128 offset1:160
	s_load_dwordx2 s[0:1], s[4:5], 0x60
	s_waitcnt lgkmcnt(0)
	v_fma_f32 v18, v18, v2, 0
	v_fmac_f32_e32 v18, v19, v3
	ds_read2_b32 v[2:3], v1 offset0:192 offset1:224
	v_fmac_f32_e32 v18, v20, v4
	v_add_u32_e32 v19, 0x400, v1
	v_fmac_f32_e32 v18, v21, v5
	ds_read2_b32 v[4:5], v19 offset1:32
	v_fmac_f32_e32 v18, v22, v6
	v_fmac_f32_e32 v18, v23, v7
	ds_read2_b32 v[6:7], v19 offset0:64 offset1:96
	s_waitcnt lgkmcnt(2)
	v_fmac_f32_e32 v18, v2, v8
	v_fmac_f32_e32 v18, v3, v9
	ds_read2_b32 v[2:3], v19 offset0:128 offset1:160
	s_waitcnt lgkmcnt(2)
	v_fmac_f32_e32 v18, v4, v10
	v_fmac_f32_e32 v18, v5, v11
	s_waitcnt lgkmcnt(1)
	v_fmac_f32_e32 v18, v6, v12
	v_fmac_f32_e32 v18, v7, v13
	ds_read2_b32 v[6:7], v19 offset0:192 offset1:224
	s_waitcnt lgkmcnt(1)
	v_fmac_f32_e32 v18, v2, v14
	v_add_u32_e32 v19, 0x800, v1
	v_fmac_f32_e32 v18, v3, v15
	ds_read2_b32 v[10:11], v19 offset1:32
	ds_read_b128 v[2:5], v24 offset:4160
	s_waitcnt lgkmcnt(2)
	v_fmac_f32_e32 v18, v6, v16
	v_fmac_f32_e32 v18, v7, v17
	ds_read2_b32 v[12:13], v19 offset0:64 offset1:96
	ds_read_b128 v[6:9], v24 offset:4176
	ds_read2_b32 v[14:15], v19 offset0:128 offset1:160
	s_waitcnt lgkmcnt(3)
	v_fmac_f32_e32 v18, v10, v2
	v_fmac_f32_e32 v18, v11, v3
	ds_read2_b32 v[2:3], v19 offset0:192 offset1:224
	s_waitcnt lgkmcnt(3)
	v_fmac_f32_e32 v18, v12, v4
	v_fmac_f32_e32 v18, v13, v5
	s_waitcnt lgkmcnt(1)
	v_pk_mul_f32 v[4:5], v[14:15], v[6:7]
	v_add_f32_e32 v4, v18, v4
	v_add_u32_e32 v14, 0xc00, v1
	v_add_f32_e32 v12, v4, v5
	s_waitcnt lgkmcnt(0)
	v_pk_mul_f32 v[6:7], v[2:3], v[8:9]
	ds_read2_b32 v[10:11], v14 offset1:32
	ds_read_b128 v[2:5], v24 offset:4192
	v_add_f32_e32 v6, v12, v6
	v_add_f32_e32 v15, v6, v7
	ds_read2_b32 v[12:13], v14 offset0:64 offset1:96
	ds_read_b128 v[6:9], v24 offset:4208
	s_lshl_b64 s[0:1], s[0:1], 2
	s_waitcnt lgkmcnt(2)
	v_pk_mul_f32 v[2:3], v[10:11], v[2:3]
	v_add_f32_e32 v2, v15, v2
	v_add_f32_e32 v10, v2, v3
	ds_read2_b32 v[2:3], v14 offset0:128 offset1:160
	s_waitcnt lgkmcnt(2)
	v_pk_mul_f32 v[4:5], v[12:13], v[4:5]
	v_add_f32_e32 v4, v10, v4
	ds_read2_b32 v[10:11], v14 offset0:192 offset1:224
	s_mul_i32 s4, s10, s23
	s_mul_hi_u32 s5, s10, s22
	s_add_u32 s2, s2, s0
	v_add_f32_e32 v4, v4, v5
	s_waitcnt lgkmcnt(1)
	v_pk_mul_f32 v[2:3], v[2:3], v[6:7]
	s_mul_i32 s11, s11, s22
	s_addc_u32 s3, s3, s1
	s_add_i32 s0, s5, s4
	v_add_f32_e32 v2, v4, v2
	s_add_i32 s1, s0, s11
	s_mul_i32 s0, s10, s22
	v_add_f32_e32 v4, v2, v3
	s_waitcnt lgkmcnt(0)
	v_pk_mul_f32 v[2:3], v[10:11], v[8:9]
	s_lshl_b64 s[0:1], s[0:1], 2
	v_add_f32_e32 v2, v4, v2
	s_add_u32 s2, s2, s0
	v_add_f32_e32 v2, v2, v3
	s_addc_u32 s3, s3, s1
	v_mul_f32_e32 v6, s30, v2
	v_mad_u64_u32 v[2:3], s[0:1], v0, s22, 0
	v_mov_b32_e32 v4, v3
	v_mad_u64_u32 v[4:5], s[0:1], v0, s23, v[4:5]
	v_mov_b32_e32 v3, v4
	v_lshlrev_b64 v[2:3], 2, v[2:3]
	v_mov_b32_e32 v0, s3
	v_add_co_u32_e32 v2, vcc, s2, v2
	v_addc_co_u32_e32 v3, vcc, v0, v3, vcc
	v_add_co_u32_e32 v0, vcc, v2, v1
	v_addc_co_u32_e32 v1, vcc, 0, v3, vcc
	global_store_dword v[0:1], v6, off
.LBB145_15:
	s_endpgm
	.section	.rodata,"a",@progbits
	.p2align	6, 0x0
	.amdhsa_kernel _ZL23rocblas_trmm_lNx_kernelILi32EffKPKfKPfEv13rocblas_fill_17rocblas_diagonal_iiT1_lPT2_llS9_llPT3_lli
		.amdhsa_group_segment_fixed_size 8192
		.amdhsa_private_segment_fixed_size 0
		.amdhsa_kernarg_size 108
		.amdhsa_user_sgpr_count 6
		.amdhsa_user_sgpr_private_segment_buffer 1
		.amdhsa_user_sgpr_dispatch_ptr 0
		.amdhsa_user_sgpr_queue_ptr 0
		.amdhsa_user_sgpr_kernarg_segment_ptr 1
		.amdhsa_user_sgpr_dispatch_id 0
		.amdhsa_user_sgpr_flat_scratch_init 0
		.amdhsa_user_sgpr_kernarg_preload_length 0
		.amdhsa_user_sgpr_kernarg_preload_offset 0
		.amdhsa_user_sgpr_private_segment_size 0
		.amdhsa_uses_dynamic_stack 0
		.amdhsa_system_sgpr_private_segment_wavefront_offset 0
		.amdhsa_system_sgpr_workgroup_id_x 1
		.amdhsa_system_sgpr_workgroup_id_y 0
		.amdhsa_system_sgpr_workgroup_id_z 1
		.amdhsa_system_sgpr_workgroup_info 0
		.amdhsa_system_vgpr_workitem_id 1
		.amdhsa_next_free_vgpr 25
		.amdhsa_next_free_sgpr 31
		.amdhsa_accum_offset 28
		.amdhsa_reserve_vcc 1
		.amdhsa_reserve_flat_scratch 0
		.amdhsa_float_round_mode_32 0
		.amdhsa_float_round_mode_16_64 0
		.amdhsa_float_denorm_mode_32 3
		.amdhsa_float_denorm_mode_16_64 3
		.amdhsa_dx10_clamp 1
		.amdhsa_ieee_mode 1
		.amdhsa_fp16_overflow 0
		.amdhsa_tg_split 0
		.amdhsa_exception_fp_ieee_invalid_op 0
		.amdhsa_exception_fp_denorm_src 0
		.amdhsa_exception_fp_ieee_div_zero 0
		.amdhsa_exception_fp_ieee_overflow 0
		.amdhsa_exception_fp_ieee_underflow 0
		.amdhsa_exception_fp_ieee_inexact 0
		.amdhsa_exception_int_div_zero 0
	.end_amdhsa_kernel
	.section	.text._ZL23rocblas_trmm_lNx_kernelILi32EffKPKfKPfEv13rocblas_fill_17rocblas_diagonal_iiT1_lPT2_llS9_llPT3_lli,"axG",@progbits,_ZL23rocblas_trmm_lNx_kernelILi32EffKPKfKPfEv13rocblas_fill_17rocblas_diagonal_iiT1_lPT2_llS9_llPT3_lli,comdat
.Lfunc_end145:
	.size	_ZL23rocblas_trmm_lNx_kernelILi32EffKPKfKPfEv13rocblas_fill_17rocblas_diagonal_iiT1_lPT2_llS9_llPT3_lli, .Lfunc_end145-_ZL23rocblas_trmm_lNx_kernelILi32EffKPKfKPfEv13rocblas_fill_17rocblas_diagonal_iiT1_lPT2_llS9_llPT3_lli
                                        ; -- End function
	.section	.AMDGPU.csdata,"",@progbits
; Kernel info:
; codeLenInByte = 1188
; NumSgprs: 35
; NumVgprs: 25
; NumAgprs: 0
; TotalNumVgprs: 25
; ScratchSize: 0
; MemoryBound: 0
; FloatMode: 240
; IeeeMode: 1
; LDSByteSize: 8192 bytes/workgroup (compile time only)
; SGPRBlocks: 4
; VGPRBlocks: 3
; NumSGPRsForWavesPerEU: 35
; NumVGPRsForWavesPerEU: 25
; AccumOffset: 28
; Occupancy: 8
; WaveLimiterHint : 1
; COMPUTE_PGM_RSRC2:SCRATCH_EN: 0
; COMPUTE_PGM_RSRC2:USER_SGPR: 6
; COMPUTE_PGM_RSRC2:TRAP_HANDLER: 0
; COMPUTE_PGM_RSRC2:TGID_X_EN: 1
; COMPUTE_PGM_RSRC2:TGID_Y_EN: 0
; COMPUTE_PGM_RSRC2:TGID_Z_EN: 1
; COMPUTE_PGM_RSRC2:TIDIG_COMP_CNT: 1
; COMPUTE_PGM_RSRC3_GFX90A:ACCUM_OFFSET: 6
; COMPUTE_PGM_RSRC3_GFX90A:TG_SPLIT: 0
	.section	.text._ZL23rocblas_trmm_lTx_kernelILi32ELb0EfPKfKS1_KPfEv13rocblas_fill_17rocblas_diagonal_iiT2_lPT3_llS9_llPT4_lli,"axG",@progbits,_ZL23rocblas_trmm_lTx_kernelILi32ELb0EfPKfKS1_KPfEv13rocblas_fill_17rocblas_diagonal_iiT2_lPT3_llS9_llPT4_lli,comdat
	.globl	_ZL23rocblas_trmm_lTx_kernelILi32ELb0EfPKfKS1_KPfEv13rocblas_fill_17rocblas_diagonal_iiT2_lPT3_llS9_llPT4_lli ; -- Begin function _ZL23rocblas_trmm_lTx_kernelILi32ELb0EfPKfKS1_KPfEv13rocblas_fill_17rocblas_diagonal_iiT2_lPT3_llS9_llPT4_lli
	.p2align	8
	.type	_ZL23rocblas_trmm_lTx_kernelILi32ELb0EfPKfKS1_KPfEv13rocblas_fill_17rocblas_diagonal_iiT2_lPT3_llS9_llPT4_lli,@function
_ZL23rocblas_trmm_lTx_kernelILi32ELb0EfPKfKS1_KPfEv13rocblas_fill_17rocblas_diagonal_iiT2_lPT3_llS9_llPT4_lli: ; @_ZL23rocblas_trmm_lTx_kernelILi32ELb0EfPKfKS1_KPfEv13rocblas_fill_17rocblas_diagonal_iiT2_lPT3_llS9_llPT4_lli
; %bb.0:
	s_load_dwordx16 s[8:23], s[4:5], 0x10
	s_waitcnt lgkmcnt(0)
	s_mul_i32 s0, s7, s11
	s_mul_hi_u32 s1, s7, s10
	s_add_i32 s1, s1, s0
	s_mul_i32 s0, s7, s10
	s_lshl_b64 s[0:1], s[0:1], 2
	s_add_u32 s0, s8, s0
	s_addc_u32 s1, s9, s1
	s_load_dword s28, s[0:1], 0x0
	s_waitcnt lgkmcnt(0)
	v_cmp_eq_f32_e64 s[0:1], s28, 0
	s_and_b64 vcc, exec, s[0:1]
	s_cbranch_vccnz .LBB146_15
; %bb.1:
	s_mov_b32 s24, s7
	s_mov_b32 s25, 0
	s_load_dwordx4 s[8:11], s[4:5], 0x0
	s_load_dwordx4 s[0:3], s[4:5], 0x50
	s_lshl_b64 s[26:27], s[24:25], 3
	s_add_u32 s12, s12, s26
	s_addc_u32 s13, s13, s27
	s_load_dwordx2 s[24:25], s[12:13], 0x0
	s_add_u32 s12, s18, s26
	s_addc_u32 s13, s19, s27
	s_waitcnt lgkmcnt(0)
	s_add_u32 s0, s0, s26
	s_addc_u32 s1, s1, s27
	s_load_dwordx2 s[18:19], s[12:13], 0x0
	v_and_b32_e32 v3, 0x3ff, v0
	s_load_dwordx2 s[12:13], s[0:1], 0x0
	v_bfe_u32 v0, v0, 10, 10
	v_lshlrev_b32_e32 v2, 5, v0
	v_add_lshl_u32 v4, v2, v3, 2
	v_mov_b32_e32 v1, 0
	v_cmp_gt_i32_e64 s[0:1], s10, v0
	v_cmp_gt_i32_e32 vcc, s10, v3
	ds_write2st64_b32 v4, v1, v1 offset1:16
	s_and_b64 s[0:1], s[0:1], vcc
	v_lshlrev_b32_e32 v1, 2, v3
	s_waitcnt lgkmcnt(0)
	s_barrier
	s_and_saveexec_b64 s[26:27], s[0:1]
	s_cbranch_execz .LBB146_3
; %bb.2:
	s_lshl_b64 s[0:1], s[16:17], 2
	s_add_u32 s7, s24, s0
	s_addc_u32 s10, s25, s1
	v_mad_u64_u32 v[6:7], s[0:1], v0, s14, 0
	v_mov_b32_e32 v8, v7
	v_mad_u64_u32 v[8:9], s[0:1], v0, s15, v[8:9]
	v_mov_b32_e32 v7, v8
	v_lshlrev_b64 v[6:7], 2, v[6:7]
	v_mov_b32_e32 v5, s10
	v_add_co_u32_e64 v6, s[0:1], s7, v6
	v_addc_co_u32_e64 v5, s[0:1], v5, v7, s[0:1]
	v_add_co_u32_e64 v6, s[0:1], v6, v1
	v_addc_co_u32_e64 v7, s[0:1], 0, v5, s[0:1]
	global_load_dword v5, v[6:7], off
	v_lshlrev_b32_e32 v6, 5, v3
	v_add_lshl_u32 v6, v6, v0, 2
	s_waitcnt vmcnt(0)
	ds_write_b32 v6, v5
.LBB146_3:
	s_or_b64 exec, exec, s[26:27]
	s_add_i32 s0, s11, -1
	s_ashr_i32 s1, s0, 31
	s_lshr_b32 s1, s1, 27
	s_add_i32 s0, s0, s1
	s_ashr_i32 s1, s0, 5
	s_andn2_b32 s0, s0, 31
	s_sub_i32 s0, s11, s0
	s_cmp_ge_i32 s6, s1
	s_cselect_b32 s0, s0, 32
	s_lshl_b32 s10, s6, 5
	v_cmp_gt_i32_e64 s[0:1], s0, v0
	s_ashr_i32 s11, s10, 31
	s_and_b64 s[0:1], vcc, s[0:1]
	s_and_saveexec_b64 s[6:7], s[0:1]
	s_cbranch_execz .LBB146_5
; %bb.4:
	s_lshl_b64 s[14:15], s[22:23], 2
	s_add_u32 s16, s18, s14
	s_addc_u32 s17, s19, s15
	s_mul_i32 s14, s10, s21
	s_mul_hi_u32 s15, s10, s20
	s_add_i32 s14, s15, s14
	s_mul_i32 s15, s11, s20
	s_add_i32 s15, s14, s15
	s_mul_i32 s14, s10, s20
	s_lshl_b64 s[14:15], s[14:15], 2
	s_add_u32 s16, s16, s14
	s_addc_u32 s17, s17, s15
	v_mad_u64_u32 v[6:7], s[14:15], v0, s20, 0
	v_mov_b32_e32 v8, v7
	v_mad_u64_u32 v[8:9], s[14:15], v0, s21, v[8:9]
	v_mov_b32_e32 v7, v8
	v_lshlrev_b64 v[6:7], 2, v[6:7]
	v_mov_b32_e32 v5, s17
	v_add_co_u32_e32 v6, vcc, s16, v6
	v_addc_co_u32_e32 v5, vcc, v5, v7, vcc
	v_add_co_u32_e32 v6, vcc, v6, v1
	v_addc_co_u32_e32 v7, vcc, 0, v5, vcc
	global_load_dword v5, v[6:7], off
	v_add_u32_e32 v6, 0x1000, v4
	s_waitcnt vmcnt(0)
	ds_write_b32 v6, v5
.LBB146_5:
	s_or_b64 exec, exec, s[6:7]
	s_cmpk_eq_i32 s9, 0x84
	s_cselect_b64 s[6:7], -1, 0
	v_cmp_eq_u32_e32 vcc, v0, v3
	s_and_b64 s[14:15], vcc, s[6:7]
	s_and_saveexec_b64 s[6:7], s[14:15]
	s_cbranch_execz .LBB146_7
; %bb.6:
	v_mov_b32_e32 v5, 1.0
	ds_write_b32 v4, v5
.LBB146_7:
	s_or_b64 exec, exec, s[6:7]
	s_cmpk_lg_i32 s8, 0x7a
	s_waitcnt lgkmcnt(0)
	s_barrier
	s_cbranch_scc0 .LBB146_9
; %bb.8:
	v_cmp_lt_u32_e32 vcc, v3, v0
	s_and_b64 s[6:7], vcc, exec
	s_cbranch_execz .LBB146_10
	s_branch .LBB146_11
.LBB146_9:
	s_mov_b64 s[6:7], 0
.LBB146_10:
	v_cmp_gt_u32_e32 vcc, v3, v0
	s_andn2_b64 s[6:7], s[6:7], exec
	s_and_b64 s[8:9], vcc, exec
	s_or_b64 s[6:7], s[6:7], s[8:9]
.LBB146_11:
	s_and_saveexec_b64 s[8:9], s[6:7]
	s_cbranch_execz .LBB146_13
; %bb.12:
	v_mov_b32_e32 v3, 0
	ds_write_b32 v4, v3
.LBB146_13:
	s_or_b64 exec, exec, s[8:9]
	s_waitcnt lgkmcnt(0)
	s_barrier
	s_and_saveexec_b64 s[6:7], s[0:1]
	s_cbranch_execz .LBB146_15
; %bb.14:
	ds_read2_b32 v[18:19], v1 offset1:32
	v_lshlrev_b32_e32 v24, 2, v2
	ds_read_b128 v[2:5], v24 offset:4096
	ds_read_b128 v[6:9], v24 offset:4112
	ds_read2_b32 v[20:21], v1 offset0:64 offset1:96
	ds_read_b128 v[10:13], v24 offset:4128
	ds_read_b128 v[14:17], v24 offset:4144
	ds_read2_b32 v[22:23], v1 offset0:128 offset1:160
	s_load_dwordx2 s[0:1], s[4:5], 0x60
	s_waitcnt lgkmcnt(0)
	v_fma_f32 v18, v18, v2, 0
	v_fmac_f32_e32 v18, v19, v3
	ds_read2_b32 v[2:3], v1 offset0:192 offset1:224
	v_fmac_f32_e32 v18, v20, v4
	v_add_u32_e32 v19, 0x400, v1
	v_fmac_f32_e32 v18, v21, v5
	ds_read2_b32 v[4:5], v19 offset1:32
	v_fmac_f32_e32 v18, v22, v6
	v_fmac_f32_e32 v18, v23, v7
	ds_read2_b32 v[6:7], v19 offset0:64 offset1:96
	s_waitcnt lgkmcnt(2)
	v_fmac_f32_e32 v18, v2, v8
	v_fmac_f32_e32 v18, v3, v9
	ds_read2_b32 v[2:3], v19 offset0:128 offset1:160
	s_waitcnt lgkmcnt(2)
	v_fmac_f32_e32 v18, v4, v10
	v_fmac_f32_e32 v18, v5, v11
	s_waitcnt lgkmcnt(1)
	v_fmac_f32_e32 v18, v6, v12
	v_fmac_f32_e32 v18, v7, v13
	ds_read2_b32 v[6:7], v19 offset0:192 offset1:224
	s_waitcnt lgkmcnt(1)
	v_fmac_f32_e32 v18, v2, v14
	v_add_u32_e32 v19, 0x800, v1
	v_fmac_f32_e32 v18, v3, v15
	ds_read2_b32 v[10:11], v19 offset1:32
	ds_read_b128 v[2:5], v24 offset:4160
	s_waitcnt lgkmcnt(2)
	v_fmac_f32_e32 v18, v6, v16
	v_fmac_f32_e32 v18, v7, v17
	ds_read2_b32 v[12:13], v19 offset0:64 offset1:96
	ds_read_b128 v[6:9], v24 offset:4176
	ds_read2_b32 v[14:15], v19 offset0:128 offset1:160
	s_waitcnt lgkmcnt(3)
	v_fmac_f32_e32 v18, v10, v2
	v_fmac_f32_e32 v18, v11, v3
	ds_read2_b32 v[2:3], v19 offset0:192 offset1:224
	s_waitcnt lgkmcnt(3)
	v_fmac_f32_e32 v18, v12, v4
	v_fmac_f32_e32 v18, v13, v5
	s_waitcnt lgkmcnt(1)
	v_pk_mul_f32 v[4:5], v[14:15], v[6:7]
	v_add_f32_e32 v4, v18, v4
	v_add_u32_e32 v14, 0xc00, v1
	v_add_f32_e32 v12, v4, v5
	s_waitcnt lgkmcnt(0)
	v_pk_mul_f32 v[6:7], v[2:3], v[8:9]
	ds_read2_b32 v[10:11], v14 offset1:32
	ds_read_b128 v[2:5], v24 offset:4192
	v_add_f32_e32 v6, v12, v6
	v_add_f32_e32 v15, v6, v7
	ds_read2_b32 v[12:13], v14 offset0:64 offset1:96
	ds_read_b128 v[6:9], v24 offset:4208
	s_lshl_b64 s[0:1], s[0:1], 2
	s_waitcnt lgkmcnt(2)
	v_pk_mul_f32 v[2:3], v[10:11], v[2:3]
	v_add_f32_e32 v2, v15, v2
	v_add_f32_e32 v10, v2, v3
	ds_read2_b32 v[2:3], v14 offset0:128 offset1:160
	s_waitcnt lgkmcnt(2)
	v_pk_mul_f32 v[4:5], v[12:13], v[4:5]
	v_add_f32_e32 v4, v10, v4
	ds_read2_b32 v[10:11], v14 offset0:192 offset1:224
	s_mul_i32 s4, s10, s3
	s_mul_hi_u32 s5, s10, s2
	s_add_u32 s6, s12, s0
	v_add_f32_e32 v4, v4, v5
	s_waitcnt lgkmcnt(1)
	v_pk_mul_f32 v[2:3], v[2:3], v[6:7]
	s_mul_i32 s11, s11, s2
	s_addc_u32 s7, s13, s1
	s_add_i32 s0, s5, s4
	v_add_f32_e32 v2, v4, v2
	s_add_i32 s1, s0, s11
	s_mul_i32 s0, s10, s2
	v_add_f32_e32 v4, v2, v3
	s_waitcnt lgkmcnt(0)
	v_pk_mul_f32 v[2:3], v[10:11], v[8:9]
	s_lshl_b64 s[0:1], s[0:1], 2
	v_add_f32_e32 v2, v4, v2
	s_add_u32 s4, s6, s0
	v_add_f32_e32 v2, v2, v3
	s_addc_u32 s5, s7, s1
	v_mul_f32_e32 v6, s28, v2
	v_mad_u64_u32 v[2:3], s[0:1], v0, s2, 0
	v_mov_b32_e32 v4, v3
	v_mad_u64_u32 v[4:5], s[0:1], v0, s3, v[4:5]
	v_mov_b32_e32 v3, v4
	v_lshlrev_b64 v[2:3], 2, v[2:3]
	v_mov_b32_e32 v0, s5
	v_add_co_u32_e32 v2, vcc, s4, v2
	v_addc_co_u32_e32 v3, vcc, v0, v3, vcc
	v_add_co_u32_e32 v0, vcc, v2, v1
	v_addc_co_u32_e32 v1, vcc, 0, v3, vcc
	global_store_dword v[0:1], v6, off
.LBB146_15:
	s_endpgm
	.section	.rodata,"a",@progbits
	.p2align	6, 0x0
	.amdhsa_kernel _ZL23rocblas_trmm_lTx_kernelILi32ELb0EfPKfKS1_KPfEv13rocblas_fill_17rocblas_diagonal_iiT2_lPT3_llS9_llPT4_lli
		.amdhsa_group_segment_fixed_size 8192
		.amdhsa_private_segment_fixed_size 0
		.amdhsa_kernarg_size 108
		.amdhsa_user_sgpr_count 6
		.amdhsa_user_sgpr_private_segment_buffer 1
		.amdhsa_user_sgpr_dispatch_ptr 0
		.amdhsa_user_sgpr_queue_ptr 0
		.amdhsa_user_sgpr_kernarg_segment_ptr 1
		.amdhsa_user_sgpr_dispatch_id 0
		.amdhsa_user_sgpr_flat_scratch_init 0
		.amdhsa_user_sgpr_kernarg_preload_length 0
		.amdhsa_user_sgpr_kernarg_preload_offset 0
		.amdhsa_user_sgpr_private_segment_size 0
		.amdhsa_uses_dynamic_stack 0
		.amdhsa_system_sgpr_private_segment_wavefront_offset 0
		.amdhsa_system_sgpr_workgroup_id_x 1
		.amdhsa_system_sgpr_workgroup_id_y 0
		.amdhsa_system_sgpr_workgroup_id_z 1
		.amdhsa_system_sgpr_workgroup_info 0
		.amdhsa_system_vgpr_workitem_id 1
		.amdhsa_next_free_vgpr 25
		.amdhsa_next_free_sgpr 29
		.amdhsa_accum_offset 28
		.amdhsa_reserve_vcc 1
		.amdhsa_reserve_flat_scratch 0
		.amdhsa_float_round_mode_32 0
		.amdhsa_float_round_mode_16_64 0
		.amdhsa_float_denorm_mode_32 3
		.amdhsa_float_denorm_mode_16_64 3
		.amdhsa_dx10_clamp 1
		.amdhsa_ieee_mode 1
		.amdhsa_fp16_overflow 0
		.amdhsa_tg_split 0
		.amdhsa_exception_fp_ieee_invalid_op 0
		.amdhsa_exception_fp_denorm_src 0
		.amdhsa_exception_fp_ieee_div_zero 0
		.amdhsa_exception_fp_ieee_overflow 0
		.amdhsa_exception_fp_ieee_underflow 0
		.amdhsa_exception_fp_ieee_inexact 0
		.amdhsa_exception_int_div_zero 0
	.end_amdhsa_kernel
	.section	.text._ZL23rocblas_trmm_lTx_kernelILi32ELb0EfPKfKS1_KPfEv13rocblas_fill_17rocblas_diagonal_iiT2_lPT3_llS9_llPT4_lli,"axG",@progbits,_ZL23rocblas_trmm_lTx_kernelILi32ELb0EfPKfKS1_KPfEv13rocblas_fill_17rocblas_diagonal_iiT2_lPT3_llS9_llPT4_lli,comdat
.Lfunc_end146:
	.size	_ZL23rocblas_trmm_lTx_kernelILi32ELb0EfPKfKS1_KPfEv13rocblas_fill_17rocblas_diagonal_iiT2_lPT3_llS9_llPT4_lli, .Lfunc_end146-_ZL23rocblas_trmm_lTx_kernelILi32ELb0EfPKfKS1_KPfEv13rocblas_fill_17rocblas_diagonal_iiT2_lPT3_llS9_llPT4_lli
                                        ; -- End function
	.section	.AMDGPU.csdata,"",@progbits
; Kernel info:
; codeLenInByte = 1248
; NumSgprs: 33
; NumVgprs: 25
; NumAgprs: 0
; TotalNumVgprs: 25
; ScratchSize: 0
; MemoryBound: 0
; FloatMode: 240
; IeeeMode: 1
; LDSByteSize: 8192 bytes/workgroup (compile time only)
; SGPRBlocks: 4
; VGPRBlocks: 3
; NumSGPRsForWavesPerEU: 33
; NumVGPRsForWavesPerEU: 25
; AccumOffset: 28
; Occupancy: 8
; WaveLimiterHint : 1
; COMPUTE_PGM_RSRC2:SCRATCH_EN: 0
; COMPUTE_PGM_RSRC2:USER_SGPR: 6
; COMPUTE_PGM_RSRC2:TRAP_HANDLER: 0
; COMPUTE_PGM_RSRC2:TGID_X_EN: 1
; COMPUTE_PGM_RSRC2:TGID_Y_EN: 0
; COMPUTE_PGM_RSRC2:TGID_Z_EN: 1
; COMPUTE_PGM_RSRC2:TIDIG_COMP_CNT: 1
; COMPUTE_PGM_RSRC3_GFX90A:ACCUM_OFFSET: 6
; COMPUTE_PGM_RSRC3_GFX90A:TG_SPLIT: 0
	.section	.text._ZL23rocblas_trmm_lTx_kernelILi32ELb0EffKPKfKPfEv13rocblas_fill_17rocblas_diagonal_iiT2_lPT3_llS9_llPT4_lli,"axG",@progbits,_ZL23rocblas_trmm_lTx_kernelILi32ELb0EffKPKfKPfEv13rocblas_fill_17rocblas_diagonal_iiT2_lPT3_llS9_llPT4_lli,comdat
	.globl	_ZL23rocblas_trmm_lTx_kernelILi32ELb0EffKPKfKPfEv13rocblas_fill_17rocblas_diagonal_iiT2_lPT3_llS9_llPT4_lli ; -- Begin function _ZL23rocblas_trmm_lTx_kernelILi32ELb0EffKPKfKPfEv13rocblas_fill_17rocblas_diagonal_iiT2_lPT3_llS9_llPT4_lli
	.p2align	8
	.type	_ZL23rocblas_trmm_lTx_kernelILi32ELb0EffKPKfKPfEv13rocblas_fill_17rocblas_diagonal_iiT2_lPT3_llS9_llPT4_lli,@function
_ZL23rocblas_trmm_lTx_kernelILi32ELb0EffKPKfKPfEv13rocblas_fill_17rocblas_diagonal_iiT2_lPT3_llS9_llPT4_lli: ; @_ZL23rocblas_trmm_lTx_kernelILi32ELb0EffKPKfKPfEv13rocblas_fill_17rocblas_diagonal_iiT2_lPT3_llS9_llPT4_lli
; %bb.0:
	s_load_dword s30, s[4:5], 0x10
	s_mov_b32 s1, 0
	s_waitcnt lgkmcnt(0)
	v_cmp_eq_f32_e64 s[2:3], s30, 0
	s_and_b64 vcc, exec, s[2:3]
	s_cbranch_vccnz .LBB147_15
; %bb.1:
	s_load_dwordx16 s[8:23], s[4:5], 0x20
	s_load_dwordx4 s[24:27], s[4:5], 0x0
	s_mov_b32 s0, s7
	s_lshl_b64 s[0:1], s[0:1], 3
	v_and_b32_e32 v3, 0x3ff, v0
	s_waitcnt lgkmcnt(0)
	s_add_u32 s2, s8, s0
	s_addc_u32 s3, s9, s1
	s_load_dwordx2 s[28:29], s[2:3], 0x0
	s_add_u32 s2, s14, s0
	s_addc_u32 s3, s15, s1
	s_add_u32 s0, s20, s0
	s_addc_u32 s1, s21, s1
	s_load_dwordx2 s[8:9], s[2:3], 0x0
	v_bfe_u32 v0, v0, 10, 10
	s_load_dwordx2 s[2:3], s[0:1], 0x0
	v_lshlrev_b32_e32 v2, 5, v0
	v_add_lshl_u32 v4, v2, v3, 2
	v_mov_b32_e32 v1, 0
	v_cmp_gt_i32_e64 s[0:1], s26, v0
	v_cmp_gt_i32_e32 vcc, s26, v3
	ds_write2st64_b32 v4, v1, v1 offset1:16
	s_and_b64 s[0:1], s[0:1], vcc
	v_lshlrev_b32_e32 v1, 2, v3
	s_waitcnt lgkmcnt(0)
	s_barrier
	s_and_saveexec_b64 s[14:15], s[0:1]
	s_cbranch_execz .LBB147_3
; %bb.2:
	s_lshl_b64 s[0:1], s[12:13], 2
	s_add_u32 s7, s28, s0
	s_addc_u32 s12, s29, s1
	v_mad_u64_u32 v[6:7], s[0:1], v0, s10, 0
	v_mov_b32_e32 v8, v7
	v_mad_u64_u32 v[8:9], s[0:1], v0, s11, v[8:9]
	v_mov_b32_e32 v7, v8
	v_lshlrev_b64 v[6:7], 2, v[6:7]
	v_mov_b32_e32 v5, s12
	v_add_co_u32_e64 v6, s[0:1], s7, v6
	v_addc_co_u32_e64 v5, s[0:1], v5, v7, s[0:1]
	v_add_co_u32_e64 v6, s[0:1], v6, v1
	v_addc_co_u32_e64 v7, s[0:1], 0, v5, s[0:1]
	global_load_dword v5, v[6:7], off
	v_lshlrev_b32_e32 v6, 5, v3
	v_add_lshl_u32 v6, v6, v0, 2
	s_waitcnt vmcnt(0)
	ds_write_b32 v6, v5
.LBB147_3:
	s_or_b64 exec, exec, s[14:15]
	s_add_i32 s0, s27, -1
	s_ashr_i32 s1, s0, 31
	s_lshr_b32 s1, s1, 27
	s_add_i32 s0, s0, s1
	s_ashr_i32 s1, s0, 5
	s_andn2_b32 s0, s0, 31
	s_sub_i32 s0, s27, s0
	s_cmp_ge_i32 s6, s1
	s_cselect_b32 s0, s0, 32
	s_lshl_b32 s10, s6, 5
	v_cmp_gt_i32_e64 s[0:1], s0, v0
	s_ashr_i32 s11, s10, 31
	s_and_b64 s[0:1], vcc, s[0:1]
	s_and_saveexec_b64 s[6:7], s[0:1]
	s_cbranch_execz .LBB147_5
; %bb.4:
	s_lshl_b64 s[12:13], s[18:19], 2
	s_add_u32 s12, s8, s12
	s_addc_u32 s13, s9, s13
	s_mul_i32 s8, s10, s17
	s_mul_hi_u32 s9, s10, s16
	s_add_i32 s8, s9, s8
	s_mul_i32 s9, s11, s16
	s_add_i32 s9, s8, s9
	s_mul_i32 s8, s10, s16
	s_lshl_b64 s[8:9], s[8:9], 2
	s_add_u32 s12, s12, s8
	s_addc_u32 s13, s13, s9
	v_mad_u64_u32 v[6:7], s[8:9], v0, s16, 0
	v_mov_b32_e32 v8, v7
	v_mad_u64_u32 v[8:9], s[8:9], v0, s17, v[8:9]
	v_mov_b32_e32 v7, v8
	v_lshlrev_b64 v[6:7], 2, v[6:7]
	v_mov_b32_e32 v5, s13
	v_add_co_u32_e32 v6, vcc, s12, v6
	v_addc_co_u32_e32 v5, vcc, v5, v7, vcc
	v_add_co_u32_e32 v6, vcc, v6, v1
	v_addc_co_u32_e32 v7, vcc, 0, v5, vcc
	global_load_dword v5, v[6:7], off
	v_add_u32_e32 v6, 0x1000, v4
	s_waitcnt vmcnt(0)
	ds_write_b32 v6, v5
.LBB147_5:
	s_or_b64 exec, exec, s[6:7]
	s_cmpk_eq_i32 s25, 0x84
	s_cselect_b64 s[6:7], -1, 0
	v_cmp_eq_u32_e32 vcc, v0, v3
	s_and_b64 s[8:9], vcc, s[6:7]
	s_and_saveexec_b64 s[6:7], s[8:9]
	s_cbranch_execz .LBB147_7
; %bb.6:
	v_mov_b32_e32 v5, 1.0
	ds_write_b32 v4, v5
.LBB147_7:
	s_or_b64 exec, exec, s[6:7]
	s_cmpk_lg_i32 s24, 0x7a
	s_waitcnt lgkmcnt(0)
	s_barrier
	s_cbranch_scc0 .LBB147_9
; %bb.8:
	v_cmp_lt_u32_e32 vcc, v3, v0
	s_and_b64 s[6:7], vcc, exec
	s_cbranch_execz .LBB147_10
	s_branch .LBB147_11
.LBB147_9:
	s_mov_b64 s[6:7], 0
.LBB147_10:
	v_cmp_gt_u32_e32 vcc, v3, v0
	s_andn2_b64 s[6:7], s[6:7], exec
	s_and_b64 s[8:9], vcc, exec
	s_or_b64 s[6:7], s[6:7], s[8:9]
.LBB147_11:
	s_and_saveexec_b64 s[8:9], s[6:7]
	s_cbranch_execz .LBB147_13
; %bb.12:
	v_mov_b32_e32 v3, 0
	ds_write_b32 v4, v3
.LBB147_13:
	s_or_b64 exec, exec, s[8:9]
	s_waitcnt lgkmcnt(0)
	s_barrier
	s_and_saveexec_b64 s[6:7], s[0:1]
	s_cbranch_execz .LBB147_15
; %bb.14:
	ds_read2_b32 v[18:19], v1 offset1:32
	v_lshlrev_b32_e32 v24, 2, v2
	ds_read_b128 v[2:5], v24 offset:4096
	ds_read_b128 v[6:9], v24 offset:4112
	ds_read2_b32 v[20:21], v1 offset0:64 offset1:96
	ds_read_b128 v[10:13], v24 offset:4128
	ds_read_b128 v[14:17], v24 offset:4144
	ds_read2_b32 v[22:23], v1 offset0:128 offset1:160
	s_load_dwordx2 s[0:1], s[4:5], 0x60
	s_waitcnt lgkmcnt(0)
	v_fma_f32 v18, v18, v2, 0
	v_fmac_f32_e32 v18, v19, v3
	ds_read2_b32 v[2:3], v1 offset0:192 offset1:224
	v_fmac_f32_e32 v18, v20, v4
	v_add_u32_e32 v19, 0x400, v1
	v_fmac_f32_e32 v18, v21, v5
	ds_read2_b32 v[4:5], v19 offset1:32
	v_fmac_f32_e32 v18, v22, v6
	v_fmac_f32_e32 v18, v23, v7
	ds_read2_b32 v[6:7], v19 offset0:64 offset1:96
	s_waitcnt lgkmcnt(2)
	v_fmac_f32_e32 v18, v2, v8
	v_fmac_f32_e32 v18, v3, v9
	ds_read2_b32 v[2:3], v19 offset0:128 offset1:160
	s_waitcnt lgkmcnt(2)
	v_fmac_f32_e32 v18, v4, v10
	v_fmac_f32_e32 v18, v5, v11
	s_waitcnt lgkmcnt(1)
	v_fmac_f32_e32 v18, v6, v12
	v_fmac_f32_e32 v18, v7, v13
	ds_read2_b32 v[6:7], v19 offset0:192 offset1:224
	s_waitcnt lgkmcnt(1)
	v_fmac_f32_e32 v18, v2, v14
	v_add_u32_e32 v19, 0x800, v1
	v_fmac_f32_e32 v18, v3, v15
	ds_read2_b32 v[10:11], v19 offset1:32
	ds_read_b128 v[2:5], v24 offset:4160
	s_waitcnt lgkmcnt(2)
	v_fmac_f32_e32 v18, v6, v16
	v_fmac_f32_e32 v18, v7, v17
	ds_read2_b32 v[12:13], v19 offset0:64 offset1:96
	ds_read_b128 v[6:9], v24 offset:4176
	ds_read2_b32 v[14:15], v19 offset0:128 offset1:160
	s_waitcnt lgkmcnt(3)
	v_fmac_f32_e32 v18, v10, v2
	v_fmac_f32_e32 v18, v11, v3
	ds_read2_b32 v[2:3], v19 offset0:192 offset1:224
	s_waitcnt lgkmcnt(3)
	v_fmac_f32_e32 v18, v12, v4
	v_fmac_f32_e32 v18, v13, v5
	s_waitcnt lgkmcnt(1)
	v_pk_mul_f32 v[4:5], v[14:15], v[6:7]
	v_add_f32_e32 v4, v18, v4
	v_add_u32_e32 v14, 0xc00, v1
	v_add_f32_e32 v12, v4, v5
	s_waitcnt lgkmcnt(0)
	v_pk_mul_f32 v[6:7], v[2:3], v[8:9]
	ds_read2_b32 v[10:11], v14 offset1:32
	ds_read_b128 v[2:5], v24 offset:4192
	v_add_f32_e32 v6, v12, v6
	v_add_f32_e32 v15, v6, v7
	ds_read2_b32 v[12:13], v14 offset0:64 offset1:96
	ds_read_b128 v[6:9], v24 offset:4208
	s_lshl_b64 s[0:1], s[0:1], 2
	s_waitcnt lgkmcnt(2)
	v_pk_mul_f32 v[2:3], v[10:11], v[2:3]
	v_add_f32_e32 v2, v15, v2
	v_add_f32_e32 v10, v2, v3
	ds_read2_b32 v[2:3], v14 offset0:128 offset1:160
	s_waitcnt lgkmcnt(2)
	v_pk_mul_f32 v[4:5], v[12:13], v[4:5]
	v_add_f32_e32 v4, v10, v4
	ds_read2_b32 v[10:11], v14 offset0:192 offset1:224
	s_mul_i32 s4, s10, s23
	s_mul_hi_u32 s5, s10, s22
	s_add_u32 s2, s2, s0
	v_add_f32_e32 v4, v4, v5
	s_waitcnt lgkmcnt(1)
	v_pk_mul_f32 v[2:3], v[2:3], v[6:7]
	s_mul_i32 s11, s11, s22
	s_addc_u32 s3, s3, s1
	s_add_i32 s0, s5, s4
	v_add_f32_e32 v2, v4, v2
	s_add_i32 s1, s0, s11
	s_mul_i32 s0, s10, s22
	v_add_f32_e32 v4, v2, v3
	s_waitcnt lgkmcnt(0)
	v_pk_mul_f32 v[2:3], v[10:11], v[8:9]
	s_lshl_b64 s[0:1], s[0:1], 2
	v_add_f32_e32 v2, v4, v2
	s_add_u32 s2, s2, s0
	v_add_f32_e32 v2, v2, v3
	s_addc_u32 s3, s3, s1
	v_mul_f32_e32 v6, s30, v2
	v_mad_u64_u32 v[2:3], s[0:1], v0, s22, 0
	v_mov_b32_e32 v4, v3
	v_mad_u64_u32 v[4:5], s[0:1], v0, s23, v[4:5]
	v_mov_b32_e32 v3, v4
	v_lshlrev_b64 v[2:3], 2, v[2:3]
	v_mov_b32_e32 v0, s3
	v_add_co_u32_e32 v2, vcc, s2, v2
	v_addc_co_u32_e32 v3, vcc, v0, v3, vcc
	v_add_co_u32_e32 v0, vcc, v2, v1
	v_addc_co_u32_e32 v1, vcc, 0, v3, vcc
	global_store_dword v[0:1], v6, off
.LBB147_15:
	s_endpgm
	.section	.rodata,"a",@progbits
	.p2align	6, 0x0
	.amdhsa_kernel _ZL23rocblas_trmm_lTx_kernelILi32ELb0EffKPKfKPfEv13rocblas_fill_17rocblas_diagonal_iiT2_lPT3_llS9_llPT4_lli
		.amdhsa_group_segment_fixed_size 8192
		.amdhsa_private_segment_fixed_size 0
		.amdhsa_kernarg_size 108
		.amdhsa_user_sgpr_count 6
		.amdhsa_user_sgpr_private_segment_buffer 1
		.amdhsa_user_sgpr_dispatch_ptr 0
		.amdhsa_user_sgpr_queue_ptr 0
		.amdhsa_user_sgpr_kernarg_segment_ptr 1
		.amdhsa_user_sgpr_dispatch_id 0
		.amdhsa_user_sgpr_flat_scratch_init 0
		.amdhsa_user_sgpr_kernarg_preload_length 0
		.amdhsa_user_sgpr_kernarg_preload_offset 0
		.amdhsa_user_sgpr_private_segment_size 0
		.amdhsa_uses_dynamic_stack 0
		.amdhsa_system_sgpr_private_segment_wavefront_offset 0
		.amdhsa_system_sgpr_workgroup_id_x 1
		.amdhsa_system_sgpr_workgroup_id_y 0
		.amdhsa_system_sgpr_workgroup_id_z 1
		.amdhsa_system_sgpr_workgroup_info 0
		.amdhsa_system_vgpr_workitem_id 1
		.amdhsa_next_free_vgpr 25
		.amdhsa_next_free_sgpr 31
		.amdhsa_accum_offset 28
		.amdhsa_reserve_vcc 1
		.amdhsa_reserve_flat_scratch 0
		.amdhsa_float_round_mode_32 0
		.amdhsa_float_round_mode_16_64 0
		.amdhsa_float_denorm_mode_32 3
		.amdhsa_float_denorm_mode_16_64 3
		.amdhsa_dx10_clamp 1
		.amdhsa_ieee_mode 1
		.amdhsa_fp16_overflow 0
		.amdhsa_tg_split 0
		.amdhsa_exception_fp_ieee_invalid_op 0
		.amdhsa_exception_fp_denorm_src 0
		.amdhsa_exception_fp_ieee_div_zero 0
		.amdhsa_exception_fp_ieee_overflow 0
		.amdhsa_exception_fp_ieee_underflow 0
		.amdhsa_exception_fp_ieee_inexact 0
		.amdhsa_exception_int_div_zero 0
	.end_amdhsa_kernel
	.section	.text._ZL23rocblas_trmm_lTx_kernelILi32ELb0EffKPKfKPfEv13rocblas_fill_17rocblas_diagonal_iiT2_lPT3_llS9_llPT4_lli,"axG",@progbits,_ZL23rocblas_trmm_lTx_kernelILi32ELb0EffKPKfKPfEv13rocblas_fill_17rocblas_diagonal_iiT2_lPT3_llS9_llPT4_lli,comdat
.Lfunc_end147:
	.size	_ZL23rocblas_trmm_lTx_kernelILi32ELb0EffKPKfKPfEv13rocblas_fill_17rocblas_diagonal_iiT2_lPT3_llS9_llPT4_lli, .Lfunc_end147-_ZL23rocblas_trmm_lTx_kernelILi32ELb0EffKPKfKPfEv13rocblas_fill_17rocblas_diagonal_iiT2_lPT3_llS9_llPT4_lli
                                        ; -- End function
	.section	.AMDGPU.csdata,"",@progbits
; Kernel info:
; codeLenInByte = 1208
; NumSgprs: 35
; NumVgprs: 25
; NumAgprs: 0
; TotalNumVgprs: 25
; ScratchSize: 0
; MemoryBound: 0
; FloatMode: 240
; IeeeMode: 1
; LDSByteSize: 8192 bytes/workgroup (compile time only)
; SGPRBlocks: 4
; VGPRBlocks: 3
; NumSGPRsForWavesPerEU: 35
; NumVGPRsForWavesPerEU: 25
; AccumOffset: 28
; Occupancy: 8
; WaveLimiterHint : 1
; COMPUTE_PGM_RSRC2:SCRATCH_EN: 0
; COMPUTE_PGM_RSRC2:USER_SGPR: 6
; COMPUTE_PGM_RSRC2:TRAP_HANDLER: 0
; COMPUTE_PGM_RSRC2:TGID_X_EN: 1
; COMPUTE_PGM_RSRC2:TGID_Y_EN: 0
; COMPUTE_PGM_RSRC2:TGID_Z_EN: 1
; COMPUTE_PGM_RSRC2:TIDIG_COMP_CNT: 1
; COMPUTE_PGM_RSRC3_GFX90A:ACCUM_OFFSET: 6
; COMPUTE_PGM_RSRC3_GFX90A:TG_SPLIT: 0
	.section	.text._ZL23rocblas_trmm_lTx_kernelILi32ELb1EfPKfKS1_KPfEv13rocblas_fill_17rocblas_diagonal_iiT2_lPT3_llS9_llPT4_lli,"axG",@progbits,_ZL23rocblas_trmm_lTx_kernelILi32ELb1EfPKfKS1_KPfEv13rocblas_fill_17rocblas_diagonal_iiT2_lPT3_llS9_llPT4_lli,comdat
	.globl	_ZL23rocblas_trmm_lTx_kernelILi32ELb1EfPKfKS1_KPfEv13rocblas_fill_17rocblas_diagonal_iiT2_lPT3_llS9_llPT4_lli ; -- Begin function _ZL23rocblas_trmm_lTx_kernelILi32ELb1EfPKfKS1_KPfEv13rocblas_fill_17rocblas_diagonal_iiT2_lPT3_llS9_llPT4_lli
	.p2align	8
	.type	_ZL23rocblas_trmm_lTx_kernelILi32ELb1EfPKfKS1_KPfEv13rocblas_fill_17rocblas_diagonal_iiT2_lPT3_llS9_llPT4_lli,@function
_ZL23rocblas_trmm_lTx_kernelILi32ELb1EfPKfKS1_KPfEv13rocblas_fill_17rocblas_diagonal_iiT2_lPT3_llS9_llPT4_lli: ; @_ZL23rocblas_trmm_lTx_kernelILi32ELb1EfPKfKS1_KPfEv13rocblas_fill_17rocblas_diagonal_iiT2_lPT3_llS9_llPT4_lli
; %bb.0:
	s_load_dwordx16 s[8:23], s[4:5], 0x10
	s_waitcnt lgkmcnt(0)
	s_mul_i32 s0, s7, s11
	s_mul_hi_u32 s1, s7, s10
	s_add_i32 s1, s1, s0
	s_mul_i32 s0, s7, s10
	s_lshl_b64 s[0:1], s[0:1], 2
	s_add_u32 s0, s8, s0
	s_addc_u32 s1, s9, s1
	s_load_dword s28, s[0:1], 0x0
	s_waitcnt lgkmcnt(0)
	v_cmp_eq_f32_e64 s[0:1], s28, 0
	s_and_b64 vcc, exec, s[0:1]
	s_cbranch_vccnz .LBB148_15
; %bb.1:
	s_mov_b32 s24, s7
	s_mov_b32 s25, 0
	s_load_dwordx4 s[8:11], s[4:5], 0x0
	s_load_dwordx4 s[0:3], s[4:5], 0x50
	s_lshl_b64 s[26:27], s[24:25], 3
	s_add_u32 s12, s12, s26
	s_addc_u32 s13, s13, s27
	s_load_dwordx2 s[24:25], s[12:13], 0x0
	s_add_u32 s12, s18, s26
	s_addc_u32 s13, s19, s27
	s_waitcnt lgkmcnt(0)
	s_add_u32 s0, s0, s26
	s_addc_u32 s1, s1, s27
	s_load_dwordx2 s[18:19], s[12:13], 0x0
	v_and_b32_e32 v3, 0x3ff, v0
	s_load_dwordx2 s[12:13], s[0:1], 0x0
	v_bfe_u32 v0, v0, 10, 10
	v_lshlrev_b32_e32 v2, 5, v0
	v_add_lshl_u32 v4, v2, v3, 2
	v_mov_b32_e32 v1, 0
	v_cmp_gt_i32_e64 s[0:1], s10, v0
	v_cmp_gt_i32_e32 vcc, s10, v3
	ds_write2st64_b32 v4, v1, v1 offset1:16
	s_and_b64 s[0:1], s[0:1], vcc
	v_lshlrev_b32_e32 v1, 2, v3
	s_waitcnt lgkmcnt(0)
	s_barrier
	s_and_saveexec_b64 s[26:27], s[0:1]
	s_cbranch_execz .LBB148_3
; %bb.2:
	s_lshl_b64 s[0:1], s[16:17], 2
	s_add_u32 s7, s24, s0
	s_addc_u32 s10, s25, s1
	v_mad_u64_u32 v[6:7], s[0:1], v0, s14, 0
	v_mov_b32_e32 v8, v7
	v_mad_u64_u32 v[8:9], s[0:1], v0, s15, v[8:9]
	v_mov_b32_e32 v7, v8
	v_lshlrev_b64 v[6:7], 2, v[6:7]
	v_mov_b32_e32 v5, s10
	v_add_co_u32_e64 v6, s[0:1], s7, v6
	v_addc_co_u32_e64 v5, s[0:1], v5, v7, s[0:1]
	v_add_co_u32_e64 v6, s[0:1], v6, v1
	v_addc_co_u32_e64 v7, s[0:1], 0, v5, s[0:1]
	global_load_dword v5, v[6:7], off
	v_lshlrev_b32_e32 v6, 5, v3
	v_add_lshl_u32 v6, v6, v0, 2
	s_waitcnt vmcnt(0)
	ds_write_b32 v6, v5
.LBB148_3:
	s_or_b64 exec, exec, s[26:27]
	s_add_i32 s0, s11, -1
	s_ashr_i32 s1, s0, 31
	s_lshr_b32 s1, s1, 27
	s_add_i32 s0, s0, s1
	s_ashr_i32 s1, s0, 5
	s_andn2_b32 s0, s0, 31
	s_sub_i32 s0, s11, s0
	s_cmp_ge_i32 s6, s1
	s_cselect_b32 s0, s0, 32
	s_lshl_b32 s10, s6, 5
	v_cmp_gt_i32_e64 s[0:1], s0, v0
	s_ashr_i32 s11, s10, 31
	s_and_b64 s[0:1], vcc, s[0:1]
	s_and_saveexec_b64 s[6:7], s[0:1]
	s_cbranch_execz .LBB148_5
; %bb.4:
	s_lshl_b64 s[14:15], s[22:23], 2
	s_add_u32 s16, s18, s14
	s_addc_u32 s17, s19, s15
	s_mul_i32 s14, s10, s21
	s_mul_hi_u32 s15, s10, s20
	s_add_i32 s14, s15, s14
	s_mul_i32 s15, s11, s20
	s_add_i32 s15, s14, s15
	s_mul_i32 s14, s10, s20
	s_lshl_b64 s[14:15], s[14:15], 2
	s_add_u32 s16, s16, s14
	s_addc_u32 s17, s17, s15
	v_mad_u64_u32 v[6:7], s[14:15], v0, s20, 0
	v_mov_b32_e32 v8, v7
	v_mad_u64_u32 v[8:9], s[14:15], v0, s21, v[8:9]
	v_mov_b32_e32 v7, v8
	v_lshlrev_b64 v[6:7], 2, v[6:7]
	v_mov_b32_e32 v5, s17
	v_add_co_u32_e32 v6, vcc, s16, v6
	v_addc_co_u32_e32 v5, vcc, v5, v7, vcc
	v_add_co_u32_e32 v6, vcc, v6, v1
	v_addc_co_u32_e32 v7, vcc, 0, v5, vcc
	global_load_dword v5, v[6:7], off
	v_add_u32_e32 v6, 0x1000, v4
	s_waitcnt vmcnt(0)
	ds_write_b32 v6, v5
.LBB148_5:
	s_or_b64 exec, exec, s[6:7]
	s_cmpk_eq_i32 s9, 0x84
	s_cselect_b64 s[6:7], -1, 0
	v_cmp_eq_u32_e32 vcc, v0, v3
	s_and_b64 s[14:15], vcc, s[6:7]
	s_and_saveexec_b64 s[6:7], s[14:15]
	s_cbranch_execz .LBB148_7
; %bb.6:
	v_mov_b32_e32 v5, 1.0
	ds_write_b32 v4, v5
.LBB148_7:
	s_or_b64 exec, exec, s[6:7]
	s_cmpk_lg_i32 s8, 0x7a
	s_waitcnt lgkmcnt(0)
	s_barrier
	s_cbranch_scc0 .LBB148_9
; %bb.8:
	v_cmp_lt_u32_e32 vcc, v3, v0
	s_and_b64 s[6:7], vcc, exec
	s_cbranch_execz .LBB148_10
	s_branch .LBB148_11
.LBB148_9:
	s_mov_b64 s[6:7], 0
.LBB148_10:
	v_cmp_gt_u32_e32 vcc, v3, v0
	s_andn2_b64 s[6:7], s[6:7], exec
	s_and_b64 s[8:9], vcc, exec
	s_or_b64 s[6:7], s[6:7], s[8:9]
.LBB148_11:
	s_and_saveexec_b64 s[8:9], s[6:7]
	s_cbranch_execz .LBB148_13
; %bb.12:
	v_mov_b32_e32 v3, 0
	ds_write_b32 v4, v3
.LBB148_13:
	s_or_b64 exec, exec, s[8:9]
	s_waitcnt lgkmcnt(0)
	s_barrier
	s_and_saveexec_b64 s[6:7], s[0:1]
	s_cbranch_execz .LBB148_15
; %bb.14:
	ds_read2_b32 v[18:19], v1 offset1:32
	v_lshlrev_b32_e32 v24, 2, v2
	ds_read_b128 v[2:5], v24 offset:4096
	ds_read_b128 v[6:9], v24 offset:4112
	ds_read2_b32 v[20:21], v1 offset0:64 offset1:96
	ds_read_b128 v[10:13], v24 offset:4128
	ds_read_b128 v[14:17], v24 offset:4144
	ds_read2_b32 v[22:23], v1 offset0:128 offset1:160
	s_load_dwordx2 s[0:1], s[4:5], 0x60
	s_waitcnt lgkmcnt(0)
	v_fma_f32 v18, v18, v2, 0
	v_fmac_f32_e32 v18, v19, v3
	ds_read2_b32 v[2:3], v1 offset0:192 offset1:224
	v_fmac_f32_e32 v18, v20, v4
	v_add_u32_e32 v19, 0x400, v1
	v_fmac_f32_e32 v18, v21, v5
	ds_read2_b32 v[4:5], v19 offset1:32
	v_fmac_f32_e32 v18, v22, v6
	v_fmac_f32_e32 v18, v23, v7
	ds_read2_b32 v[6:7], v19 offset0:64 offset1:96
	s_waitcnt lgkmcnt(2)
	v_fmac_f32_e32 v18, v2, v8
	v_fmac_f32_e32 v18, v3, v9
	ds_read2_b32 v[2:3], v19 offset0:128 offset1:160
	s_waitcnt lgkmcnt(2)
	v_fmac_f32_e32 v18, v4, v10
	v_fmac_f32_e32 v18, v5, v11
	s_waitcnt lgkmcnt(1)
	v_fmac_f32_e32 v18, v6, v12
	v_fmac_f32_e32 v18, v7, v13
	ds_read2_b32 v[6:7], v19 offset0:192 offset1:224
	s_waitcnt lgkmcnt(1)
	v_fmac_f32_e32 v18, v2, v14
	v_add_u32_e32 v19, 0x800, v1
	v_fmac_f32_e32 v18, v3, v15
	ds_read2_b32 v[10:11], v19 offset1:32
	ds_read_b128 v[2:5], v24 offset:4160
	s_waitcnt lgkmcnt(2)
	v_fmac_f32_e32 v18, v6, v16
	v_fmac_f32_e32 v18, v7, v17
	ds_read2_b32 v[12:13], v19 offset0:64 offset1:96
	ds_read_b128 v[6:9], v24 offset:4176
	ds_read2_b32 v[14:15], v19 offset0:128 offset1:160
	s_waitcnt lgkmcnt(3)
	v_fmac_f32_e32 v18, v10, v2
	v_fmac_f32_e32 v18, v11, v3
	ds_read2_b32 v[2:3], v19 offset0:192 offset1:224
	s_waitcnt lgkmcnt(3)
	v_fmac_f32_e32 v18, v12, v4
	v_fmac_f32_e32 v18, v13, v5
	s_waitcnt lgkmcnt(1)
	v_pk_mul_f32 v[4:5], v[14:15], v[6:7]
	v_add_f32_e32 v4, v18, v4
	v_add_u32_e32 v14, 0xc00, v1
	v_add_f32_e32 v12, v4, v5
	s_waitcnt lgkmcnt(0)
	v_pk_mul_f32 v[6:7], v[2:3], v[8:9]
	ds_read2_b32 v[10:11], v14 offset1:32
	ds_read_b128 v[2:5], v24 offset:4192
	v_add_f32_e32 v6, v12, v6
	v_add_f32_e32 v15, v6, v7
	ds_read2_b32 v[12:13], v14 offset0:64 offset1:96
	ds_read_b128 v[6:9], v24 offset:4208
	s_lshl_b64 s[0:1], s[0:1], 2
	s_waitcnt lgkmcnt(2)
	v_pk_mul_f32 v[2:3], v[10:11], v[2:3]
	v_add_f32_e32 v2, v15, v2
	v_add_f32_e32 v10, v2, v3
	ds_read2_b32 v[2:3], v14 offset0:128 offset1:160
	s_waitcnt lgkmcnt(2)
	v_pk_mul_f32 v[4:5], v[12:13], v[4:5]
	v_add_f32_e32 v4, v10, v4
	ds_read2_b32 v[10:11], v14 offset0:192 offset1:224
	s_mul_i32 s4, s10, s3
	s_mul_hi_u32 s5, s10, s2
	s_add_u32 s6, s12, s0
	v_add_f32_e32 v4, v4, v5
	s_waitcnt lgkmcnt(1)
	v_pk_mul_f32 v[2:3], v[2:3], v[6:7]
	s_mul_i32 s11, s11, s2
	s_addc_u32 s7, s13, s1
	s_add_i32 s0, s5, s4
	v_add_f32_e32 v2, v4, v2
	s_add_i32 s1, s0, s11
	s_mul_i32 s0, s10, s2
	v_add_f32_e32 v4, v2, v3
	s_waitcnt lgkmcnt(0)
	v_pk_mul_f32 v[2:3], v[10:11], v[8:9]
	s_lshl_b64 s[0:1], s[0:1], 2
	v_add_f32_e32 v2, v4, v2
	s_add_u32 s4, s6, s0
	v_add_f32_e32 v2, v2, v3
	s_addc_u32 s5, s7, s1
	v_mul_f32_e32 v6, s28, v2
	v_mad_u64_u32 v[2:3], s[0:1], v0, s2, 0
	v_mov_b32_e32 v4, v3
	v_mad_u64_u32 v[4:5], s[0:1], v0, s3, v[4:5]
	v_mov_b32_e32 v3, v4
	v_lshlrev_b64 v[2:3], 2, v[2:3]
	v_mov_b32_e32 v0, s5
	v_add_co_u32_e32 v2, vcc, s4, v2
	v_addc_co_u32_e32 v3, vcc, v0, v3, vcc
	v_add_co_u32_e32 v0, vcc, v2, v1
	v_addc_co_u32_e32 v1, vcc, 0, v3, vcc
	global_store_dword v[0:1], v6, off
.LBB148_15:
	s_endpgm
	.section	.rodata,"a",@progbits
	.p2align	6, 0x0
	.amdhsa_kernel _ZL23rocblas_trmm_lTx_kernelILi32ELb1EfPKfKS1_KPfEv13rocblas_fill_17rocblas_diagonal_iiT2_lPT3_llS9_llPT4_lli
		.amdhsa_group_segment_fixed_size 8192
		.amdhsa_private_segment_fixed_size 0
		.amdhsa_kernarg_size 108
		.amdhsa_user_sgpr_count 6
		.amdhsa_user_sgpr_private_segment_buffer 1
		.amdhsa_user_sgpr_dispatch_ptr 0
		.amdhsa_user_sgpr_queue_ptr 0
		.amdhsa_user_sgpr_kernarg_segment_ptr 1
		.amdhsa_user_sgpr_dispatch_id 0
		.amdhsa_user_sgpr_flat_scratch_init 0
		.amdhsa_user_sgpr_kernarg_preload_length 0
		.amdhsa_user_sgpr_kernarg_preload_offset 0
		.amdhsa_user_sgpr_private_segment_size 0
		.amdhsa_uses_dynamic_stack 0
		.amdhsa_system_sgpr_private_segment_wavefront_offset 0
		.amdhsa_system_sgpr_workgroup_id_x 1
		.amdhsa_system_sgpr_workgroup_id_y 0
		.amdhsa_system_sgpr_workgroup_id_z 1
		.amdhsa_system_sgpr_workgroup_info 0
		.amdhsa_system_vgpr_workitem_id 1
		.amdhsa_next_free_vgpr 25
		.amdhsa_next_free_sgpr 29
		.amdhsa_accum_offset 28
		.amdhsa_reserve_vcc 1
		.amdhsa_reserve_flat_scratch 0
		.amdhsa_float_round_mode_32 0
		.amdhsa_float_round_mode_16_64 0
		.amdhsa_float_denorm_mode_32 3
		.amdhsa_float_denorm_mode_16_64 3
		.amdhsa_dx10_clamp 1
		.amdhsa_ieee_mode 1
		.amdhsa_fp16_overflow 0
		.amdhsa_tg_split 0
		.amdhsa_exception_fp_ieee_invalid_op 0
		.amdhsa_exception_fp_denorm_src 0
		.amdhsa_exception_fp_ieee_div_zero 0
		.amdhsa_exception_fp_ieee_overflow 0
		.amdhsa_exception_fp_ieee_underflow 0
		.amdhsa_exception_fp_ieee_inexact 0
		.amdhsa_exception_int_div_zero 0
	.end_amdhsa_kernel
	.section	.text._ZL23rocblas_trmm_lTx_kernelILi32ELb1EfPKfKS1_KPfEv13rocblas_fill_17rocblas_diagonal_iiT2_lPT3_llS9_llPT4_lli,"axG",@progbits,_ZL23rocblas_trmm_lTx_kernelILi32ELb1EfPKfKS1_KPfEv13rocblas_fill_17rocblas_diagonal_iiT2_lPT3_llS9_llPT4_lli,comdat
.Lfunc_end148:
	.size	_ZL23rocblas_trmm_lTx_kernelILi32ELb1EfPKfKS1_KPfEv13rocblas_fill_17rocblas_diagonal_iiT2_lPT3_llS9_llPT4_lli, .Lfunc_end148-_ZL23rocblas_trmm_lTx_kernelILi32ELb1EfPKfKS1_KPfEv13rocblas_fill_17rocblas_diagonal_iiT2_lPT3_llS9_llPT4_lli
                                        ; -- End function
	.section	.AMDGPU.csdata,"",@progbits
; Kernel info:
; codeLenInByte = 1248
; NumSgprs: 33
; NumVgprs: 25
; NumAgprs: 0
; TotalNumVgprs: 25
; ScratchSize: 0
; MemoryBound: 0
; FloatMode: 240
; IeeeMode: 1
; LDSByteSize: 8192 bytes/workgroup (compile time only)
; SGPRBlocks: 4
; VGPRBlocks: 3
; NumSGPRsForWavesPerEU: 33
; NumVGPRsForWavesPerEU: 25
; AccumOffset: 28
; Occupancy: 8
; WaveLimiterHint : 1
; COMPUTE_PGM_RSRC2:SCRATCH_EN: 0
; COMPUTE_PGM_RSRC2:USER_SGPR: 6
; COMPUTE_PGM_RSRC2:TRAP_HANDLER: 0
; COMPUTE_PGM_RSRC2:TGID_X_EN: 1
; COMPUTE_PGM_RSRC2:TGID_Y_EN: 0
; COMPUTE_PGM_RSRC2:TGID_Z_EN: 1
; COMPUTE_PGM_RSRC2:TIDIG_COMP_CNT: 1
; COMPUTE_PGM_RSRC3_GFX90A:ACCUM_OFFSET: 6
; COMPUTE_PGM_RSRC3_GFX90A:TG_SPLIT: 0
	.section	.text._ZL23rocblas_trmm_lTx_kernelILi32ELb1EffKPKfKPfEv13rocblas_fill_17rocblas_diagonal_iiT2_lPT3_llS9_llPT4_lli,"axG",@progbits,_ZL23rocblas_trmm_lTx_kernelILi32ELb1EffKPKfKPfEv13rocblas_fill_17rocblas_diagonal_iiT2_lPT3_llS9_llPT4_lli,comdat
	.globl	_ZL23rocblas_trmm_lTx_kernelILi32ELb1EffKPKfKPfEv13rocblas_fill_17rocblas_diagonal_iiT2_lPT3_llS9_llPT4_lli ; -- Begin function _ZL23rocblas_trmm_lTx_kernelILi32ELb1EffKPKfKPfEv13rocblas_fill_17rocblas_diagonal_iiT2_lPT3_llS9_llPT4_lli
	.p2align	8
	.type	_ZL23rocblas_trmm_lTx_kernelILi32ELb1EffKPKfKPfEv13rocblas_fill_17rocblas_diagonal_iiT2_lPT3_llS9_llPT4_lli,@function
_ZL23rocblas_trmm_lTx_kernelILi32ELb1EffKPKfKPfEv13rocblas_fill_17rocblas_diagonal_iiT2_lPT3_llS9_llPT4_lli: ; @_ZL23rocblas_trmm_lTx_kernelILi32ELb1EffKPKfKPfEv13rocblas_fill_17rocblas_diagonal_iiT2_lPT3_llS9_llPT4_lli
; %bb.0:
	s_load_dword s30, s[4:5], 0x10
	s_mov_b32 s1, 0
	s_waitcnt lgkmcnt(0)
	v_cmp_eq_f32_e64 s[2:3], s30, 0
	s_and_b64 vcc, exec, s[2:3]
	s_cbranch_vccnz .LBB149_15
; %bb.1:
	s_load_dwordx16 s[8:23], s[4:5], 0x20
	s_load_dwordx4 s[24:27], s[4:5], 0x0
	s_mov_b32 s0, s7
	s_lshl_b64 s[0:1], s[0:1], 3
	v_and_b32_e32 v3, 0x3ff, v0
	s_waitcnt lgkmcnt(0)
	s_add_u32 s2, s8, s0
	s_addc_u32 s3, s9, s1
	s_load_dwordx2 s[28:29], s[2:3], 0x0
	s_add_u32 s2, s14, s0
	s_addc_u32 s3, s15, s1
	s_add_u32 s0, s20, s0
	s_addc_u32 s1, s21, s1
	s_load_dwordx2 s[8:9], s[2:3], 0x0
	v_bfe_u32 v0, v0, 10, 10
	s_load_dwordx2 s[2:3], s[0:1], 0x0
	v_lshlrev_b32_e32 v2, 5, v0
	v_add_lshl_u32 v4, v2, v3, 2
	v_mov_b32_e32 v1, 0
	v_cmp_gt_i32_e64 s[0:1], s26, v0
	v_cmp_gt_i32_e32 vcc, s26, v3
	ds_write2st64_b32 v4, v1, v1 offset1:16
	s_and_b64 s[0:1], s[0:1], vcc
	v_lshlrev_b32_e32 v1, 2, v3
	s_waitcnt lgkmcnt(0)
	s_barrier
	s_and_saveexec_b64 s[14:15], s[0:1]
	s_cbranch_execz .LBB149_3
; %bb.2:
	s_lshl_b64 s[0:1], s[12:13], 2
	s_add_u32 s7, s28, s0
	s_addc_u32 s12, s29, s1
	v_mad_u64_u32 v[6:7], s[0:1], v0, s10, 0
	v_mov_b32_e32 v8, v7
	v_mad_u64_u32 v[8:9], s[0:1], v0, s11, v[8:9]
	v_mov_b32_e32 v7, v8
	v_lshlrev_b64 v[6:7], 2, v[6:7]
	v_mov_b32_e32 v5, s12
	v_add_co_u32_e64 v6, s[0:1], s7, v6
	v_addc_co_u32_e64 v5, s[0:1], v5, v7, s[0:1]
	v_add_co_u32_e64 v6, s[0:1], v6, v1
	v_addc_co_u32_e64 v7, s[0:1], 0, v5, s[0:1]
	global_load_dword v5, v[6:7], off
	v_lshlrev_b32_e32 v6, 5, v3
	v_add_lshl_u32 v6, v6, v0, 2
	s_waitcnt vmcnt(0)
	ds_write_b32 v6, v5
.LBB149_3:
	s_or_b64 exec, exec, s[14:15]
	s_add_i32 s0, s27, -1
	s_ashr_i32 s1, s0, 31
	s_lshr_b32 s1, s1, 27
	s_add_i32 s0, s0, s1
	s_ashr_i32 s1, s0, 5
	s_andn2_b32 s0, s0, 31
	s_sub_i32 s0, s27, s0
	s_cmp_ge_i32 s6, s1
	s_cselect_b32 s0, s0, 32
	s_lshl_b32 s10, s6, 5
	v_cmp_gt_i32_e64 s[0:1], s0, v0
	s_ashr_i32 s11, s10, 31
	s_and_b64 s[0:1], vcc, s[0:1]
	s_and_saveexec_b64 s[6:7], s[0:1]
	s_cbranch_execz .LBB149_5
; %bb.4:
	s_lshl_b64 s[12:13], s[18:19], 2
	s_add_u32 s12, s8, s12
	s_addc_u32 s13, s9, s13
	s_mul_i32 s8, s10, s17
	s_mul_hi_u32 s9, s10, s16
	s_add_i32 s8, s9, s8
	s_mul_i32 s9, s11, s16
	s_add_i32 s9, s8, s9
	s_mul_i32 s8, s10, s16
	s_lshl_b64 s[8:9], s[8:9], 2
	s_add_u32 s12, s12, s8
	s_addc_u32 s13, s13, s9
	v_mad_u64_u32 v[6:7], s[8:9], v0, s16, 0
	v_mov_b32_e32 v8, v7
	v_mad_u64_u32 v[8:9], s[8:9], v0, s17, v[8:9]
	v_mov_b32_e32 v7, v8
	v_lshlrev_b64 v[6:7], 2, v[6:7]
	v_mov_b32_e32 v5, s13
	v_add_co_u32_e32 v6, vcc, s12, v6
	v_addc_co_u32_e32 v5, vcc, v5, v7, vcc
	v_add_co_u32_e32 v6, vcc, v6, v1
	v_addc_co_u32_e32 v7, vcc, 0, v5, vcc
	global_load_dword v5, v[6:7], off
	v_add_u32_e32 v6, 0x1000, v4
	s_waitcnt vmcnt(0)
	ds_write_b32 v6, v5
.LBB149_5:
	s_or_b64 exec, exec, s[6:7]
	s_cmpk_eq_i32 s25, 0x84
	s_cselect_b64 s[6:7], -1, 0
	v_cmp_eq_u32_e32 vcc, v0, v3
	s_and_b64 s[8:9], vcc, s[6:7]
	s_and_saveexec_b64 s[6:7], s[8:9]
	s_cbranch_execz .LBB149_7
; %bb.6:
	v_mov_b32_e32 v5, 1.0
	ds_write_b32 v4, v5
.LBB149_7:
	s_or_b64 exec, exec, s[6:7]
	s_cmpk_lg_i32 s24, 0x7a
	s_waitcnt lgkmcnt(0)
	s_barrier
	s_cbranch_scc0 .LBB149_9
; %bb.8:
	v_cmp_lt_u32_e32 vcc, v3, v0
	s_and_b64 s[6:7], vcc, exec
	s_cbranch_execz .LBB149_10
	s_branch .LBB149_11
.LBB149_9:
	s_mov_b64 s[6:7], 0
.LBB149_10:
	v_cmp_gt_u32_e32 vcc, v3, v0
	s_andn2_b64 s[6:7], s[6:7], exec
	s_and_b64 s[8:9], vcc, exec
	s_or_b64 s[6:7], s[6:7], s[8:9]
.LBB149_11:
	s_and_saveexec_b64 s[8:9], s[6:7]
	s_cbranch_execz .LBB149_13
; %bb.12:
	v_mov_b32_e32 v3, 0
	ds_write_b32 v4, v3
.LBB149_13:
	s_or_b64 exec, exec, s[8:9]
	s_waitcnt lgkmcnt(0)
	s_barrier
	s_and_saveexec_b64 s[6:7], s[0:1]
	s_cbranch_execz .LBB149_15
; %bb.14:
	ds_read2_b32 v[18:19], v1 offset1:32
	v_lshlrev_b32_e32 v24, 2, v2
	ds_read_b128 v[2:5], v24 offset:4096
	ds_read_b128 v[6:9], v24 offset:4112
	ds_read2_b32 v[20:21], v1 offset0:64 offset1:96
	ds_read_b128 v[10:13], v24 offset:4128
	ds_read_b128 v[14:17], v24 offset:4144
	ds_read2_b32 v[22:23], v1 offset0:128 offset1:160
	s_load_dwordx2 s[0:1], s[4:5], 0x60
	s_waitcnt lgkmcnt(0)
	v_fma_f32 v18, v18, v2, 0
	v_fmac_f32_e32 v18, v19, v3
	ds_read2_b32 v[2:3], v1 offset0:192 offset1:224
	v_fmac_f32_e32 v18, v20, v4
	v_add_u32_e32 v19, 0x400, v1
	v_fmac_f32_e32 v18, v21, v5
	ds_read2_b32 v[4:5], v19 offset1:32
	v_fmac_f32_e32 v18, v22, v6
	v_fmac_f32_e32 v18, v23, v7
	ds_read2_b32 v[6:7], v19 offset0:64 offset1:96
	s_waitcnt lgkmcnt(2)
	v_fmac_f32_e32 v18, v2, v8
	v_fmac_f32_e32 v18, v3, v9
	ds_read2_b32 v[2:3], v19 offset0:128 offset1:160
	s_waitcnt lgkmcnt(2)
	v_fmac_f32_e32 v18, v4, v10
	v_fmac_f32_e32 v18, v5, v11
	s_waitcnt lgkmcnt(1)
	v_fmac_f32_e32 v18, v6, v12
	v_fmac_f32_e32 v18, v7, v13
	ds_read2_b32 v[6:7], v19 offset0:192 offset1:224
	s_waitcnt lgkmcnt(1)
	v_fmac_f32_e32 v18, v2, v14
	v_add_u32_e32 v19, 0x800, v1
	v_fmac_f32_e32 v18, v3, v15
	ds_read2_b32 v[10:11], v19 offset1:32
	ds_read_b128 v[2:5], v24 offset:4160
	s_waitcnt lgkmcnt(2)
	v_fmac_f32_e32 v18, v6, v16
	v_fmac_f32_e32 v18, v7, v17
	ds_read2_b32 v[12:13], v19 offset0:64 offset1:96
	ds_read_b128 v[6:9], v24 offset:4176
	ds_read2_b32 v[14:15], v19 offset0:128 offset1:160
	s_waitcnt lgkmcnt(3)
	v_fmac_f32_e32 v18, v10, v2
	v_fmac_f32_e32 v18, v11, v3
	ds_read2_b32 v[2:3], v19 offset0:192 offset1:224
	s_waitcnt lgkmcnt(3)
	v_fmac_f32_e32 v18, v12, v4
	v_fmac_f32_e32 v18, v13, v5
	s_waitcnt lgkmcnt(1)
	v_pk_mul_f32 v[4:5], v[14:15], v[6:7]
	v_add_f32_e32 v4, v18, v4
	v_add_u32_e32 v14, 0xc00, v1
	v_add_f32_e32 v12, v4, v5
	s_waitcnt lgkmcnt(0)
	v_pk_mul_f32 v[6:7], v[2:3], v[8:9]
	ds_read2_b32 v[10:11], v14 offset1:32
	ds_read_b128 v[2:5], v24 offset:4192
	v_add_f32_e32 v6, v12, v6
	v_add_f32_e32 v15, v6, v7
	ds_read2_b32 v[12:13], v14 offset0:64 offset1:96
	ds_read_b128 v[6:9], v24 offset:4208
	s_lshl_b64 s[0:1], s[0:1], 2
	s_waitcnt lgkmcnt(2)
	v_pk_mul_f32 v[2:3], v[10:11], v[2:3]
	v_add_f32_e32 v2, v15, v2
	v_add_f32_e32 v10, v2, v3
	ds_read2_b32 v[2:3], v14 offset0:128 offset1:160
	s_waitcnt lgkmcnt(2)
	v_pk_mul_f32 v[4:5], v[12:13], v[4:5]
	v_add_f32_e32 v4, v10, v4
	ds_read2_b32 v[10:11], v14 offset0:192 offset1:224
	s_mul_i32 s4, s10, s23
	s_mul_hi_u32 s5, s10, s22
	s_add_u32 s2, s2, s0
	v_add_f32_e32 v4, v4, v5
	s_waitcnt lgkmcnt(1)
	v_pk_mul_f32 v[2:3], v[2:3], v[6:7]
	s_mul_i32 s11, s11, s22
	s_addc_u32 s3, s3, s1
	s_add_i32 s0, s5, s4
	v_add_f32_e32 v2, v4, v2
	s_add_i32 s1, s0, s11
	s_mul_i32 s0, s10, s22
	v_add_f32_e32 v4, v2, v3
	s_waitcnt lgkmcnt(0)
	v_pk_mul_f32 v[2:3], v[10:11], v[8:9]
	s_lshl_b64 s[0:1], s[0:1], 2
	v_add_f32_e32 v2, v4, v2
	s_add_u32 s2, s2, s0
	v_add_f32_e32 v2, v2, v3
	s_addc_u32 s3, s3, s1
	v_mul_f32_e32 v6, s30, v2
	v_mad_u64_u32 v[2:3], s[0:1], v0, s22, 0
	v_mov_b32_e32 v4, v3
	v_mad_u64_u32 v[4:5], s[0:1], v0, s23, v[4:5]
	v_mov_b32_e32 v3, v4
	v_lshlrev_b64 v[2:3], 2, v[2:3]
	v_mov_b32_e32 v0, s3
	v_add_co_u32_e32 v2, vcc, s2, v2
	v_addc_co_u32_e32 v3, vcc, v0, v3, vcc
	v_add_co_u32_e32 v0, vcc, v2, v1
	v_addc_co_u32_e32 v1, vcc, 0, v3, vcc
	global_store_dword v[0:1], v6, off
.LBB149_15:
	s_endpgm
	.section	.rodata,"a",@progbits
	.p2align	6, 0x0
	.amdhsa_kernel _ZL23rocblas_trmm_lTx_kernelILi32ELb1EffKPKfKPfEv13rocblas_fill_17rocblas_diagonal_iiT2_lPT3_llS9_llPT4_lli
		.amdhsa_group_segment_fixed_size 8192
		.amdhsa_private_segment_fixed_size 0
		.amdhsa_kernarg_size 108
		.amdhsa_user_sgpr_count 6
		.amdhsa_user_sgpr_private_segment_buffer 1
		.amdhsa_user_sgpr_dispatch_ptr 0
		.amdhsa_user_sgpr_queue_ptr 0
		.amdhsa_user_sgpr_kernarg_segment_ptr 1
		.amdhsa_user_sgpr_dispatch_id 0
		.amdhsa_user_sgpr_flat_scratch_init 0
		.amdhsa_user_sgpr_kernarg_preload_length 0
		.amdhsa_user_sgpr_kernarg_preload_offset 0
		.amdhsa_user_sgpr_private_segment_size 0
		.amdhsa_uses_dynamic_stack 0
		.amdhsa_system_sgpr_private_segment_wavefront_offset 0
		.amdhsa_system_sgpr_workgroup_id_x 1
		.amdhsa_system_sgpr_workgroup_id_y 0
		.amdhsa_system_sgpr_workgroup_id_z 1
		.amdhsa_system_sgpr_workgroup_info 0
		.amdhsa_system_vgpr_workitem_id 1
		.amdhsa_next_free_vgpr 25
		.amdhsa_next_free_sgpr 31
		.amdhsa_accum_offset 28
		.amdhsa_reserve_vcc 1
		.amdhsa_reserve_flat_scratch 0
		.amdhsa_float_round_mode_32 0
		.amdhsa_float_round_mode_16_64 0
		.amdhsa_float_denorm_mode_32 3
		.amdhsa_float_denorm_mode_16_64 3
		.amdhsa_dx10_clamp 1
		.amdhsa_ieee_mode 1
		.amdhsa_fp16_overflow 0
		.amdhsa_tg_split 0
		.amdhsa_exception_fp_ieee_invalid_op 0
		.amdhsa_exception_fp_denorm_src 0
		.amdhsa_exception_fp_ieee_div_zero 0
		.amdhsa_exception_fp_ieee_overflow 0
		.amdhsa_exception_fp_ieee_underflow 0
		.amdhsa_exception_fp_ieee_inexact 0
		.amdhsa_exception_int_div_zero 0
	.end_amdhsa_kernel
	.section	.text._ZL23rocblas_trmm_lTx_kernelILi32ELb1EffKPKfKPfEv13rocblas_fill_17rocblas_diagonal_iiT2_lPT3_llS9_llPT4_lli,"axG",@progbits,_ZL23rocblas_trmm_lTx_kernelILi32ELb1EffKPKfKPfEv13rocblas_fill_17rocblas_diagonal_iiT2_lPT3_llS9_llPT4_lli,comdat
.Lfunc_end149:
	.size	_ZL23rocblas_trmm_lTx_kernelILi32ELb1EffKPKfKPfEv13rocblas_fill_17rocblas_diagonal_iiT2_lPT3_llS9_llPT4_lli, .Lfunc_end149-_ZL23rocblas_trmm_lTx_kernelILi32ELb1EffKPKfKPfEv13rocblas_fill_17rocblas_diagonal_iiT2_lPT3_llS9_llPT4_lli
                                        ; -- End function
	.section	.AMDGPU.csdata,"",@progbits
; Kernel info:
; codeLenInByte = 1208
; NumSgprs: 35
; NumVgprs: 25
; NumAgprs: 0
; TotalNumVgprs: 25
; ScratchSize: 0
; MemoryBound: 0
; FloatMode: 240
; IeeeMode: 1
; LDSByteSize: 8192 bytes/workgroup (compile time only)
; SGPRBlocks: 4
; VGPRBlocks: 3
; NumSGPRsForWavesPerEU: 35
; NumVGPRsForWavesPerEU: 25
; AccumOffset: 28
; Occupancy: 8
; WaveLimiterHint : 1
; COMPUTE_PGM_RSRC2:SCRATCH_EN: 0
; COMPUTE_PGM_RSRC2:USER_SGPR: 6
; COMPUTE_PGM_RSRC2:TRAP_HANDLER: 0
; COMPUTE_PGM_RSRC2:TGID_X_EN: 1
; COMPUTE_PGM_RSRC2:TGID_Y_EN: 0
; COMPUTE_PGM_RSRC2:TGID_Z_EN: 1
; COMPUTE_PGM_RSRC2:TIDIG_COMP_CNT: 1
; COMPUTE_PGM_RSRC3_GFX90A:ACCUM_OFFSET: 6
; COMPUTE_PGM_RSRC3_GFX90A:TG_SPLIT: 0
	.section	.text._ZL23rocblas_trmm_rNx_kernelILi32EfPKfKS1_KPfEv13rocblas_fill_17rocblas_diagonal_iiT1_lPT2_llS9_llPT3_lli,"axG",@progbits,_ZL23rocblas_trmm_rNx_kernelILi32EfPKfKS1_KPfEv13rocblas_fill_17rocblas_diagonal_iiT1_lPT2_llS9_llPT3_lli,comdat
	.globl	_ZL23rocblas_trmm_rNx_kernelILi32EfPKfKS1_KPfEv13rocblas_fill_17rocblas_diagonal_iiT1_lPT2_llS9_llPT3_lli ; -- Begin function _ZL23rocblas_trmm_rNx_kernelILi32EfPKfKS1_KPfEv13rocblas_fill_17rocblas_diagonal_iiT1_lPT2_llS9_llPT3_lli
	.p2align	8
	.type	_ZL23rocblas_trmm_rNx_kernelILi32EfPKfKS1_KPfEv13rocblas_fill_17rocblas_diagonal_iiT1_lPT2_llS9_llPT3_lli,@function
_ZL23rocblas_trmm_rNx_kernelILi32EfPKfKS1_KPfEv13rocblas_fill_17rocblas_diagonal_iiT1_lPT2_llS9_llPT3_lli: ; @_ZL23rocblas_trmm_rNx_kernelILi32EfPKfKS1_KPfEv13rocblas_fill_17rocblas_diagonal_iiT1_lPT2_llS9_llPT3_lli
; %bb.0:
	s_load_dwordx16 s[8:23], s[4:5], 0x10
	s_waitcnt lgkmcnt(0)
	s_mul_i32 s0, s7, s11
	s_mul_hi_u32 s1, s7, s10
	s_add_i32 s1, s1, s0
	s_mul_i32 s0, s7, s10
	s_lshl_b64 s[0:1], s[0:1], 2
	s_add_u32 s0, s8, s0
	s_addc_u32 s1, s9, s1
	s_load_dword s30, s[0:1], 0x0
	s_waitcnt lgkmcnt(0)
	v_cmp_eq_f32_e64 s[0:1], s30, 0
	s_and_b64 vcc, exec, s[0:1]
	s_cbranch_vccnz .LBB150_15
; %bb.1:
	s_load_dwordx4 s[8:11], s[4:5], 0x0
	s_load_dwordx4 s[0:3], s[4:5], 0x50
	s_mov_b32 s24, s7
	s_mov_b32 s25, 0
	s_lshl_b64 s[28:29], s[24:25], 3
	s_add_u32 s18, s18, s28
	s_addc_u32 s19, s19, s29
	s_waitcnt lgkmcnt(0)
	s_add_u32 s0, s0, s28
	s_addc_u32 s1, s1, s29
	s_load_dwordx2 s[24:25], s[18:19], 0x0
	v_and_b32_e32 v4, 0x3ff, v0
	s_load_dwordx2 s[18:19], s[0:1], 0x0
	v_bfe_u32 v0, v0, 10, 10
	v_lshlrev_b32_e32 v2, 5, v0
	v_add_lshl_u32 v3, v2, v4, 2
	v_mov_b32_e32 v1, 0
	v_cmp_gt_i32_e32 vcc, s11, v0
	v_cmp_gt_i32_e64 s[0:1], s11, v4
	ds_write2st64_b32 v3, v1, v1 offset1:16
	s_and_b64 s[0:1], vcc, s[0:1]
	v_lshlrev_b32_e32 v1, 2, v4
	s_and_saveexec_b64 s[26:27], s[0:1]
	s_cbranch_execz .LBB150_3
; %bb.2:
	s_add_u32 s0, s12, s28
	s_addc_u32 s1, s13, s29
	s_load_dwordx2 s[0:1], s[0:1], 0x0
	v_mad_u64_u32 v[6:7], s[12:13], v0, s14, 0
	s_lshl_b64 s[12:13], s[16:17], 2
	v_mov_b32_e32 v8, v7
	s_waitcnt lgkmcnt(0)
	s_add_u32 s7, s0, s12
	s_addc_u32 s11, s1, s13
	v_mad_u64_u32 v[8:9], s[0:1], v0, s15, v[8:9]
	v_mov_b32_e32 v7, v8
	v_lshlrev_b64 v[6:7], 2, v[6:7]
	v_mov_b32_e32 v5, s11
	v_add_co_u32_e64 v6, s[0:1], s7, v6
	v_addc_co_u32_e64 v5, s[0:1], v5, v7, s[0:1]
	v_add_co_u32_e64 v6, s[0:1], v6, v1
	v_addc_co_u32_e64 v7, s[0:1], 0, v5, s[0:1]
	global_load_dword v5, v[6:7], off
	s_waitcnt vmcnt(0)
	ds_write_b32 v3, v5
.LBB150_3:
	s_or_b64 exec, exec, s[26:27]
	s_add_i32 s0, s10, -1
	s_ashr_i32 s1, s0, 31
	s_lshr_b32 s1, s1, 27
	s_add_i32 s0, s0, s1
	s_ashr_i32 s1, s0, 5
	s_andn2_b32 s0, s0, 31
	s_sub_i32 s0, s10, s0
	s_cmp_ge_i32 s6, s1
	s_cselect_b32 s0, s0, 32
	s_lshl_b32 s6, s6, 5
	v_cmp_gt_i32_e64 s[0:1], s0, v4
	s_ashr_i32 s7, s6, 31
	s_and_b64 s[0:1], vcc, s[0:1]
	s_and_saveexec_b64 s[10:11], s[0:1]
	s_cbranch_execz .LBB150_5
; %bb.4:
	s_lshl_b64 s[12:13], s[22:23], 2
	s_waitcnt lgkmcnt(0)
	s_add_u32 s14, s24, s12
	s_addc_u32 s15, s25, s13
	s_lshl_b64 s[12:13], s[6:7], 2
	s_add_u32 s14, s14, s12
	s_addc_u32 s15, s15, s13
	v_mad_u64_u32 v[6:7], s[12:13], v0, s20, 0
	v_mov_b32_e32 v8, v7
	v_mad_u64_u32 v[8:9], s[12:13], v0, s21, v[8:9]
	v_mov_b32_e32 v7, v8
	v_lshlrev_b64 v[6:7], 2, v[6:7]
	v_mov_b32_e32 v5, s15
	v_add_co_u32_e32 v6, vcc, s14, v6
	v_addc_co_u32_e32 v5, vcc, v5, v7, vcc
	v_add_co_u32_e32 v6, vcc, v6, v1
	v_addc_co_u32_e32 v7, vcc, 0, v5, vcc
	global_load_dword v5, v[6:7], off
	v_add_u32_e32 v6, 0x1000, v3
	s_waitcnt vmcnt(0)
	ds_write_b32 v6, v5
.LBB150_5:
	s_or_b64 exec, exec, s[10:11]
	s_cmpk_eq_i32 s9, 0x84
	s_cselect_b64 s[10:11], -1, 0
	v_cmp_eq_u32_e32 vcc, v0, v4
	s_and_b64 s[12:13], vcc, s[10:11]
	s_and_saveexec_b64 s[10:11], s[12:13]
	s_cbranch_execz .LBB150_7
; %bb.6:
	v_mov_b32_e32 v5, 1.0
	ds_write_b32 v3, v5
.LBB150_7:
	s_or_b64 exec, exec, s[10:11]
	s_cmpk_lg_i32 s8, 0x79
	s_cbranch_scc0 .LBB150_9
; %bb.8:
	v_cmp_lt_u32_e32 vcc, v4, v0
	s_and_b64 s[8:9], vcc, exec
	s_cbranch_execz .LBB150_10
	s_branch .LBB150_11
.LBB150_9:
	s_mov_b64 s[8:9], 0
.LBB150_10:
	v_cmp_gt_u32_e32 vcc, v4, v0
	s_andn2_b64 s[8:9], s[8:9], exec
	s_and_b64 s[10:11], vcc, exec
	s_or_b64 s[8:9], s[8:9], s[10:11]
.LBB150_11:
	s_and_saveexec_b64 s[10:11], s[8:9]
	s_cbranch_execz .LBB150_13
; %bb.12:
	v_mov_b32_e32 v4, 0
	ds_write_b32 v3, v4
.LBB150_13:
	s_or_b64 exec, exec, s[10:11]
	s_waitcnt lgkmcnt(0)
	s_barrier
	s_and_saveexec_b64 s[8:9], s[0:1]
	s_cbranch_execz .LBB150_15
; %bb.14:
	v_add_u32_e32 v24, 0x1000, v1
	ds_read2_b32 v[18:19], v24 offset1:32
	v_lshlrev_b32_e32 v25, 2, v2
	ds_read_b128 v[2:5], v25
	ds_read_b128 v[6:9], v25 offset:16
	ds_read2_b32 v[20:21], v24 offset0:64 offset1:96
	ds_read_b128 v[10:13], v25 offset:32
	ds_read_b128 v[14:17], v25 offset:48
	ds_read2_b32 v[22:23], v24 offset0:128 offset1:160
	s_load_dwordx2 s[0:1], s[4:5], 0x60
	s_waitcnt lgkmcnt(0)
	v_fma_f32 v18, v18, v2, 0
	v_fmac_f32_e32 v18, v19, v3
	ds_read2_b32 v[2:3], v24 offset0:192 offset1:224
	v_fmac_f32_e32 v18, v20, v4
	v_add_u32_e32 v19, 0x1400, v1
	v_fmac_f32_e32 v18, v21, v5
	ds_read2_b32 v[4:5], v19 offset1:32
	v_fmac_f32_e32 v18, v22, v6
	v_fmac_f32_e32 v18, v23, v7
	ds_read2_b32 v[6:7], v19 offset0:64 offset1:96
	s_waitcnt lgkmcnt(2)
	v_fmac_f32_e32 v18, v2, v8
	v_fmac_f32_e32 v18, v3, v9
	ds_read2_b32 v[2:3], v19 offset0:128 offset1:160
	s_waitcnt lgkmcnt(2)
	v_fmac_f32_e32 v18, v4, v10
	v_fmac_f32_e32 v18, v5, v11
	s_waitcnt lgkmcnt(1)
	v_fmac_f32_e32 v18, v6, v12
	v_fmac_f32_e32 v18, v7, v13
	ds_read2_b32 v[6:7], v19 offset0:192 offset1:224
	s_waitcnt lgkmcnt(1)
	v_fmac_f32_e32 v18, v2, v14
	v_add_u32_e32 v19, 0x1800, v1
	v_fmac_f32_e32 v18, v3, v15
	ds_read2_b32 v[10:11], v19 offset1:32
	ds_read_b128 v[2:5], v25 offset:64
	s_waitcnt lgkmcnt(2)
	v_fmac_f32_e32 v18, v6, v16
	v_fmac_f32_e32 v18, v7, v17
	ds_read2_b32 v[12:13], v19 offset0:64 offset1:96
	ds_read_b128 v[6:9], v25 offset:80
	ds_read2_b32 v[14:15], v19 offset0:128 offset1:160
	s_waitcnt lgkmcnt(3)
	v_fmac_f32_e32 v18, v10, v2
	v_fmac_f32_e32 v18, v11, v3
	ds_read2_b32 v[2:3], v19 offset0:192 offset1:224
	s_waitcnt lgkmcnt(3)
	v_fmac_f32_e32 v18, v12, v4
	v_fmac_f32_e32 v18, v13, v5
	s_waitcnt lgkmcnt(1)
	v_pk_mul_f32 v[4:5], v[14:15], v[6:7]
	v_add_f32_e32 v4, v18, v4
	v_add_u32_e32 v14, 0x1c00, v1
	v_add_f32_e32 v12, v4, v5
	s_waitcnt lgkmcnt(0)
	v_pk_mul_f32 v[6:7], v[2:3], v[8:9]
	ds_read2_b32 v[10:11], v14 offset1:32
	ds_read_b128 v[2:5], v25 offset:96
	v_add_f32_e32 v6, v12, v6
	v_add_f32_e32 v15, v6, v7
	ds_read2_b32 v[12:13], v14 offset0:64 offset1:96
	ds_read_b128 v[6:9], v25 offset:112
	s_lshl_b64 s[0:1], s[0:1], 2
	s_waitcnt lgkmcnt(2)
	v_pk_mul_f32 v[2:3], v[10:11], v[2:3]
	v_add_f32_e32 v2, v15, v2
	v_add_f32_e32 v10, v2, v3
	ds_read2_b32 v[2:3], v14 offset0:128 offset1:160
	s_waitcnt lgkmcnt(2)
	v_pk_mul_f32 v[4:5], v[12:13], v[4:5]
	v_add_f32_e32 v4, v10, v4
	ds_read2_b32 v[10:11], v14 offset0:192 offset1:224
	v_add_f32_e32 v4, v4, v5
	s_waitcnt lgkmcnt(1)
	v_pk_mul_f32 v[2:3], v[2:3], v[6:7]
	v_add_f32_e32 v2, v4, v2
	s_add_u32 s4, s18, s0
	v_add_f32_e32 v4, v2, v3
	s_waitcnt lgkmcnt(0)
	v_pk_mul_f32 v[2:3], v[10:11], v[8:9]
	s_addc_u32 s5, s19, s1
	s_lshl_b64 s[0:1], s[6:7], 2
	v_add_f32_e32 v2, v4, v2
	s_add_u32 s4, s4, s0
	v_add_f32_e32 v2, v2, v3
	s_addc_u32 s5, s5, s1
	v_mul_f32_e32 v6, s30, v2
	v_mad_u64_u32 v[2:3], s[0:1], v0, s2, 0
	v_mov_b32_e32 v4, v3
	v_mad_u64_u32 v[4:5], s[0:1], v0, s3, v[4:5]
	v_mov_b32_e32 v3, v4
	v_lshlrev_b64 v[2:3], 2, v[2:3]
	v_mov_b32_e32 v0, s5
	v_add_co_u32_e32 v2, vcc, s4, v2
	v_addc_co_u32_e32 v3, vcc, v0, v3, vcc
	v_add_co_u32_e32 v0, vcc, v2, v1
	v_addc_co_u32_e32 v1, vcc, 0, v3, vcc
	global_store_dword v[0:1], v6, off
.LBB150_15:
	s_endpgm
	.section	.rodata,"a",@progbits
	.p2align	6, 0x0
	.amdhsa_kernel _ZL23rocblas_trmm_rNx_kernelILi32EfPKfKS1_KPfEv13rocblas_fill_17rocblas_diagonal_iiT1_lPT2_llS9_llPT3_lli
		.amdhsa_group_segment_fixed_size 8192
		.amdhsa_private_segment_fixed_size 0
		.amdhsa_kernarg_size 108
		.amdhsa_user_sgpr_count 6
		.amdhsa_user_sgpr_private_segment_buffer 1
		.amdhsa_user_sgpr_dispatch_ptr 0
		.amdhsa_user_sgpr_queue_ptr 0
		.amdhsa_user_sgpr_kernarg_segment_ptr 1
		.amdhsa_user_sgpr_dispatch_id 0
		.amdhsa_user_sgpr_flat_scratch_init 0
		.amdhsa_user_sgpr_kernarg_preload_length 0
		.amdhsa_user_sgpr_kernarg_preload_offset 0
		.amdhsa_user_sgpr_private_segment_size 0
		.amdhsa_uses_dynamic_stack 0
		.amdhsa_system_sgpr_private_segment_wavefront_offset 0
		.amdhsa_system_sgpr_workgroup_id_x 1
		.amdhsa_system_sgpr_workgroup_id_y 0
		.amdhsa_system_sgpr_workgroup_id_z 1
		.amdhsa_system_sgpr_workgroup_info 0
		.amdhsa_system_vgpr_workitem_id 1
		.amdhsa_next_free_vgpr 26
		.amdhsa_next_free_sgpr 31
		.amdhsa_accum_offset 28
		.amdhsa_reserve_vcc 1
		.amdhsa_reserve_flat_scratch 0
		.amdhsa_float_round_mode_32 0
		.amdhsa_float_round_mode_16_64 0
		.amdhsa_float_denorm_mode_32 3
		.amdhsa_float_denorm_mode_16_64 3
		.amdhsa_dx10_clamp 1
		.amdhsa_ieee_mode 1
		.amdhsa_fp16_overflow 0
		.amdhsa_tg_split 0
		.amdhsa_exception_fp_ieee_invalid_op 0
		.amdhsa_exception_fp_denorm_src 0
		.amdhsa_exception_fp_ieee_div_zero 0
		.amdhsa_exception_fp_ieee_overflow 0
		.amdhsa_exception_fp_ieee_underflow 0
		.amdhsa_exception_fp_ieee_inexact 0
		.amdhsa_exception_int_div_zero 0
	.end_amdhsa_kernel
	.section	.text._ZL23rocblas_trmm_rNx_kernelILi32EfPKfKS1_KPfEv13rocblas_fill_17rocblas_diagonal_iiT1_lPT2_llS9_llPT3_lli,"axG",@progbits,_ZL23rocblas_trmm_rNx_kernelILi32EfPKfKS1_KPfEv13rocblas_fill_17rocblas_diagonal_iiT1_lPT2_llS9_llPT3_lli,comdat
.Lfunc_end150:
	.size	_ZL23rocblas_trmm_rNx_kernelILi32EfPKfKS1_KPfEv13rocblas_fill_17rocblas_diagonal_iiT1_lPT2_llS9_llPT3_lli, .Lfunc_end150-_ZL23rocblas_trmm_rNx_kernelILi32EfPKfKS1_KPfEv13rocblas_fill_17rocblas_diagonal_iiT1_lPT2_llS9_llPT3_lli
                                        ; -- End function
	.section	.AMDGPU.csdata,"",@progbits
; Kernel info:
; codeLenInByte = 1188
; NumSgprs: 35
; NumVgprs: 26
; NumAgprs: 0
; TotalNumVgprs: 26
; ScratchSize: 0
; MemoryBound: 0
; FloatMode: 240
; IeeeMode: 1
; LDSByteSize: 8192 bytes/workgroup (compile time only)
; SGPRBlocks: 4
; VGPRBlocks: 3
; NumSGPRsForWavesPerEU: 35
; NumVGPRsForWavesPerEU: 26
; AccumOffset: 28
; Occupancy: 8
; WaveLimiterHint : 1
; COMPUTE_PGM_RSRC2:SCRATCH_EN: 0
; COMPUTE_PGM_RSRC2:USER_SGPR: 6
; COMPUTE_PGM_RSRC2:TRAP_HANDLER: 0
; COMPUTE_PGM_RSRC2:TGID_X_EN: 1
; COMPUTE_PGM_RSRC2:TGID_Y_EN: 0
; COMPUTE_PGM_RSRC2:TGID_Z_EN: 1
; COMPUTE_PGM_RSRC2:TIDIG_COMP_CNT: 1
; COMPUTE_PGM_RSRC3_GFX90A:ACCUM_OFFSET: 6
; COMPUTE_PGM_RSRC3_GFX90A:TG_SPLIT: 0
	.section	.text._ZL23rocblas_trmm_rNx_kernelILi32EffKPKfKPfEv13rocblas_fill_17rocblas_diagonal_iiT1_lPT2_llS9_llPT3_lli,"axG",@progbits,_ZL23rocblas_trmm_rNx_kernelILi32EffKPKfKPfEv13rocblas_fill_17rocblas_diagonal_iiT1_lPT2_llS9_llPT3_lli,comdat
	.globl	_ZL23rocblas_trmm_rNx_kernelILi32EffKPKfKPfEv13rocblas_fill_17rocblas_diagonal_iiT1_lPT2_llS9_llPT3_lli ; -- Begin function _ZL23rocblas_trmm_rNx_kernelILi32EffKPKfKPfEv13rocblas_fill_17rocblas_diagonal_iiT1_lPT2_llS9_llPT3_lli
	.p2align	8
	.type	_ZL23rocblas_trmm_rNx_kernelILi32EffKPKfKPfEv13rocblas_fill_17rocblas_diagonal_iiT1_lPT2_llS9_llPT3_lli,@function
_ZL23rocblas_trmm_rNx_kernelILi32EffKPKfKPfEv13rocblas_fill_17rocblas_diagonal_iiT1_lPT2_llS9_llPT3_lli: ; @_ZL23rocblas_trmm_rNx_kernelILi32EffKPKfKPfEv13rocblas_fill_17rocblas_diagonal_iiT1_lPT2_llS9_llPT3_lli
; %bb.0:
	s_load_dword s30, s[4:5], 0x10
	s_mov_b32 s1, 0
	s_waitcnt lgkmcnt(0)
	v_cmp_eq_f32_e64 s[2:3], s30, 0
	s_and_b64 vcc, exec, s[2:3]
	s_cbranch_vccnz .LBB151_15
; %bb.1:
	s_load_dwordx16 s[8:23], s[4:5], 0x20
	s_load_dwordx4 s[24:27], s[4:5], 0x0
	s_mov_b32 s0, s7
	s_lshl_b64 s[28:29], s[0:1], 3
	v_and_b32_e32 v4, 0x3ff, v0
	s_waitcnt lgkmcnt(0)
	s_add_u32 s0, s14, s28
	s_addc_u32 s1, s15, s29
	s_load_dwordx2 s[14:15], s[0:1], 0x0
	s_add_u32 s0, s20, s28
	s_addc_u32 s1, s21, s29
	s_load_dwordx2 s[2:3], s[0:1], 0x0
	v_bfe_u32 v0, v0, 10, 10
	v_lshlrev_b32_e32 v2, 5, v0
	v_add_lshl_u32 v3, v2, v4, 2
	v_mov_b32_e32 v1, 0
	v_cmp_gt_i32_e32 vcc, s27, v0
	v_cmp_gt_i32_e64 s[0:1], s27, v4
	ds_write2st64_b32 v3, v1, v1 offset1:16
	s_and_b64 s[0:1], vcc, s[0:1]
	v_lshlrev_b32_e32 v1, 2, v4
	s_and_saveexec_b64 s[20:21], s[0:1]
	s_cbranch_execz .LBB151_3
; %bb.2:
	s_add_u32 s0, s8, s28
	s_addc_u32 s1, s9, s29
	s_load_dwordx2 s[0:1], s[0:1], 0x0
	v_mad_u64_u32 v[6:7], s[8:9], v0, s10, 0
	s_lshl_b64 s[8:9], s[12:13], 2
	v_mov_b32_e32 v8, v7
	s_waitcnt lgkmcnt(0)
	s_add_u32 s7, s0, s8
	s_addc_u32 s8, s1, s9
	v_mad_u64_u32 v[8:9], s[0:1], v0, s11, v[8:9]
	v_mov_b32_e32 v7, v8
	v_lshlrev_b64 v[6:7], 2, v[6:7]
	v_mov_b32_e32 v5, s8
	v_add_co_u32_e64 v6, s[0:1], s7, v6
	v_addc_co_u32_e64 v5, s[0:1], v5, v7, s[0:1]
	v_add_co_u32_e64 v6, s[0:1], v6, v1
	v_addc_co_u32_e64 v7, s[0:1], 0, v5, s[0:1]
	global_load_dword v5, v[6:7], off
	s_waitcnt vmcnt(0)
	ds_write_b32 v3, v5
.LBB151_3:
	s_or_b64 exec, exec, s[20:21]
	s_add_i32 s0, s26, -1
	s_ashr_i32 s1, s0, 31
	s_lshr_b32 s1, s1, 27
	s_add_i32 s0, s0, s1
	s_ashr_i32 s1, s0, 5
	s_andn2_b32 s0, s0, 31
	s_sub_i32 s0, s26, s0
	s_cmp_ge_i32 s6, s1
	s_cselect_b32 s0, s0, 32
	s_lshl_b32 s6, s6, 5
	v_cmp_gt_i32_e64 s[0:1], s0, v4
	s_ashr_i32 s7, s6, 31
	s_and_b64 s[0:1], vcc, s[0:1]
	s_and_saveexec_b64 s[8:9], s[0:1]
	s_cbranch_execz .LBB151_5
; %bb.4:
	s_lshl_b64 s[10:11], s[18:19], 2
	s_waitcnt lgkmcnt(0)
	s_add_u32 s12, s14, s10
	s_addc_u32 s13, s15, s11
	s_lshl_b64 s[10:11], s[6:7], 2
	s_add_u32 s12, s12, s10
	s_addc_u32 s13, s13, s11
	v_mad_u64_u32 v[6:7], s[10:11], v0, s16, 0
	v_mov_b32_e32 v8, v7
	v_mad_u64_u32 v[8:9], s[10:11], v0, s17, v[8:9]
	v_mov_b32_e32 v7, v8
	v_lshlrev_b64 v[6:7], 2, v[6:7]
	v_mov_b32_e32 v5, s13
	v_add_co_u32_e32 v6, vcc, s12, v6
	v_addc_co_u32_e32 v5, vcc, v5, v7, vcc
	v_add_co_u32_e32 v6, vcc, v6, v1
	v_addc_co_u32_e32 v7, vcc, 0, v5, vcc
	global_load_dword v5, v[6:7], off
	v_add_u32_e32 v6, 0x1000, v3
	s_waitcnt vmcnt(0)
	ds_write_b32 v6, v5
.LBB151_5:
	s_or_b64 exec, exec, s[8:9]
	s_cmpk_eq_i32 s25, 0x84
	s_cselect_b64 s[8:9], -1, 0
	v_cmp_eq_u32_e32 vcc, v0, v4
	s_and_b64 s[10:11], vcc, s[8:9]
	s_and_saveexec_b64 s[8:9], s[10:11]
	s_cbranch_execz .LBB151_7
; %bb.6:
	v_mov_b32_e32 v5, 1.0
	ds_write_b32 v3, v5
.LBB151_7:
	s_or_b64 exec, exec, s[8:9]
	s_cmpk_lg_i32 s24, 0x79
	s_cbranch_scc0 .LBB151_9
; %bb.8:
	v_cmp_lt_u32_e32 vcc, v4, v0
	s_and_b64 s[8:9], vcc, exec
	s_cbranch_execz .LBB151_10
	s_branch .LBB151_11
.LBB151_9:
	s_mov_b64 s[8:9], 0
.LBB151_10:
	v_cmp_gt_u32_e32 vcc, v4, v0
	s_andn2_b64 s[8:9], s[8:9], exec
	s_and_b64 s[10:11], vcc, exec
	s_or_b64 s[8:9], s[8:9], s[10:11]
.LBB151_11:
	s_and_saveexec_b64 s[10:11], s[8:9]
	s_cbranch_execz .LBB151_13
; %bb.12:
	v_mov_b32_e32 v4, 0
	ds_write_b32 v3, v4
.LBB151_13:
	s_or_b64 exec, exec, s[10:11]
	s_waitcnt lgkmcnt(0)
	s_barrier
	s_and_saveexec_b64 s[8:9], s[0:1]
	s_cbranch_execz .LBB151_15
; %bb.14:
	v_add_u32_e32 v24, 0x1000, v1
	ds_read2_b32 v[18:19], v24 offset1:32
	v_lshlrev_b32_e32 v25, 2, v2
	ds_read_b128 v[2:5], v25
	ds_read_b128 v[6:9], v25 offset:16
	ds_read2_b32 v[20:21], v24 offset0:64 offset1:96
	ds_read_b128 v[10:13], v25 offset:32
	ds_read_b128 v[14:17], v25 offset:48
	ds_read2_b32 v[22:23], v24 offset0:128 offset1:160
	s_load_dwordx2 s[0:1], s[4:5], 0x60
	s_waitcnt lgkmcnt(0)
	v_fma_f32 v18, v18, v2, 0
	v_fmac_f32_e32 v18, v19, v3
	ds_read2_b32 v[2:3], v24 offset0:192 offset1:224
	v_fmac_f32_e32 v18, v20, v4
	v_add_u32_e32 v19, 0x1400, v1
	v_fmac_f32_e32 v18, v21, v5
	ds_read2_b32 v[4:5], v19 offset1:32
	v_fmac_f32_e32 v18, v22, v6
	v_fmac_f32_e32 v18, v23, v7
	ds_read2_b32 v[6:7], v19 offset0:64 offset1:96
	s_waitcnt lgkmcnt(2)
	v_fmac_f32_e32 v18, v2, v8
	v_fmac_f32_e32 v18, v3, v9
	ds_read2_b32 v[2:3], v19 offset0:128 offset1:160
	s_waitcnt lgkmcnt(2)
	v_fmac_f32_e32 v18, v4, v10
	v_fmac_f32_e32 v18, v5, v11
	s_waitcnt lgkmcnt(1)
	v_fmac_f32_e32 v18, v6, v12
	v_fmac_f32_e32 v18, v7, v13
	ds_read2_b32 v[6:7], v19 offset0:192 offset1:224
	s_waitcnt lgkmcnt(1)
	v_fmac_f32_e32 v18, v2, v14
	v_add_u32_e32 v19, 0x1800, v1
	v_fmac_f32_e32 v18, v3, v15
	ds_read2_b32 v[10:11], v19 offset1:32
	ds_read_b128 v[2:5], v25 offset:64
	s_waitcnt lgkmcnt(2)
	v_fmac_f32_e32 v18, v6, v16
	v_fmac_f32_e32 v18, v7, v17
	ds_read2_b32 v[12:13], v19 offset0:64 offset1:96
	ds_read_b128 v[6:9], v25 offset:80
	ds_read2_b32 v[14:15], v19 offset0:128 offset1:160
	s_waitcnt lgkmcnt(3)
	v_fmac_f32_e32 v18, v10, v2
	v_fmac_f32_e32 v18, v11, v3
	ds_read2_b32 v[2:3], v19 offset0:192 offset1:224
	s_waitcnt lgkmcnt(3)
	v_fmac_f32_e32 v18, v12, v4
	v_fmac_f32_e32 v18, v13, v5
	s_waitcnt lgkmcnt(1)
	v_pk_mul_f32 v[4:5], v[14:15], v[6:7]
	v_add_f32_e32 v4, v18, v4
	v_add_u32_e32 v14, 0x1c00, v1
	v_add_f32_e32 v12, v4, v5
	s_waitcnt lgkmcnt(0)
	v_pk_mul_f32 v[6:7], v[2:3], v[8:9]
	ds_read2_b32 v[10:11], v14 offset1:32
	ds_read_b128 v[2:5], v25 offset:96
	v_add_f32_e32 v6, v12, v6
	v_add_f32_e32 v15, v6, v7
	ds_read2_b32 v[12:13], v14 offset0:64 offset1:96
	ds_read_b128 v[6:9], v25 offset:112
	s_lshl_b64 s[0:1], s[0:1], 2
	s_waitcnt lgkmcnt(2)
	v_pk_mul_f32 v[2:3], v[10:11], v[2:3]
	v_add_f32_e32 v2, v15, v2
	v_add_f32_e32 v10, v2, v3
	ds_read2_b32 v[2:3], v14 offset0:128 offset1:160
	s_waitcnt lgkmcnt(2)
	v_pk_mul_f32 v[4:5], v[12:13], v[4:5]
	v_add_f32_e32 v4, v10, v4
	ds_read2_b32 v[10:11], v14 offset0:192 offset1:224
	v_add_f32_e32 v4, v4, v5
	s_waitcnt lgkmcnt(1)
	v_pk_mul_f32 v[2:3], v[2:3], v[6:7]
	v_add_f32_e32 v2, v4, v2
	s_add_u32 s2, s2, s0
	v_add_f32_e32 v4, v2, v3
	s_waitcnt lgkmcnt(0)
	v_pk_mul_f32 v[2:3], v[10:11], v[8:9]
	s_addc_u32 s3, s3, s1
	s_lshl_b64 s[0:1], s[6:7], 2
	v_add_f32_e32 v2, v4, v2
	s_add_u32 s2, s2, s0
	v_add_f32_e32 v2, v2, v3
	s_addc_u32 s3, s3, s1
	v_mul_f32_e32 v6, s30, v2
	v_mad_u64_u32 v[2:3], s[0:1], v0, s22, 0
	v_mov_b32_e32 v4, v3
	v_mad_u64_u32 v[4:5], s[0:1], v0, s23, v[4:5]
	v_mov_b32_e32 v3, v4
	v_lshlrev_b64 v[2:3], 2, v[2:3]
	v_mov_b32_e32 v0, s3
	v_add_co_u32_e32 v2, vcc, s2, v2
	v_addc_co_u32_e32 v3, vcc, v0, v3, vcc
	v_add_co_u32_e32 v0, vcc, v2, v1
	v_addc_co_u32_e32 v1, vcc, 0, v3, vcc
	global_store_dword v[0:1], v6, off
.LBB151_15:
	s_endpgm
	.section	.rodata,"a",@progbits
	.p2align	6, 0x0
	.amdhsa_kernel _ZL23rocblas_trmm_rNx_kernelILi32EffKPKfKPfEv13rocblas_fill_17rocblas_diagonal_iiT1_lPT2_llS9_llPT3_lli
		.amdhsa_group_segment_fixed_size 8192
		.amdhsa_private_segment_fixed_size 0
		.amdhsa_kernarg_size 108
		.amdhsa_user_sgpr_count 6
		.amdhsa_user_sgpr_private_segment_buffer 1
		.amdhsa_user_sgpr_dispatch_ptr 0
		.amdhsa_user_sgpr_queue_ptr 0
		.amdhsa_user_sgpr_kernarg_segment_ptr 1
		.amdhsa_user_sgpr_dispatch_id 0
		.amdhsa_user_sgpr_flat_scratch_init 0
		.amdhsa_user_sgpr_kernarg_preload_length 0
		.amdhsa_user_sgpr_kernarg_preload_offset 0
		.amdhsa_user_sgpr_private_segment_size 0
		.amdhsa_uses_dynamic_stack 0
		.amdhsa_system_sgpr_private_segment_wavefront_offset 0
		.amdhsa_system_sgpr_workgroup_id_x 1
		.amdhsa_system_sgpr_workgroup_id_y 0
		.amdhsa_system_sgpr_workgroup_id_z 1
		.amdhsa_system_sgpr_workgroup_info 0
		.amdhsa_system_vgpr_workitem_id 1
		.amdhsa_next_free_vgpr 26
		.amdhsa_next_free_sgpr 31
		.amdhsa_accum_offset 28
		.amdhsa_reserve_vcc 1
		.amdhsa_reserve_flat_scratch 0
		.amdhsa_float_round_mode_32 0
		.amdhsa_float_round_mode_16_64 0
		.amdhsa_float_denorm_mode_32 3
		.amdhsa_float_denorm_mode_16_64 3
		.amdhsa_dx10_clamp 1
		.amdhsa_ieee_mode 1
		.amdhsa_fp16_overflow 0
		.amdhsa_tg_split 0
		.amdhsa_exception_fp_ieee_invalid_op 0
		.amdhsa_exception_fp_denorm_src 0
		.amdhsa_exception_fp_ieee_div_zero 0
		.amdhsa_exception_fp_ieee_overflow 0
		.amdhsa_exception_fp_ieee_underflow 0
		.amdhsa_exception_fp_ieee_inexact 0
		.amdhsa_exception_int_div_zero 0
	.end_amdhsa_kernel
	.section	.text._ZL23rocblas_trmm_rNx_kernelILi32EffKPKfKPfEv13rocblas_fill_17rocblas_diagonal_iiT1_lPT2_llS9_llPT3_lli,"axG",@progbits,_ZL23rocblas_trmm_rNx_kernelILi32EffKPKfKPfEv13rocblas_fill_17rocblas_diagonal_iiT1_lPT2_llS9_llPT3_lli,comdat
.Lfunc_end151:
	.size	_ZL23rocblas_trmm_rNx_kernelILi32EffKPKfKPfEv13rocblas_fill_17rocblas_diagonal_iiT1_lPT2_llS9_llPT3_lli, .Lfunc_end151-_ZL23rocblas_trmm_rNx_kernelILi32EffKPKfKPfEv13rocblas_fill_17rocblas_diagonal_iiT1_lPT2_llS9_llPT3_lli
                                        ; -- End function
	.section	.AMDGPU.csdata,"",@progbits
; Kernel info:
; codeLenInByte = 1148
; NumSgprs: 35
; NumVgprs: 26
; NumAgprs: 0
; TotalNumVgprs: 26
; ScratchSize: 0
; MemoryBound: 0
; FloatMode: 240
; IeeeMode: 1
; LDSByteSize: 8192 bytes/workgroup (compile time only)
; SGPRBlocks: 4
; VGPRBlocks: 3
; NumSGPRsForWavesPerEU: 35
; NumVGPRsForWavesPerEU: 26
; AccumOffset: 28
; Occupancy: 8
; WaveLimiterHint : 1
; COMPUTE_PGM_RSRC2:SCRATCH_EN: 0
; COMPUTE_PGM_RSRC2:USER_SGPR: 6
; COMPUTE_PGM_RSRC2:TRAP_HANDLER: 0
; COMPUTE_PGM_RSRC2:TGID_X_EN: 1
; COMPUTE_PGM_RSRC2:TGID_Y_EN: 0
; COMPUTE_PGM_RSRC2:TGID_Z_EN: 1
; COMPUTE_PGM_RSRC2:TIDIG_COMP_CNT: 1
; COMPUTE_PGM_RSRC3_GFX90A:ACCUM_OFFSET: 6
; COMPUTE_PGM_RSRC3_GFX90A:TG_SPLIT: 0
	.section	.text._ZL23rocblas_trmm_rTx_kernelILi32ELb0EfPKfKS1_KPfEv13rocblas_fill_17rocblas_diagonal_iiT2_lPT3_llS9_llPT4_lli,"axG",@progbits,_ZL23rocblas_trmm_rTx_kernelILi32ELb0EfPKfKS1_KPfEv13rocblas_fill_17rocblas_diagonal_iiT2_lPT3_llS9_llPT4_lli,comdat
	.globl	_ZL23rocblas_trmm_rTx_kernelILi32ELb0EfPKfKS1_KPfEv13rocblas_fill_17rocblas_diagonal_iiT2_lPT3_llS9_llPT4_lli ; -- Begin function _ZL23rocblas_trmm_rTx_kernelILi32ELb0EfPKfKS1_KPfEv13rocblas_fill_17rocblas_diagonal_iiT2_lPT3_llS9_llPT4_lli
	.p2align	8
	.type	_ZL23rocblas_trmm_rTx_kernelILi32ELb0EfPKfKS1_KPfEv13rocblas_fill_17rocblas_diagonal_iiT2_lPT3_llS9_llPT4_lli,@function
_ZL23rocblas_trmm_rTx_kernelILi32ELb0EfPKfKS1_KPfEv13rocblas_fill_17rocblas_diagonal_iiT2_lPT3_llS9_llPT4_lli: ; @_ZL23rocblas_trmm_rTx_kernelILi32ELb0EfPKfKS1_KPfEv13rocblas_fill_17rocblas_diagonal_iiT2_lPT3_llS9_llPT4_lli
; %bb.0:
	s_load_dwordx16 s[8:23], s[4:5], 0x10
	s_waitcnt lgkmcnt(0)
	s_mul_i32 s0, s7, s11
	s_mul_hi_u32 s1, s7, s10
	s_add_i32 s1, s1, s0
	s_mul_i32 s0, s7, s10
	s_lshl_b64 s[0:1], s[0:1], 2
	s_add_u32 s0, s8, s0
	s_addc_u32 s1, s9, s1
	s_load_dword s30, s[0:1], 0x0
	s_waitcnt lgkmcnt(0)
	v_cmp_eq_f32_e64 s[0:1], s30, 0
	s_and_b64 vcc, exec, s[0:1]
	s_cbranch_vccnz .LBB152_15
; %bb.1:
	s_load_dwordx4 s[8:11], s[4:5], 0x0
	s_load_dwordx4 s[0:3], s[4:5], 0x50
	s_mov_b32 s24, s7
	s_mov_b32 s25, 0
	s_lshl_b64 s[28:29], s[24:25], 3
	s_add_u32 s18, s18, s28
	s_addc_u32 s19, s19, s29
	s_waitcnt lgkmcnt(0)
	s_add_u32 s0, s0, s28
	s_addc_u32 s1, s1, s29
	s_load_dwordx2 s[24:25], s[18:19], 0x0
	v_and_b32_e32 v3, 0x3ff, v0
	s_load_dwordx2 s[18:19], s[0:1], 0x0
	v_bfe_u32 v0, v0, 10, 10
	v_lshlrev_b32_e32 v1, 5, v0
	v_add_lshl_u32 v2, v1, v3, 2
	v_mov_b32_e32 v1, 0
	v_cmp_gt_i32_e32 vcc, s11, v0
	v_cmp_gt_i32_e64 s[0:1], s11, v3
	ds_write2st64_b32 v2, v1, v1 offset1:16
	s_and_b64 s[0:1], vcc, s[0:1]
	v_lshlrev_b32_e32 v1, 2, v3
	s_and_saveexec_b64 s[26:27], s[0:1]
	s_cbranch_execz .LBB152_3
; %bb.2:
	s_add_u32 s0, s12, s28
	s_addc_u32 s1, s13, s29
	s_load_dwordx2 s[0:1], s[0:1], 0x0
	v_mad_u64_u32 v[4:5], s[12:13], v0, s14, 0
	s_lshl_b64 s[12:13], s[16:17], 2
	v_mov_b32_e32 v6, v5
	s_waitcnt lgkmcnt(0)
	s_add_u32 s7, s0, s12
	s_addc_u32 s11, s1, s13
	v_mad_u64_u32 v[6:7], s[0:1], v0, s15, v[6:7]
	v_mov_b32_e32 v5, v6
	v_lshlrev_b64 v[4:5], 2, v[4:5]
	v_mov_b32_e32 v6, s11
	v_add_co_u32_e64 v4, s[0:1], s7, v4
	v_addc_co_u32_e64 v5, s[0:1], v6, v5, s[0:1]
	v_add_co_u32_e64 v4, s[0:1], v4, v1
	v_addc_co_u32_e64 v5, s[0:1], 0, v5, s[0:1]
	global_load_dword v4, v[4:5], off
	s_waitcnt vmcnt(0)
	ds_write_b32 v2, v4
.LBB152_3:
	s_or_b64 exec, exec, s[26:27]
	s_add_i32 s0, s10, -1
	s_ashr_i32 s1, s0, 31
	s_lshr_b32 s1, s1, 27
	s_add_i32 s0, s0, s1
	s_ashr_i32 s1, s0, 5
	s_andn2_b32 s0, s0, 31
	s_sub_i32 s0, s10, s0
	s_cmp_ge_i32 s6, s1
	s_cselect_b32 s0, s0, 32
	s_lshl_b32 s6, s6, 5
	v_cmp_gt_i32_e64 s[0:1], s0, v3
	s_ashr_i32 s7, s6, 31
	s_and_b64 s[0:1], vcc, s[0:1]
	s_and_saveexec_b64 s[10:11], s[0:1]
	s_cbranch_execz .LBB152_5
; %bb.4:
	s_lshl_b64 s[12:13], s[22:23], 2
	s_waitcnt lgkmcnt(0)
	s_add_u32 s14, s24, s12
	s_addc_u32 s15, s25, s13
	s_lshl_b64 s[12:13], s[6:7], 2
	s_add_u32 s14, s14, s12
	s_addc_u32 s15, s15, s13
	v_mad_u64_u32 v[4:5], s[12:13], v0, s20, 0
	v_mov_b32_e32 v6, v5
	v_mad_u64_u32 v[6:7], s[12:13], v0, s21, v[6:7]
	v_mov_b32_e32 v5, v6
	v_lshlrev_b64 v[4:5], 2, v[4:5]
	v_mov_b32_e32 v6, s15
	v_add_co_u32_e32 v4, vcc, s14, v4
	v_addc_co_u32_e32 v5, vcc, v6, v5, vcc
	v_add_co_u32_e32 v4, vcc, v4, v1
	v_addc_co_u32_e32 v5, vcc, 0, v5, vcc
	global_load_dword v4, v[4:5], off
	v_add_u32_e32 v5, 0x1000, v2
	s_waitcnt vmcnt(0)
	ds_write_b32 v5, v4
.LBB152_5:
	s_or_b64 exec, exec, s[10:11]
	s_cmpk_eq_i32 s9, 0x84
	s_cselect_b64 s[10:11], -1, 0
	v_cmp_eq_u32_e32 vcc, v0, v3
	s_and_b64 s[12:13], vcc, s[10:11]
	s_and_saveexec_b64 s[10:11], s[12:13]
	s_cbranch_execz .LBB152_7
; %bb.6:
	v_mov_b32_e32 v4, 1.0
	ds_write_b32 v2, v4
.LBB152_7:
	s_or_b64 exec, exec, s[10:11]
	s_cmpk_lg_i32 s8, 0x79
	s_cbranch_scc0 .LBB152_9
; %bb.8:
	v_cmp_lt_u32_e32 vcc, v3, v0
	s_and_b64 s[8:9], vcc, exec
	s_cbranch_execz .LBB152_10
	s_branch .LBB152_11
.LBB152_9:
	s_mov_b64 s[8:9], 0
.LBB152_10:
	v_cmp_gt_u32_e32 vcc, v3, v0
	s_andn2_b64 s[8:9], s[8:9], exec
	s_and_b64 s[10:11], vcc, exec
	s_or_b64 s[8:9], s[8:9], s[10:11]
.LBB152_11:
	s_and_saveexec_b64 s[10:11], s[8:9]
	s_cbranch_execz .LBB152_13
; %bb.12:
	v_mov_b32_e32 v3, 0
	ds_write_b32 v2, v3
.LBB152_13:
	s_or_b64 exec, exec, s[10:11]
	s_waitcnt lgkmcnt(0)
	s_barrier
	s_and_saveexec_b64 s[8:9], s[0:1]
	s_cbranch_execz .LBB152_15
; %bb.14:
	v_add_u32_e32 v10, 0x1000, v1
	v_lshlrev_b32_e32 v14, 2, v0
	ds_read2_b32 v[2:3], v10 offset1:32
	ds_read2_b32 v[4:5], v14 offset1:32
	v_add_u32_e32 v16, 0x1400, v1
	v_add_u32_e32 v17, 0x400, v14
	s_load_dwordx2 s[0:1], s[4:5], 0x60
	s_waitcnt lgkmcnt(0)
	v_fma_f32 v15, v2, v4, 0
	v_fmac_f32_e32 v15, v3, v5
	ds_read2_b32 v[2:3], v10 offset0:64 offset1:96
	ds_read2_b32 v[4:5], v14 offset0:64 offset1:96
	;; [unrolled: 1-line block ×6, first 2 shown]
	s_waitcnt lgkmcnt(4)
	v_fmac_f32_e32 v15, v2, v4
	v_fmac_f32_e32 v15, v3, v5
	ds_read2_b32 v[2:3], v16 offset1:32
	s_waitcnt lgkmcnt(3)
	v_fmac_f32_e32 v15, v6, v8
	v_fmac_f32_e32 v15, v7, v9
	s_waitcnt lgkmcnt(1)
	v_fmac_f32_e32 v15, v10, v12
	v_fmac_f32_e32 v15, v11, v13
	ds_read2_b32 v[4:5], v17 offset1:32
	ds_read2_b32 v[6:7], v16 offset0:64 offset1:96
	ds_read2_b32 v[8:9], v17 offset0:64 offset1:96
	;; [unrolled: 1-line block ×4, first 2 shown]
	s_waitcnt lgkmcnt(4)
	v_fmac_f32_e32 v15, v2, v4
	v_fmac_f32_e32 v15, v3, v5
	ds_read2_b32 v[2:3], v16 offset0:192 offset1:224
	ds_read2_b32 v[4:5], v17 offset0:192 offset1:224
	s_waitcnt lgkmcnt(4)
	v_fmac_f32_e32 v15, v6, v8
	v_add_u32_e32 v16, 0x1800, v1
	v_fmac_f32_e32 v15, v7, v9
	ds_read2_b32 v[6:7], v16 offset1:32
	s_waitcnt lgkmcnt(3)
	v_fmac_f32_e32 v15, v10, v12
	v_add_u32_e32 v17, 0x800, v14
	v_fmac_f32_e32 v15, v11, v13
	ds_read2_b32 v[8:9], v17 offset1:32
	ds_read2_b32 v[10:11], v16 offset0:64 offset1:96
	ds_read2_b32 v[12:13], v17 offset0:64 offset1:96
	s_waitcnt lgkmcnt(4)
	v_fmac_f32_e32 v15, v2, v4
	v_fmac_f32_e32 v15, v3, v5
	s_waitcnt lgkmcnt(2)
	v_fmac_f32_e32 v15, v6, v8
	v_fmac_f32_e32 v15, v7, v9
	ds_read2_b32 v[2:3], v16 offset0:128 offset1:160
	ds_read2_b32 v[4:5], v17 offset0:128 offset1:160
	;; [unrolled: 1-line block ×4, first 2 shown]
	s_waitcnt lgkmcnt(4)
	v_fmac_f32_e32 v15, v10, v12
	v_add_u32_e32 v16, 0x1c00, v1
	v_add_u32_e32 v14, 0xc00, v14
	v_fmac_f32_e32 v15, v11, v13
	ds_read2_b32 v[10:11], v16 offset1:32
	ds_read2_b32 v[12:13], v14 offset1:32
	s_waitcnt lgkmcnt(4)
	v_fmac_f32_e32 v15, v2, v4
	v_fmac_f32_e32 v15, v3, v5
	s_waitcnt lgkmcnt(2)
	v_fmac_f32_e32 v15, v6, v8
	s_lshl_b64 s[0:1], s[0:1], 2
	v_fmac_f32_e32 v15, v7, v9
	s_add_u32 s4, s18, s0
	s_waitcnt lgkmcnt(0)
	v_fmac_f32_e32 v15, v10, v12
	s_addc_u32 s5, s19, s1
	s_lshl_b64 s[0:1], s[6:7], 2
	v_fmac_f32_e32 v15, v11, v13
	ds_read2_b32 v[2:3], v16 offset0:64 offset1:96
	ds_read2_b32 v[4:5], v14 offset0:64 offset1:96
	;; [unrolled: 1-line block ×6, first 2 shown]
	s_add_u32 s4, s4, s0
	s_waitcnt lgkmcnt(4)
	v_fmac_f32_e32 v15, v2, v4
	s_addc_u32 s5, s5, s1
	v_fmac_f32_e32 v15, v3, v5
	v_mad_u64_u32 v[2:3], s[0:1], v0, s2, 0
	v_mov_b32_e32 v4, v3
	v_mad_u64_u32 v[4:5], s[0:1], v0, s3, v[4:5]
	v_mov_b32_e32 v3, v4
	s_waitcnt lgkmcnt(2)
	v_fmac_f32_e32 v15, v6, v8
	v_lshlrev_b64 v[2:3], 2, v[2:3]
	v_fmac_f32_e32 v15, v7, v9
	v_mov_b32_e32 v0, s5
	v_add_co_u32_e32 v2, vcc, s4, v2
	s_waitcnt lgkmcnt(0)
	v_fmac_f32_e32 v15, v10, v12
	v_addc_co_u32_e32 v3, vcc, v0, v3, vcc
	v_fmac_f32_e32 v15, v11, v13
	v_add_co_u32_e32 v0, vcc, v2, v1
	v_mul_f32_e32 v6, s30, v15
	v_addc_co_u32_e32 v1, vcc, 0, v3, vcc
	global_store_dword v[0:1], v6, off
.LBB152_15:
	s_endpgm
	.section	.rodata,"a",@progbits
	.p2align	6, 0x0
	.amdhsa_kernel _ZL23rocblas_trmm_rTx_kernelILi32ELb0EfPKfKS1_KPfEv13rocblas_fill_17rocblas_diagonal_iiT2_lPT3_llS9_llPT4_lli
		.amdhsa_group_segment_fixed_size 8192
		.amdhsa_private_segment_fixed_size 0
		.amdhsa_kernarg_size 108
		.amdhsa_user_sgpr_count 6
		.amdhsa_user_sgpr_private_segment_buffer 1
		.amdhsa_user_sgpr_dispatch_ptr 0
		.amdhsa_user_sgpr_queue_ptr 0
		.amdhsa_user_sgpr_kernarg_segment_ptr 1
		.amdhsa_user_sgpr_dispatch_id 0
		.amdhsa_user_sgpr_flat_scratch_init 0
		.amdhsa_user_sgpr_kernarg_preload_length 0
		.amdhsa_user_sgpr_kernarg_preload_offset 0
		.amdhsa_user_sgpr_private_segment_size 0
		.amdhsa_uses_dynamic_stack 0
		.amdhsa_system_sgpr_private_segment_wavefront_offset 0
		.amdhsa_system_sgpr_workgroup_id_x 1
		.amdhsa_system_sgpr_workgroup_id_y 0
		.amdhsa_system_sgpr_workgroup_id_z 1
		.amdhsa_system_sgpr_workgroup_info 0
		.amdhsa_system_vgpr_workitem_id 1
		.amdhsa_next_free_vgpr 18
		.amdhsa_next_free_sgpr 31
		.amdhsa_accum_offset 20
		.amdhsa_reserve_vcc 1
		.amdhsa_reserve_flat_scratch 0
		.amdhsa_float_round_mode_32 0
		.amdhsa_float_round_mode_16_64 0
		.amdhsa_float_denorm_mode_32 3
		.amdhsa_float_denorm_mode_16_64 3
		.amdhsa_dx10_clamp 1
		.amdhsa_ieee_mode 1
		.amdhsa_fp16_overflow 0
		.amdhsa_tg_split 0
		.amdhsa_exception_fp_ieee_invalid_op 0
		.amdhsa_exception_fp_denorm_src 0
		.amdhsa_exception_fp_ieee_div_zero 0
		.amdhsa_exception_fp_ieee_overflow 0
		.amdhsa_exception_fp_ieee_underflow 0
		.amdhsa_exception_fp_ieee_inexact 0
		.amdhsa_exception_int_div_zero 0
	.end_amdhsa_kernel
	.section	.text._ZL23rocblas_trmm_rTx_kernelILi32ELb0EfPKfKS1_KPfEv13rocblas_fill_17rocblas_diagonal_iiT2_lPT3_llS9_llPT4_lli,"axG",@progbits,_ZL23rocblas_trmm_rTx_kernelILi32ELb0EfPKfKS1_KPfEv13rocblas_fill_17rocblas_diagonal_iiT2_lPT3_llS9_llPT4_lli,comdat
.Lfunc_end152:
	.size	_ZL23rocblas_trmm_rTx_kernelILi32ELb0EfPKfKS1_KPfEv13rocblas_fill_17rocblas_diagonal_iiT2_lPT3_llS9_llPT4_lli, .Lfunc_end152-_ZL23rocblas_trmm_rTx_kernelILi32ELb0EfPKfKS1_KPfEv13rocblas_fill_17rocblas_diagonal_iiT2_lPT3_llS9_llPT4_lli
                                        ; -- End function
	.section	.AMDGPU.csdata,"",@progbits
; Kernel info:
; codeLenInByte = 1236
; NumSgprs: 35
; NumVgprs: 18
; NumAgprs: 0
; TotalNumVgprs: 18
; ScratchSize: 0
; MemoryBound: 0
; FloatMode: 240
; IeeeMode: 1
; LDSByteSize: 8192 bytes/workgroup (compile time only)
; SGPRBlocks: 4
; VGPRBlocks: 2
; NumSGPRsForWavesPerEU: 35
; NumVGPRsForWavesPerEU: 18
; AccumOffset: 20
; Occupancy: 8
; WaveLimiterHint : 1
; COMPUTE_PGM_RSRC2:SCRATCH_EN: 0
; COMPUTE_PGM_RSRC2:USER_SGPR: 6
; COMPUTE_PGM_RSRC2:TRAP_HANDLER: 0
; COMPUTE_PGM_RSRC2:TGID_X_EN: 1
; COMPUTE_PGM_RSRC2:TGID_Y_EN: 0
; COMPUTE_PGM_RSRC2:TGID_Z_EN: 1
; COMPUTE_PGM_RSRC2:TIDIG_COMP_CNT: 1
; COMPUTE_PGM_RSRC3_GFX90A:ACCUM_OFFSET: 4
; COMPUTE_PGM_RSRC3_GFX90A:TG_SPLIT: 0
	.section	.text._ZL23rocblas_trmm_rTx_kernelILi32ELb0EffKPKfKPfEv13rocblas_fill_17rocblas_diagonal_iiT2_lPT3_llS9_llPT4_lli,"axG",@progbits,_ZL23rocblas_trmm_rTx_kernelILi32ELb0EffKPKfKPfEv13rocblas_fill_17rocblas_diagonal_iiT2_lPT3_llS9_llPT4_lli,comdat
	.globl	_ZL23rocblas_trmm_rTx_kernelILi32ELb0EffKPKfKPfEv13rocblas_fill_17rocblas_diagonal_iiT2_lPT3_llS9_llPT4_lli ; -- Begin function _ZL23rocblas_trmm_rTx_kernelILi32ELb0EffKPKfKPfEv13rocblas_fill_17rocblas_diagonal_iiT2_lPT3_llS9_llPT4_lli
	.p2align	8
	.type	_ZL23rocblas_trmm_rTx_kernelILi32ELb0EffKPKfKPfEv13rocblas_fill_17rocblas_diagonal_iiT2_lPT3_llS9_llPT4_lli,@function
_ZL23rocblas_trmm_rTx_kernelILi32ELb0EffKPKfKPfEv13rocblas_fill_17rocblas_diagonal_iiT2_lPT3_llS9_llPT4_lli: ; @_ZL23rocblas_trmm_rTx_kernelILi32ELb0EffKPKfKPfEv13rocblas_fill_17rocblas_diagonal_iiT2_lPT3_llS9_llPT4_lli
; %bb.0:
	s_load_dword s30, s[4:5], 0x10
	s_mov_b32 s1, 0
	s_waitcnt lgkmcnt(0)
	v_cmp_eq_f32_e64 s[2:3], s30, 0
	s_and_b64 vcc, exec, s[2:3]
	s_cbranch_vccnz .LBB153_15
; %bb.1:
	s_load_dwordx16 s[8:23], s[4:5], 0x20
	s_load_dwordx4 s[24:27], s[4:5], 0x0
	s_mov_b32 s0, s7
	s_lshl_b64 s[28:29], s[0:1], 3
	v_and_b32_e32 v3, 0x3ff, v0
	s_waitcnt lgkmcnt(0)
	s_add_u32 s0, s14, s28
	s_addc_u32 s1, s15, s29
	s_load_dwordx2 s[14:15], s[0:1], 0x0
	s_add_u32 s0, s20, s28
	s_addc_u32 s1, s21, s29
	s_load_dwordx2 s[2:3], s[0:1], 0x0
	v_bfe_u32 v0, v0, 10, 10
	v_lshlrev_b32_e32 v1, 5, v0
	v_add_lshl_u32 v2, v1, v3, 2
	v_mov_b32_e32 v1, 0
	v_cmp_gt_i32_e32 vcc, s27, v0
	v_cmp_gt_i32_e64 s[0:1], s27, v3
	ds_write2st64_b32 v2, v1, v1 offset1:16
	s_and_b64 s[0:1], vcc, s[0:1]
	v_lshlrev_b32_e32 v1, 2, v3
	s_and_saveexec_b64 s[20:21], s[0:1]
	s_cbranch_execz .LBB153_3
; %bb.2:
	s_add_u32 s0, s8, s28
	s_addc_u32 s1, s9, s29
	s_load_dwordx2 s[0:1], s[0:1], 0x0
	v_mad_u64_u32 v[4:5], s[8:9], v0, s10, 0
	s_lshl_b64 s[8:9], s[12:13], 2
	v_mov_b32_e32 v6, v5
	s_waitcnt lgkmcnt(0)
	s_add_u32 s7, s0, s8
	s_addc_u32 s8, s1, s9
	v_mad_u64_u32 v[6:7], s[0:1], v0, s11, v[6:7]
	v_mov_b32_e32 v5, v6
	v_lshlrev_b64 v[4:5], 2, v[4:5]
	v_mov_b32_e32 v6, s8
	v_add_co_u32_e64 v4, s[0:1], s7, v4
	v_addc_co_u32_e64 v5, s[0:1], v6, v5, s[0:1]
	v_add_co_u32_e64 v4, s[0:1], v4, v1
	v_addc_co_u32_e64 v5, s[0:1], 0, v5, s[0:1]
	global_load_dword v4, v[4:5], off
	s_waitcnt vmcnt(0)
	ds_write_b32 v2, v4
.LBB153_3:
	s_or_b64 exec, exec, s[20:21]
	s_add_i32 s0, s26, -1
	s_ashr_i32 s1, s0, 31
	s_lshr_b32 s1, s1, 27
	s_add_i32 s0, s0, s1
	s_ashr_i32 s1, s0, 5
	s_andn2_b32 s0, s0, 31
	s_sub_i32 s0, s26, s0
	s_cmp_ge_i32 s6, s1
	s_cselect_b32 s0, s0, 32
	s_lshl_b32 s6, s6, 5
	v_cmp_gt_i32_e64 s[0:1], s0, v3
	s_ashr_i32 s7, s6, 31
	s_and_b64 s[0:1], vcc, s[0:1]
	s_and_saveexec_b64 s[8:9], s[0:1]
	s_cbranch_execz .LBB153_5
; %bb.4:
	s_lshl_b64 s[10:11], s[18:19], 2
	s_waitcnt lgkmcnt(0)
	s_add_u32 s12, s14, s10
	s_addc_u32 s13, s15, s11
	s_lshl_b64 s[10:11], s[6:7], 2
	s_add_u32 s12, s12, s10
	s_addc_u32 s13, s13, s11
	v_mad_u64_u32 v[4:5], s[10:11], v0, s16, 0
	v_mov_b32_e32 v6, v5
	v_mad_u64_u32 v[6:7], s[10:11], v0, s17, v[6:7]
	v_mov_b32_e32 v5, v6
	v_lshlrev_b64 v[4:5], 2, v[4:5]
	v_mov_b32_e32 v6, s13
	v_add_co_u32_e32 v4, vcc, s12, v4
	v_addc_co_u32_e32 v5, vcc, v6, v5, vcc
	v_add_co_u32_e32 v4, vcc, v4, v1
	v_addc_co_u32_e32 v5, vcc, 0, v5, vcc
	global_load_dword v4, v[4:5], off
	v_add_u32_e32 v5, 0x1000, v2
	s_waitcnt vmcnt(0)
	ds_write_b32 v5, v4
.LBB153_5:
	s_or_b64 exec, exec, s[8:9]
	s_cmpk_eq_i32 s25, 0x84
	s_cselect_b64 s[8:9], -1, 0
	v_cmp_eq_u32_e32 vcc, v0, v3
	s_and_b64 s[10:11], vcc, s[8:9]
	s_and_saveexec_b64 s[8:9], s[10:11]
	s_cbranch_execz .LBB153_7
; %bb.6:
	v_mov_b32_e32 v4, 1.0
	ds_write_b32 v2, v4
.LBB153_7:
	s_or_b64 exec, exec, s[8:9]
	s_cmpk_lg_i32 s24, 0x79
	s_cbranch_scc0 .LBB153_9
; %bb.8:
	v_cmp_lt_u32_e32 vcc, v3, v0
	s_and_b64 s[8:9], vcc, exec
	s_cbranch_execz .LBB153_10
	s_branch .LBB153_11
.LBB153_9:
	s_mov_b64 s[8:9], 0
.LBB153_10:
	v_cmp_gt_u32_e32 vcc, v3, v0
	s_andn2_b64 s[8:9], s[8:9], exec
	s_and_b64 s[10:11], vcc, exec
	s_or_b64 s[8:9], s[8:9], s[10:11]
.LBB153_11:
	s_and_saveexec_b64 s[10:11], s[8:9]
	s_cbranch_execz .LBB153_13
; %bb.12:
	v_mov_b32_e32 v3, 0
	ds_write_b32 v2, v3
.LBB153_13:
	s_or_b64 exec, exec, s[10:11]
	s_waitcnt lgkmcnt(0)
	s_barrier
	s_and_saveexec_b64 s[8:9], s[0:1]
	s_cbranch_execz .LBB153_15
; %bb.14:
	v_add_u32_e32 v10, 0x1000, v1
	v_lshlrev_b32_e32 v14, 2, v0
	ds_read2_b32 v[2:3], v10 offset1:32
	ds_read2_b32 v[4:5], v14 offset1:32
	v_add_u32_e32 v16, 0x1400, v1
	v_add_u32_e32 v17, 0x400, v14
	s_load_dwordx2 s[0:1], s[4:5], 0x60
	s_waitcnt lgkmcnt(0)
	v_fma_f32 v15, v2, v4, 0
	v_fmac_f32_e32 v15, v3, v5
	ds_read2_b32 v[2:3], v10 offset0:64 offset1:96
	ds_read2_b32 v[4:5], v14 offset0:64 offset1:96
	;; [unrolled: 1-line block ×6, first 2 shown]
	s_waitcnt lgkmcnt(4)
	v_fmac_f32_e32 v15, v2, v4
	v_fmac_f32_e32 v15, v3, v5
	ds_read2_b32 v[2:3], v16 offset1:32
	s_waitcnt lgkmcnt(3)
	v_fmac_f32_e32 v15, v6, v8
	v_fmac_f32_e32 v15, v7, v9
	s_waitcnt lgkmcnt(1)
	v_fmac_f32_e32 v15, v10, v12
	v_fmac_f32_e32 v15, v11, v13
	ds_read2_b32 v[4:5], v17 offset1:32
	ds_read2_b32 v[6:7], v16 offset0:64 offset1:96
	ds_read2_b32 v[8:9], v17 offset0:64 offset1:96
	;; [unrolled: 1-line block ×4, first 2 shown]
	s_waitcnt lgkmcnt(4)
	v_fmac_f32_e32 v15, v2, v4
	v_fmac_f32_e32 v15, v3, v5
	ds_read2_b32 v[2:3], v16 offset0:192 offset1:224
	ds_read2_b32 v[4:5], v17 offset0:192 offset1:224
	s_waitcnt lgkmcnt(4)
	v_fmac_f32_e32 v15, v6, v8
	v_add_u32_e32 v16, 0x1800, v1
	v_fmac_f32_e32 v15, v7, v9
	ds_read2_b32 v[6:7], v16 offset1:32
	s_waitcnt lgkmcnt(3)
	v_fmac_f32_e32 v15, v10, v12
	v_add_u32_e32 v17, 0x800, v14
	v_fmac_f32_e32 v15, v11, v13
	ds_read2_b32 v[8:9], v17 offset1:32
	ds_read2_b32 v[10:11], v16 offset0:64 offset1:96
	ds_read2_b32 v[12:13], v17 offset0:64 offset1:96
	s_waitcnt lgkmcnt(4)
	v_fmac_f32_e32 v15, v2, v4
	v_fmac_f32_e32 v15, v3, v5
	s_waitcnt lgkmcnt(2)
	v_fmac_f32_e32 v15, v6, v8
	v_fmac_f32_e32 v15, v7, v9
	ds_read2_b32 v[2:3], v16 offset0:128 offset1:160
	ds_read2_b32 v[4:5], v17 offset0:128 offset1:160
	;; [unrolled: 1-line block ×4, first 2 shown]
	s_waitcnt lgkmcnt(4)
	v_fmac_f32_e32 v15, v10, v12
	v_add_u32_e32 v16, 0x1c00, v1
	v_add_u32_e32 v14, 0xc00, v14
	v_fmac_f32_e32 v15, v11, v13
	ds_read2_b32 v[10:11], v16 offset1:32
	ds_read2_b32 v[12:13], v14 offset1:32
	s_waitcnt lgkmcnt(4)
	v_fmac_f32_e32 v15, v2, v4
	v_fmac_f32_e32 v15, v3, v5
	s_waitcnt lgkmcnt(2)
	v_fmac_f32_e32 v15, v6, v8
	s_lshl_b64 s[0:1], s[0:1], 2
	v_fmac_f32_e32 v15, v7, v9
	s_add_u32 s2, s2, s0
	s_waitcnt lgkmcnt(0)
	v_fmac_f32_e32 v15, v10, v12
	s_addc_u32 s3, s3, s1
	s_lshl_b64 s[0:1], s[6:7], 2
	v_fmac_f32_e32 v15, v11, v13
	ds_read2_b32 v[2:3], v16 offset0:64 offset1:96
	ds_read2_b32 v[4:5], v14 offset0:64 offset1:96
	;; [unrolled: 1-line block ×6, first 2 shown]
	s_add_u32 s2, s2, s0
	s_waitcnt lgkmcnt(4)
	v_fmac_f32_e32 v15, v2, v4
	s_addc_u32 s3, s3, s1
	v_fmac_f32_e32 v15, v3, v5
	v_mad_u64_u32 v[2:3], s[0:1], v0, s22, 0
	v_mov_b32_e32 v4, v3
	v_mad_u64_u32 v[4:5], s[0:1], v0, s23, v[4:5]
	v_mov_b32_e32 v3, v4
	s_waitcnt lgkmcnt(2)
	v_fmac_f32_e32 v15, v6, v8
	v_lshlrev_b64 v[2:3], 2, v[2:3]
	v_fmac_f32_e32 v15, v7, v9
	v_mov_b32_e32 v0, s3
	v_add_co_u32_e32 v2, vcc, s2, v2
	s_waitcnt lgkmcnt(0)
	v_fmac_f32_e32 v15, v10, v12
	v_addc_co_u32_e32 v3, vcc, v0, v3, vcc
	v_fmac_f32_e32 v15, v11, v13
	v_add_co_u32_e32 v0, vcc, v2, v1
	v_mul_f32_e32 v6, s30, v15
	v_addc_co_u32_e32 v1, vcc, 0, v3, vcc
	global_store_dword v[0:1], v6, off
.LBB153_15:
	s_endpgm
	.section	.rodata,"a",@progbits
	.p2align	6, 0x0
	.amdhsa_kernel _ZL23rocblas_trmm_rTx_kernelILi32ELb0EffKPKfKPfEv13rocblas_fill_17rocblas_diagonal_iiT2_lPT3_llS9_llPT4_lli
		.amdhsa_group_segment_fixed_size 8192
		.amdhsa_private_segment_fixed_size 0
		.amdhsa_kernarg_size 108
		.amdhsa_user_sgpr_count 6
		.amdhsa_user_sgpr_private_segment_buffer 1
		.amdhsa_user_sgpr_dispatch_ptr 0
		.amdhsa_user_sgpr_queue_ptr 0
		.amdhsa_user_sgpr_kernarg_segment_ptr 1
		.amdhsa_user_sgpr_dispatch_id 0
		.amdhsa_user_sgpr_flat_scratch_init 0
		.amdhsa_user_sgpr_kernarg_preload_length 0
		.amdhsa_user_sgpr_kernarg_preload_offset 0
		.amdhsa_user_sgpr_private_segment_size 0
		.amdhsa_uses_dynamic_stack 0
		.amdhsa_system_sgpr_private_segment_wavefront_offset 0
		.amdhsa_system_sgpr_workgroup_id_x 1
		.amdhsa_system_sgpr_workgroup_id_y 0
		.amdhsa_system_sgpr_workgroup_id_z 1
		.amdhsa_system_sgpr_workgroup_info 0
		.amdhsa_system_vgpr_workitem_id 1
		.amdhsa_next_free_vgpr 18
		.amdhsa_next_free_sgpr 31
		.amdhsa_accum_offset 20
		.amdhsa_reserve_vcc 1
		.amdhsa_reserve_flat_scratch 0
		.amdhsa_float_round_mode_32 0
		.amdhsa_float_round_mode_16_64 0
		.amdhsa_float_denorm_mode_32 3
		.amdhsa_float_denorm_mode_16_64 3
		.amdhsa_dx10_clamp 1
		.amdhsa_ieee_mode 1
		.amdhsa_fp16_overflow 0
		.amdhsa_tg_split 0
		.amdhsa_exception_fp_ieee_invalid_op 0
		.amdhsa_exception_fp_denorm_src 0
		.amdhsa_exception_fp_ieee_div_zero 0
		.amdhsa_exception_fp_ieee_overflow 0
		.amdhsa_exception_fp_ieee_underflow 0
		.amdhsa_exception_fp_ieee_inexact 0
		.amdhsa_exception_int_div_zero 0
	.end_amdhsa_kernel
	.section	.text._ZL23rocblas_trmm_rTx_kernelILi32ELb0EffKPKfKPfEv13rocblas_fill_17rocblas_diagonal_iiT2_lPT3_llS9_llPT4_lli,"axG",@progbits,_ZL23rocblas_trmm_rTx_kernelILi32ELb0EffKPKfKPfEv13rocblas_fill_17rocblas_diagonal_iiT2_lPT3_llS9_llPT4_lli,comdat
.Lfunc_end153:
	.size	_ZL23rocblas_trmm_rTx_kernelILi32ELb0EffKPKfKPfEv13rocblas_fill_17rocblas_diagonal_iiT2_lPT3_llS9_llPT4_lli, .Lfunc_end153-_ZL23rocblas_trmm_rTx_kernelILi32ELb0EffKPKfKPfEv13rocblas_fill_17rocblas_diagonal_iiT2_lPT3_llS9_llPT4_lli
                                        ; -- End function
	.section	.AMDGPU.csdata,"",@progbits
; Kernel info:
; codeLenInByte = 1196
; NumSgprs: 35
; NumVgprs: 18
; NumAgprs: 0
; TotalNumVgprs: 18
; ScratchSize: 0
; MemoryBound: 0
; FloatMode: 240
; IeeeMode: 1
; LDSByteSize: 8192 bytes/workgroup (compile time only)
; SGPRBlocks: 4
; VGPRBlocks: 2
; NumSGPRsForWavesPerEU: 35
; NumVGPRsForWavesPerEU: 18
; AccumOffset: 20
; Occupancy: 8
; WaveLimiterHint : 1
; COMPUTE_PGM_RSRC2:SCRATCH_EN: 0
; COMPUTE_PGM_RSRC2:USER_SGPR: 6
; COMPUTE_PGM_RSRC2:TRAP_HANDLER: 0
; COMPUTE_PGM_RSRC2:TGID_X_EN: 1
; COMPUTE_PGM_RSRC2:TGID_Y_EN: 0
; COMPUTE_PGM_RSRC2:TGID_Z_EN: 1
; COMPUTE_PGM_RSRC2:TIDIG_COMP_CNT: 1
; COMPUTE_PGM_RSRC3_GFX90A:ACCUM_OFFSET: 4
; COMPUTE_PGM_RSRC3_GFX90A:TG_SPLIT: 0
	.section	.text._ZL23rocblas_trmm_rTx_kernelILi32ELb1EfPKfKS1_KPfEv13rocblas_fill_17rocblas_diagonal_iiT2_lPT3_llS9_llPT4_lli,"axG",@progbits,_ZL23rocblas_trmm_rTx_kernelILi32ELb1EfPKfKS1_KPfEv13rocblas_fill_17rocblas_diagonal_iiT2_lPT3_llS9_llPT4_lli,comdat
	.globl	_ZL23rocblas_trmm_rTx_kernelILi32ELb1EfPKfKS1_KPfEv13rocblas_fill_17rocblas_diagonal_iiT2_lPT3_llS9_llPT4_lli ; -- Begin function _ZL23rocblas_trmm_rTx_kernelILi32ELb1EfPKfKS1_KPfEv13rocblas_fill_17rocblas_diagonal_iiT2_lPT3_llS9_llPT4_lli
	.p2align	8
	.type	_ZL23rocblas_trmm_rTx_kernelILi32ELb1EfPKfKS1_KPfEv13rocblas_fill_17rocblas_diagonal_iiT2_lPT3_llS9_llPT4_lli,@function
_ZL23rocblas_trmm_rTx_kernelILi32ELb1EfPKfKS1_KPfEv13rocblas_fill_17rocblas_diagonal_iiT2_lPT3_llS9_llPT4_lli: ; @_ZL23rocblas_trmm_rTx_kernelILi32ELb1EfPKfKS1_KPfEv13rocblas_fill_17rocblas_diagonal_iiT2_lPT3_llS9_llPT4_lli
; %bb.0:
	s_load_dwordx16 s[8:23], s[4:5], 0x10
	s_waitcnt lgkmcnt(0)
	s_mul_i32 s0, s7, s11
	s_mul_hi_u32 s1, s7, s10
	s_add_i32 s1, s1, s0
	s_mul_i32 s0, s7, s10
	s_lshl_b64 s[0:1], s[0:1], 2
	s_add_u32 s0, s8, s0
	s_addc_u32 s1, s9, s1
	s_load_dword s30, s[0:1], 0x0
	s_waitcnt lgkmcnt(0)
	v_cmp_eq_f32_e64 s[0:1], s30, 0
	s_and_b64 vcc, exec, s[0:1]
	s_cbranch_vccnz .LBB154_15
; %bb.1:
	s_load_dwordx4 s[8:11], s[4:5], 0x0
	s_load_dwordx4 s[0:3], s[4:5], 0x50
	s_mov_b32 s24, s7
	s_mov_b32 s25, 0
	s_lshl_b64 s[28:29], s[24:25], 3
	s_add_u32 s18, s18, s28
	s_addc_u32 s19, s19, s29
	s_waitcnt lgkmcnt(0)
	s_add_u32 s0, s0, s28
	s_addc_u32 s1, s1, s29
	s_load_dwordx2 s[24:25], s[18:19], 0x0
	v_and_b32_e32 v3, 0x3ff, v0
	s_load_dwordx2 s[18:19], s[0:1], 0x0
	v_bfe_u32 v0, v0, 10, 10
	v_lshlrev_b32_e32 v1, 5, v0
	v_add_lshl_u32 v2, v1, v3, 2
	v_mov_b32_e32 v1, 0
	v_cmp_gt_i32_e32 vcc, s11, v0
	v_cmp_gt_i32_e64 s[0:1], s11, v3
	ds_write2st64_b32 v2, v1, v1 offset1:16
	s_and_b64 s[0:1], vcc, s[0:1]
	v_lshlrev_b32_e32 v1, 2, v3
	s_and_saveexec_b64 s[26:27], s[0:1]
	s_cbranch_execz .LBB154_3
; %bb.2:
	s_add_u32 s0, s12, s28
	s_addc_u32 s1, s13, s29
	s_load_dwordx2 s[0:1], s[0:1], 0x0
	v_mad_u64_u32 v[4:5], s[12:13], v0, s14, 0
	s_lshl_b64 s[12:13], s[16:17], 2
	v_mov_b32_e32 v6, v5
	s_waitcnt lgkmcnt(0)
	s_add_u32 s7, s0, s12
	s_addc_u32 s11, s1, s13
	v_mad_u64_u32 v[6:7], s[0:1], v0, s15, v[6:7]
	v_mov_b32_e32 v5, v6
	v_lshlrev_b64 v[4:5], 2, v[4:5]
	v_mov_b32_e32 v6, s11
	v_add_co_u32_e64 v4, s[0:1], s7, v4
	v_addc_co_u32_e64 v5, s[0:1], v6, v5, s[0:1]
	v_add_co_u32_e64 v4, s[0:1], v4, v1
	v_addc_co_u32_e64 v5, s[0:1], 0, v5, s[0:1]
	global_load_dword v4, v[4:5], off
	s_waitcnt vmcnt(0)
	ds_write_b32 v2, v4
.LBB154_3:
	s_or_b64 exec, exec, s[26:27]
	s_add_i32 s0, s10, -1
	s_ashr_i32 s1, s0, 31
	s_lshr_b32 s1, s1, 27
	s_add_i32 s0, s0, s1
	s_ashr_i32 s1, s0, 5
	s_andn2_b32 s0, s0, 31
	s_sub_i32 s0, s10, s0
	s_cmp_ge_i32 s6, s1
	s_cselect_b32 s0, s0, 32
	s_lshl_b32 s6, s6, 5
	v_cmp_gt_i32_e64 s[0:1], s0, v3
	s_ashr_i32 s7, s6, 31
	s_and_b64 s[0:1], vcc, s[0:1]
	s_and_saveexec_b64 s[10:11], s[0:1]
	s_cbranch_execz .LBB154_5
; %bb.4:
	s_lshl_b64 s[12:13], s[22:23], 2
	s_waitcnt lgkmcnt(0)
	s_add_u32 s14, s24, s12
	s_addc_u32 s15, s25, s13
	s_lshl_b64 s[12:13], s[6:7], 2
	s_add_u32 s14, s14, s12
	s_addc_u32 s15, s15, s13
	v_mad_u64_u32 v[4:5], s[12:13], v0, s20, 0
	v_mov_b32_e32 v6, v5
	v_mad_u64_u32 v[6:7], s[12:13], v0, s21, v[6:7]
	v_mov_b32_e32 v5, v6
	v_lshlrev_b64 v[4:5], 2, v[4:5]
	v_mov_b32_e32 v6, s15
	v_add_co_u32_e32 v4, vcc, s14, v4
	v_addc_co_u32_e32 v5, vcc, v6, v5, vcc
	v_add_co_u32_e32 v4, vcc, v4, v1
	v_addc_co_u32_e32 v5, vcc, 0, v5, vcc
	global_load_dword v4, v[4:5], off
	v_add_u32_e32 v5, 0x1000, v2
	s_waitcnt vmcnt(0)
	ds_write_b32 v5, v4
.LBB154_5:
	s_or_b64 exec, exec, s[10:11]
	s_cmpk_eq_i32 s9, 0x84
	s_cselect_b64 s[10:11], -1, 0
	v_cmp_eq_u32_e32 vcc, v0, v3
	s_and_b64 s[12:13], vcc, s[10:11]
	s_and_saveexec_b64 s[10:11], s[12:13]
	s_cbranch_execz .LBB154_7
; %bb.6:
	v_mov_b32_e32 v4, 1.0
	ds_write_b32 v2, v4
.LBB154_7:
	s_or_b64 exec, exec, s[10:11]
	s_cmpk_lg_i32 s8, 0x79
	s_cbranch_scc0 .LBB154_9
; %bb.8:
	v_cmp_lt_u32_e32 vcc, v3, v0
	s_and_b64 s[8:9], vcc, exec
	s_cbranch_execz .LBB154_10
	s_branch .LBB154_11
.LBB154_9:
	s_mov_b64 s[8:9], 0
.LBB154_10:
	v_cmp_gt_u32_e32 vcc, v3, v0
	s_andn2_b64 s[8:9], s[8:9], exec
	s_and_b64 s[10:11], vcc, exec
	s_or_b64 s[8:9], s[8:9], s[10:11]
.LBB154_11:
	s_and_saveexec_b64 s[10:11], s[8:9]
	s_cbranch_execz .LBB154_13
; %bb.12:
	v_mov_b32_e32 v3, 0
	ds_write_b32 v2, v3
.LBB154_13:
	s_or_b64 exec, exec, s[10:11]
	s_waitcnt lgkmcnt(0)
	s_barrier
	s_and_saveexec_b64 s[8:9], s[0:1]
	s_cbranch_execz .LBB154_15
; %bb.14:
	v_add_u32_e32 v10, 0x1000, v1
	v_lshlrev_b32_e32 v14, 2, v0
	ds_read2_b32 v[2:3], v10 offset1:32
	ds_read2_b32 v[4:5], v14 offset1:32
	v_add_u32_e32 v16, 0x1400, v1
	v_add_u32_e32 v17, 0x400, v14
	s_load_dwordx2 s[0:1], s[4:5], 0x60
	s_waitcnt lgkmcnt(0)
	v_fma_f32 v15, v2, v4, 0
	v_fmac_f32_e32 v15, v3, v5
	ds_read2_b32 v[2:3], v10 offset0:64 offset1:96
	ds_read2_b32 v[4:5], v14 offset0:64 offset1:96
	;; [unrolled: 1-line block ×6, first 2 shown]
	s_waitcnt lgkmcnt(4)
	v_fmac_f32_e32 v15, v2, v4
	v_fmac_f32_e32 v15, v3, v5
	ds_read2_b32 v[2:3], v16 offset1:32
	s_waitcnt lgkmcnt(3)
	v_fmac_f32_e32 v15, v6, v8
	v_fmac_f32_e32 v15, v7, v9
	s_waitcnt lgkmcnt(1)
	v_fmac_f32_e32 v15, v10, v12
	v_fmac_f32_e32 v15, v11, v13
	ds_read2_b32 v[4:5], v17 offset1:32
	ds_read2_b32 v[6:7], v16 offset0:64 offset1:96
	ds_read2_b32 v[8:9], v17 offset0:64 offset1:96
	;; [unrolled: 1-line block ×4, first 2 shown]
	s_waitcnt lgkmcnt(4)
	v_fmac_f32_e32 v15, v2, v4
	v_fmac_f32_e32 v15, v3, v5
	ds_read2_b32 v[2:3], v16 offset0:192 offset1:224
	ds_read2_b32 v[4:5], v17 offset0:192 offset1:224
	s_waitcnt lgkmcnt(4)
	v_fmac_f32_e32 v15, v6, v8
	v_add_u32_e32 v16, 0x1800, v1
	v_fmac_f32_e32 v15, v7, v9
	ds_read2_b32 v[6:7], v16 offset1:32
	s_waitcnt lgkmcnt(3)
	v_fmac_f32_e32 v15, v10, v12
	v_add_u32_e32 v17, 0x800, v14
	v_fmac_f32_e32 v15, v11, v13
	ds_read2_b32 v[8:9], v17 offset1:32
	ds_read2_b32 v[10:11], v16 offset0:64 offset1:96
	ds_read2_b32 v[12:13], v17 offset0:64 offset1:96
	s_waitcnt lgkmcnt(4)
	v_fmac_f32_e32 v15, v2, v4
	v_fmac_f32_e32 v15, v3, v5
	s_waitcnt lgkmcnt(2)
	v_fmac_f32_e32 v15, v6, v8
	v_fmac_f32_e32 v15, v7, v9
	ds_read2_b32 v[2:3], v16 offset0:128 offset1:160
	ds_read2_b32 v[4:5], v17 offset0:128 offset1:160
	;; [unrolled: 1-line block ×4, first 2 shown]
	s_waitcnt lgkmcnt(4)
	v_fmac_f32_e32 v15, v10, v12
	v_add_u32_e32 v16, 0x1c00, v1
	v_add_u32_e32 v14, 0xc00, v14
	v_fmac_f32_e32 v15, v11, v13
	ds_read2_b32 v[10:11], v16 offset1:32
	ds_read2_b32 v[12:13], v14 offset1:32
	s_waitcnt lgkmcnt(4)
	v_fmac_f32_e32 v15, v2, v4
	v_fmac_f32_e32 v15, v3, v5
	s_waitcnt lgkmcnt(2)
	v_fmac_f32_e32 v15, v6, v8
	s_lshl_b64 s[0:1], s[0:1], 2
	v_fmac_f32_e32 v15, v7, v9
	s_add_u32 s4, s18, s0
	s_waitcnt lgkmcnt(0)
	v_fmac_f32_e32 v15, v10, v12
	s_addc_u32 s5, s19, s1
	s_lshl_b64 s[0:1], s[6:7], 2
	v_fmac_f32_e32 v15, v11, v13
	ds_read2_b32 v[2:3], v16 offset0:64 offset1:96
	ds_read2_b32 v[4:5], v14 offset0:64 offset1:96
	;; [unrolled: 1-line block ×6, first 2 shown]
	s_add_u32 s4, s4, s0
	s_waitcnt lgkmcnt(4)
	v_fmac_f32_e32 v15, v2, v4
	s_addc_u32 s5, s5, s1
	v_fmac_f32_e32 v15, v3, v5
	v_mad_u64_u32 v[2:3], s[0:1], v0, s2, 0
	v_mov_b32_e32 v4, v3
	v_mad_u64_u32 v[4:5], s[0:1], v0, s3, v[4:5]
	v_mov_b32_e32 v3, v4
	s_waitcnt lgkmcnt(2)
	v_fmac_f32_e32 v15, v6, v8
	v_lshlrev_b64 v[2:3], 2, v[2:3]
	v_fmac_f32_e32 v15, v7, v9
	v_mov_b32_e32 v0, s5
	v_add_co_u32_e32 v2, vcc, s4, v2
	s_waitcnt lgkmcnt(0)
	v_fmac_f32_e32 v15, v10, v12
	v_addc_co_u32_e32 v3, vcc, v0, v3, vcc
	v_fmac_f32_e32 v15, v11, v13
	v_add_co_u32_e32 v0, vcc, v2, v1
	v_mul_f32_e32 v6, s30, v15
	v_addc_co_u32_e32 v1, vcc, 0, v3, vcc
	global_store_dword v[0:1], v6, off
.LBB154_15:
	s_endpgm
	.section	.rodata,"a",@progbits
	.p2align	6, 0x0
	.amdhsa_kernel _ZL23rocblas_trmm_rTx_kernelILi32ELb1EfPKfKS1_KPfEv13rocblas_fill_17rocblas_diagonal_iiT2_lPT3_llS9_llPT4_lli
		.amdhsa_group_segment_fixed_size 8192
		.amdhsa_private_segment_fixed_size 0
		.amdhsa_kernarg_size 108
		.amdhsa_user_sgpr_count 6
		.amdhsa_user_sgpr_private_segment_buffer 1
		.amdhsa_user_sgpr_dispatch_ptr 0
		.amdhsa_user_sgpr_queue_ptr 0
		.amdhsa_user_sgpr_kernarg_segment_ptr 1
		.amdhsa_user_sgpr_dispatch_id 0
		.amdhsa_user_sgpr_flat_scratch_init 0
		.amdhsa_user_sgpr_kernarg_preload_length 0
		.amdhsa_user_sgpr_kernarg_preload_offset 0
		.amdhsa_user_sgpr_private_segment_size 0
		.amdhsa_uses_dynamic_stack 0
		.amdhsa_system_sgpr_private_segment_wavefront_offset 0
		.amdhsa_system_sgpr_workgroup_id_x 1
		.amdhsa_system_sgpr_workgroup_id_y 0
		.amdhsa_system_sgpr_workgroup_id_z 1
		.amdhsa_system_sgpr_workgroup_info 0
		.amdhsa_system_vgpr_workitem_id 1
		.amdhsa_next_free_vgpr 18
		.amdhsa_next_free_sgpr 31
		.amdhsa_accum_offset 20
		.amdhsa_reserve_vcc 1
		.amdhsa_reserve_flat_scratch 0
		.amdhsa_float_round_mode_32 0
		.amdhsa_float_round_mode_16_64 0
		.amdhsa_float_denorm_mode_32 3
		.amdhsa_float_denorm_mode_16_64 3
		.amdhsa_dx10_clamp 1
		.amdhsa_ieee_mode 1
		.amdhsa_fp16_overflow 0
		.amdhsa_tg_split 0
		.amdhsa_exception_fp_ieee_invalid_op 0
		.amdhsa_exception_fp_denorm_src 0
		.amdhsa_exception_fp_ieee_div_zero 0
		.amdhsa_exception_fp_ieee_overflow 0
		.amdhsa_exception_fp_ieee_underflow 0
		.amdhsa_exception_fp_ieee_inexact 0
		.amdhsa_exception_int_div_zero 0
	.end_amdhsa_kernel
	.section	.text._ZL23rocblas_trmm_rTx_kernelILi32ELb1EfPKfKS1_KPfEv13rocblas_fill_17rocblas_diagonal_iiT2_lPT3_llS9_llPT4_lli,"axG",@progbits,_ZL23rocblas_trmm_rTx_kernelILi32ELb1EfPKfKS1_KPfEv13rocblas_fill_17rocblas_diagonal_iiT2_lPT3_llS9_llPT4_lli,comdat
.Lfunc_end154:
	.size	_ZL23rocblas_trmm_rTx_kernelILi32ELb1EfPKfKS1_KPfEv13rocblas_fill_17rocblas_diagonal_iiT2_lPT3_llS9_llPT4_lli, .Lfunc_end154-_ZL23rocblas_trmm_rTx_kernelILi32ELb1EfPKfKS1_KPfEv13rocblas_fill_17rocblas_diagonal_iiT2_lPT3_llS9_llPT4_lli
                                        ; -- End function
	.section	.AMDGPU.csdata,"",@progbits
; Kernel info:
; codeLenInByte = 1236
; NumSgprs: 35
; NumVgprs: 18
; NumAgprs: 0
; TotalNumVgprs: 18
; ScratchSize: 0
; MemoryBound: 0
; FloatMode: 240
; IeeeMode: 1
; LDSByteSize: 8192 bytes/workgroup (compile time only)
; SGPRBlocks: 4
; VGPRBlocks: 2
; NumSGPRsForWavesPerEU: 35
; NumVGPRsForWavesPerEU: 18
; AccumOffset: 20
; Occupancy: 8
; WaveLimiterHint : 1
; COMPUTE_PGM_RSRC2:SCRATCH_EN: 0
; COMPUTE_PGM_RSRC2:USER_SGPR: 6
; COMPUTE_PGM_RSRC2:TRAP_HANDLER: 0
; COMPUTE_PGM_RSRC2:TGID_X_EN: 1
; COMPUTE_PGM_RSRC2:TGID_Y_EN: 0
; COMPUTE_PGM_RSRC2:TGID_Z_EN: 1
; COMPUTE_PGM_RSRC2:TIDIG_COMP_CNT: 1
; COMPUTE_PGM_RSRC3_GFX90A:ACCUM_OFFSET: 4
; COMPUTE_PGM_RSRC3_GFX90A:TG_SPLIT: 0
	.section	.text._ZL23rocblas_trmm_rTx_kernelILi32ELb1EffKPKfKPfEv13rocblas_fill_17rocblas_diagonal_iiT2_lPT3_llS9_llPT4_lli,"axG",@progbits,_ZL23rocblas_trmm_rTx_kernelILi32ELb1EffKPKfKPfEv13rocblas_fill_17rocblas_diagonal_iiT2_lPT3_llS9_llPT4_lli,comdat
	.globl	_ZL23rocblas_trmm_rTx_kernelILi32ELb1EffKPKfKPfEv13rocblas_fill_17rocblas_diagonal_iiT2_lPT3_llS9_llPT4_lli ; -- Begin function _ZL23rocblas_trmm_rTx_kernelILi32ELb1EffKPKfKPfEv13rocblas_fill_17rocblas_diagonal_iiT2_lPT3_llS9_llPT4_lli
	.p2align	8
	.type	_ZL23rocblas_trmm_rTx_kernelILi32ELb1EffKPKfKPfEv13rocblas_fill_17rocblas_diagonal_iiT2_lPT3_llS9_llPT4_lli,@function
_ZL23rocblas_trmm_rTx_kernelILi32ELb1EffKPKfKPfEv13rocblas_fill_17rocblas_diagonal_iiT2_lPT3_llS9_llPT4_lli: ; @_ZL23rocblas_trmm_rTx_kernelILi32ELb1EffKPKfKPfEv13rocblas_fill_17rocblas_diagonal_iiT2_lPT3_llS9_llPT4_lli
; %bb.0:
	s_load_dword s30, s[4:5], 0x10
	s_mov_b32 s1, 0
	s_waitcnt lgkmcnt(0)
	v_cmp_eq_f32_e64 s[2:3], s30, 0
	s_and_b64 vcc, exec, s[2:3]
	s_cbranch_vccnz .LBB155_15
; %bb.1:
	s_load_dwordx16 s[8:23], s[4:5], 0x20
	s_load_dwordx4 s[24:27], s[4:5], 0x0
	s_mov_b32 s0, s7
	s_lshl_b64 s[28:29], s[0:1], 3
	v_and_b32_e32 v3, 0x3ff, v0
	s_waitcnt lgkmcnt(0)
	s_add_u32 s0, s14, s28
	s_addc_u32 s1, s15, s29
	s_load_dwordx2 s[14:15], s[0:1], 0x0
	s_add_u32 s0, s20, s28
	s_addc_u32 s1, s21, s29
	s_load_dwordx2 s[2:3], s[0:1], 0x0
	v_bfe_u32 v0, v0, 10, 10
	v_lshlrev_b32_e32 v1, 5, v0
	v_add_lshl_u32 v2, v1, v3, 2
	v_mov_b32_e32 v1, 0
	v_cmp_gt_i32_e32 vcc, s27, v0
	v_cmp_gt_i32_e64 s[0:1], s27, v3
	ds_write2st64_b32 v2, v1, v1 offset1:16
	s_and_b64 s[0:1], vcc, s[0:1]
	v_lshlrev_b32_e32 v1, 2, v3
	s_and_saveexec_b64 s[20:21], s[0:1]
	s_cbranch_execz .LBB155_3
; %bb.2:
	s_add_u32 s0, s8, s28
	s_addc_u32 s1, s9, s29
	s_load_dwordx2 s[0:1], s[0:1], 0x0
	v_mad_u64_u32 v[4:5], s[8:9], v0, s10, 0
	s_lshl_b64 s[8:9], s[12:13], 2
	v_mov_b32_e32 v6, v5
	s_waitcnt lgkmcnt(0)
	s_add_u32 s7, s0, s8
	s_addc_u32 s8, s1, s9
	v_mad_u64_u32 v[6:7], s[0:1], v0, s11, v[6:7]
	v_mov_b32_e32 v5, v6
	v_lshlrev_b64 v[4:5], 2, v[4:5]
	v_mov_b32_e32 v6, s8
	v_add_co_u32_e64 v4, s[0:1], s7, v4
	v_addc_co_u32_e64 v5, s[0:1], v6, v5, s[0:1]
	v_add_co_u32_e64 v4, s[0:1], v4, v1
	v_addc_co_u32_e64 v5, s[0:1], 0, v5, s[0:1]
	global_load_dword v4, v[4:5], off
	s_waitcnt vmcnt(0)
	ds_write_b32 v2, v4
.LBB155_3:
	s_or_b64 exec, exec, s[20:21]
	s_add_i32 s0, s26, -1
	s_ashr_i32 s1, s0, 31
	s_lshr_b32 s1, s1, 27
	s_add_i32 s0, s0, s1
	s_ashr_i32 s1, s0, 5
	s_andn2_b32 s0, s0, 31
	s_sub_i32 s0, s26, s0
	s_cmp_ge_i32 s6, s1
	s_cselect_b32 s0, s0, 32
	s_lshl_b32 s6, s6, 5
	v_cmp_gt_i32_e64 s[0:1], s0, v3
	s_ashr_i32 s7, s6, 31
	s_and_b64 s[0:1], vcc, s[0:1]
	s_and_saveexec_b64 s[8:9], s[0:1]
	s_cbranch_execz .LBB155_5
; %bb.4:
	s_lshl_b64 s[10:11], s[18:19], 2
	s_waitcnt lgkmcnt(0)
	s_add_u32 s12, s14, s10
	s_addc_u32 s13, s15, s11
	s_lshl_b64 s[10:11], s[6:7], 2
	s_add_u32 s12, s12, s10
	s_addc_u32 s13, s13, s11
	v_mad_u64_u32 v[4:5], s[10:11], v0, s16, 0
	v_mov_b32_e32 v6, v5
	v_mad_u64_u32 v[6:7], s[10:11], v0, s17, v[6:7]
	v_mov_b32_e32 v5, v6
	v_lshlrev_b64 v[4:5], 2, v[4:5]
	v_mov_b32_e32 v6, s13
	v_add_co_u32_e32 v4, vcc, s12, v4
	v_addc_co_u32_e32 v5, vcc, v6, v5, vcc
	v_add_co_u32_e32 v4, vcc, v4, v1
	v_addc_co_u32_e32 v5, vcc, 0, v5, vcc
	global_load_dword v4, v[4:5], off
	v_add_u32_e32 v5, 0x1000, v2
	s_waitcnt vmcnt(0)
	ds_write_b32 v5, v4
.LBB155_5:
	s_or_b64 exec, exec, s[8:9]
	s_cmpk_eq_i32 s25, 0x84
	s_cselect_b64 s[8:9], -1, 0
	v_cmp_eq_u32_e32 vcc, v0, v3
	s_and_b64 s[10:11], vcc, s[8:9]
	s_and_saveexec_b64 s[8:9], s[10:11]
	s_cbranch_execz .LBB155_7
; %bb.6:
	v_mov_b32_e32 v4, 1.0
	ds_write_b32 v2, v4
.LBB155_7:
	s_or_b64 exec, exec, s[8:9]
	s_cmpk_lg_i32 s24, 0x79
	s_cbranch_scc0 .LBB155_9
; %bb.8:
	v_cmp_lt_u32_e32 vcc, v3, v0
	s_and_b64 s[8:9], vcc, exec
	s_cbranch_execz .LBB155_10
	s_branch .LBB155_11
.LBB155_9:
	s_mov_b64 s[8:9], 0
.LBB155_10:
	v_cmp_gt_u32_e32 vcc, v3, v0
	s_andn2_b64 s[8:9], s[8:9], exec
	s_and_b64 s[10:11], vcc, exec
	s_or_b64 s[8:9], s[8:9], s[10:11]
.LBB155_11:
	s_and_saveexec_b64 s[10:11], s[8:9]
	s_cbranch_execz .LBB155_13
; %bb.12:
	v_mov_b32_e32 v3, 0
	ds_write_b32 v2, v3
.LBB155_13:
	s_or_b64 exec, exec, s[10:11]
	s_waitcnt lgkmcnt(0)
	s_barrier
	s_and_saveexec_b64 s[8:9], s[0:1]
	s_cbranch_execz .LBB155_15
; %bb.14:
	v_add_u32_e32 v10, 0x1000, v1
	v_lshlrev_b32_e32 v14, 2, v0
	ds_read2_b32 v[2:3], v10 offset1:32
	ds_read2_b32 v[4:5], v14 offset1:32
	v_add_u32_e32 v16, 0x1400, v1
	v_add_u32_e32 v17, 0x400, v14
	s_load_dwordx2 s[0:1], s[4:5], 0x60
	s_waitcnt lgkmcnt(0)
	v_fma_f32 v15, v2, v4, 0
	v_fmac_f32_e32 v15, v3, v5
	ds_read2_b32 v[2:3], v10 offset0:64 offset1:96
	ds_read2_b32 v[4:5], v14 offset0:64 offset1:96
	;; [unrolled: 1-line block ×6, first 2 shown]
	s_waitcnt lgkmcnt(4)
	v_fmac_f32_e32 v15, v2, v4
	v_fmac_f32_e32 v15, v3, v5
	ds_read2_b32 v[2:3], v16 offset1:32
	s_waitcnt lgkmcnt(3)
	v_fmac_f32_e32 v15, v6, v8
	v_fmac_f32_e32 v15, v7, v9
	s_waitcnt lgkmcnt(1)
	v_fmac_f32_e32 v15, v10, v12
	v_fmac_f32_e32 v15, v11, v13
	ds_read2_b32 v[4:5], v17 offset1:32
	ds_read2_b32 v[6:7], v16 offset0:64 offset1:96
	ds_read2_b32 v[8:9], v17 offset0:64 offset1:96
	;; [unrolled: 1-line block ×4, first 2 shown]
	s_waitcnt lgkmcnt(4)
	v_fmac_f32_e32 v15, v2, v4
	v_fmac_f32_e32 v15, v3, v5
	ds_read2_b32 v[2:3], v16 offset0:192 offset1:224
	ds_read2_b32 v[4:5], v17 offset0:192 offset1:224
	s_waitcnt lgkmcnt(4)
	v_fmac_f32_e32 v15, v6, v8
	v_add_u32_e32 v16, 0x1800, v1
	v_fmac_f32_e32 v15, v7, v9
	ds_read2_b32 v[6:7], v16 offset1:32
	s_waitcnt lgkmcnt(3)
	v_fmac_f32_e32 v15, v10, v12
	v_add_u32_e32 v17, 0x800, v14
	v_fmac_f32_e32 v15, v11, v13
	ds_read2_b32 v[8:9], v17 offset1:32
	ds_read2_b32 v[10:11], v16 offset0:64 offset1:96
	ds_read2_b32 v[12:13], v17 offset0:64 offset1:96
	s_waitcnt lgkmcnt(4)
	v_fmac_f32_e32 v15, v2, v4
	v_fmac_f32_e32 v15, v3, v5
	s_waitcnt lgkmcnt(2)
	v_fmac_f32_e32 v15, v6, v8
	v_fmac_f32_e32 v15, v7, v9
	ds_read2_b32 v[2:3], v16 offset0:128 offset1:160
	ds_read2_b32 v[4:5], v17 offset0:128 offset1:160
	;; [unrolled: 1-line block ×4, first 2 shown]
	s_waitcnt lgkmcnt(4)
	v_fmac_f32_e32 v15, v10, v12
	v_add_u32_e32 v16, 0x1c00, v1
	v_add_u32_e32 v14, 0xc00, v14
	v_fmac_f32_e32 v15, v11, v13
	ds_read2_b32 v[10:11], v16 offset1:32
	ds_read2_b32 v[12:13], v14 offset1:32
	s_waitcnt lgkmcnt(4)
	v_fmac_f32_e32 v15, v2, v4
	v_fmac_f32_e32 v15, v3, v5
	s_waitcnt lgkmcnt(2)
	v_fmac_f32_e32 v15, v6, v8
	s_lshl_b64 s[0:1], s[0:1], 2
	v_fmac_f32_e32 v15, v7, v9
	s_add_u32 s2, s2, s0
	s_waitcnt lgkmcnt(0)
	v_fmac_f32_e32 v15, v10, v12
	s_addc_u32 s3, s3, s1
	s_lshl_b64 s[0:1], s[6:7], 2
	v_fmac_f32_e32 v15, v11, v13
	ds_read2_b32 v[2:3], v16 offset0:64 offset1:96
	ds_read2_b32 v[4:5], v14 offset0:64 offset1:96
	;; [unrolled: 1-line block ×6, first 2 shown]
	s_add_u32 s2, s2, s0
	s_waitcnt lgkmcnt(4)
	v_fmac_f32_e32 v15, v2, v4
	s_addc_u32 s3, s3, s1
	v_fmac_f32_e32 v15, v3, v5
	v_mad_u64_u32 v[2:3], s[0:1], v0, s22, 0
	v_mov_b32_e32 v4, v3
	v_mad_u64_u32 v[4:5], s[0:1], v0, s23, v[4:5]
	v_mov_b32_e32 v3, v4
	s_waitcnt lgkmcnt(2)
	v_fmac_f32_e32 v15, v6, v8
	v_lshlrev_b64 v[2:3], 2, v[2:3]
	v_fmac_f32_e32 v15, v7, v9
	v_mov_b32_e32 v0, s3
	v_add_co_u32_e32 v2, vcc, s2, v2
	s_waitcnt lgkmcnt(0)
	v_fmac_f32_e32 v15, v10, v12
	v_addc_co_u32_e32 v3, vcc, v0, v3, vcc
	v_fmac_f32_e32 v15, v11, v13
	v_add_co_u32_e32 v0, vcc, v2, v1
	v_mul_f32_e32 v6, s30, v15
	v_addc_co_u32_e32 v1, vcc, 0, v3, vcc
	global_store_dword v[0:1], v6, off
.LBB155_15:
	s_endpgm
	.section	.rodata,"a",@progbits
	.p2align	6, 0x0
	.amdhsa_kernel _ZL23rocblas_trmm_rTx_kernelILi32ELb1EffKPKfKPfEv13rocblas_fill_17rocblas_diagonal_iiT2_lPT3_llS9_llPT4_lli
		.amdhsa_group_segment_fixed_size 8192
		.amdhsa_private_segment_fixed_size 0
		.amdhsa_kernarg_size 108
		.amdhsa_user_sgpr_count 6
		.amdhsa_user_sgpr_private_segment_buffer 1
		.amdhsa_user_sgpr_dispatch_ptr 0
		.amdhsa_user_sgpr_queue_ptr 0
		.amdhsa_user_sgpr_kernarg_segment_ptr 1
		.amdhsa_user_sgpr_dispatch_id 0
		.amdhsa_user_sgpr_flat_scratch_init 0
		.amdhsa_user_sgpr_kernarg_preload_length 0
		.amdhsa_user_sgpr_kernarg_preload_offset 0
		.amdhsa_user_sgpr_private_segment_size 0
		.amdhsa_uses_dynamic_stack 0
		.amdhsa_system_sgpr_private_segment_wavefront_offset 0
		.amdhsa_system_sgpr_workgroup_id_x 1
		.amdhsa_system_sgpr_workgroup_id_y 0
		.amdhsa_system_sgpr_workgroup_id_z 1
		.amdhsa_system_sgpr_workgroup_info 0
		.amdhsa_system_vgpr_workitem_id 1
		.amdhsa_next_free_vgpr 18
		.amdhsa_next_free_sgpr 31
		.amdhsa_accum_offset 20
		.amdhsa_reserve_vcc 1
		.amdhsa_reserve_flat_scratch 0
		.amdhsa_float_round_mode_32 0
		.amdhsa_float_round_mode_16_64 0
		.amdhsa_float_denorm_mode_32 3
		.amdhsa_float_denorm_mode_16_64 3
		.amdhsa_dx10_clamp 1
		.amdhsa_ieee_mode 1
		.amdhsa_fp16_overflow 0
		.amdhsa_tg_split 0
		.amdhsa_exception_fp_ieee_invalid_op 0
		.amdhsa_exception_fp_denorm_src 0
		.amdhsa_exception_fp_ieee_div_zero 0
		.amdhsa_exception_fp_ieee_overflow 0
		.amdhsa_exception_fp_ieee_underflow 0
		.amdhsa_exception_fp_ieee_inexact 0
		.amdhsa_exception_int_div_zero 0
	.end_amdhsa_kernel
	.section	.text._ZL23rocblas_trmm_rTx_kernelILi32ELb1EffKPKfKPfEv13rocblas_fill_17rocblas_diagonal_iiT2_lPT3_llS9_llPT4_lli,"axG",@progbits,_ZL23rocblas_trmm_rTx_kernelILi32ELb1EffKPKfKPfEv13rocblas_fill_17rocblas_diagonal_iiT2_lPT3_llS9_llPT4_lli,comdat
.Lfunc_end155:
	.size	_ZL23rocblas_trmm_rTx_kernelILi32ELb1EffKPKfKPfEv13rocblas_fill_17rocblas_diagonal_iiT2_lPT3_llS9_llPT4_lli, .Lfunc_end155-_ZL23rocblas_trmm_rTx_kernelILi32ELb1EffKPKfKPfEv13rocblas_fill_17rocblas_diagonal_iiT2_lPT3_llS9_llPT4_lli
                                        ; -- End function
	.section	.AMDGPU.csdata,"",@progbits
; Kernel info:
; codeLenInByte = 1196
; NumSgprs: 35
; NumVgprs: 18
; NumAgprs: 0
; TotalNumVgprs: 18
; ScratchSize: 0
; MemoryBound: 0
; FloatMode: 240
; IeeeMode: 1
; LDSByteSize: 8192 bytes/workgroup (compile time only)
; SGPRBlocks: 4
; VGPRBlocks: 2
; NumSGPRsForWavesPerEU: 35
; NumVGPRsForWavesPerEU: 18
; AccumOffset: 20
; Occupancy: 8
; WaveLimiterHint : 1
; COMPUTE_PGM_RSRC2:SCRATCH_EN: 0
; COMPUTE_PGM_RSRC2:USER_SGPR: 6
; COMPUTE_PGM_RSRC2:TRAP_HANDLER: 0
; COMPUTE_PGM_RSRC2:TGID_X_EN: 1
; COMPUTE_PGM_RSRC2:TGID_Y_EN: 0
; COMPUTE_PGM_RSRC2:TGID_Z_EN: 1
; COMPUTE_PGM_RSRC2:TIDIG_COMP_CNT: 1
; COMPUTE_PGM_RSRC3_GFX90A:ACCUM_OFFSET: 4
; COMPUTE_PGM_RSRC3_GFX90A:TG_SPLIT: 0
	.section	.text._ZL23rocblas_trmm_lNx_kernelILi32EdPKdKS1_KPdEv13rocblas_fill_17rocblas_diagonal_iiT1_lPT2_llS9_llPT3_lli,"axG",@progbits,_ZL23rocblas_trmm_lNx_kernelILi32EdPKdKS1_KPdEv13rocblas_fill_17rocblas_diagonal_iiT1_lPT2_llS9_llPT3_lli,comdat
	.globl	_ZL23rocblas_trmm_lNx_kernelILi32EdPKdKS1_KPdEv13rocblas_fill_17rocblas_diagonal_iiT1_lPT2_llS9_llPT3_lli ; -- Begin function _ZL23rocblas_trmm_lNx_kernelILi32EdPKdKS1_KPdEv13rocblas_fill_17rocblas_diagonal_iiT1_lPT2_llS9_llPT3_lli
	.p2align	8
	.type	_ZL23rocblas_trmm_lNx_kernelILi32EdPKdKS1_KPdEv13rocblas_fill_17rocblas_diagonal_iiT1_lPT2_llS9_llPT3_lli,@function
_ZL23rocblas_trmm_lNx_kernelILi32EdPKdKS1_KPdEv13rocblas_fill_17rocblas_diagonal_iiT1_lPT2_llS9_llPT3_lli: ; @_ZL23rocblas_trmm_lNx_kernelILi32EdPKdKS1_KPdEv13rocblas_fill_17rocblas_diagonal_iiT1_lPT2_llS9_llPT3_lli
; %bb.0:
	s_load_dwordx16 s[8:23], s[4:5], 0x10
	s_waitcnt lgkmcnt(0)
	s_mul_i32 s0, s7, s11
	s_mul_hi_u32 s1, s7, s10
	s_add_i32 s1, s1, s0
	s_mul_i32 s0, s7, s10
	s_lshl_b64 s[0:1], s[0:1], 3
	s_add_u32 s0, s8, s0
	s_addc_u32 s1, s9, s1
	s_load_dwordx2 s[24:25], s[0:1], 0x0
	s_waitcnt lgkmcnt(0)
	v_cmp_eq_f64_e64 s[0:1], s[24:25], 0
	s_and_b64 vcc, exec, s[0:1]
	s_cbranch_vccnz .LBB156_15
; %bb.1:
	s_load_dwordx4 s[8:11], s[4:5], 0x0
	s_load_dwordx4 s[0:3], s[4:5], 0x50
	s_mov_b32 s28, s7
	s_mov_b32 s29, 0
	s_lshl_b64 s[30:31], s[28:29], 3
	s_add_u32 s18, s18, s30
	s_addc_u32 s19, s19, s31
	s_waitcnt lgkmcnt(0)
	s_add_u32 s0, s0, s30
	s_addc_u32 s1, s1, s31
	s_load_dwordx2 s[26:27], s[18:19], 0x0
	v_and_b32_e32 v4, 0x3ff, v0
	s_load_dwordx2 s[18:19], s[0:1], 0x0
	v_bfe_u32 v2, v0, 10, 10
	v_lshlrev_b32_e32 v0, 5, v2
	s_mov_b32 s28, s29
	v_cmp_gt_i32_e64 s[0:1], s10, v2
	v_cmp_gt_i32_e32 vcc, s10, v4
	v_add_lshl_u32 v1, v0, v4, 3
	v_pk_mov_b32 v[6:7], s[28:29], s[28:29] op_sel:[0,1]
	s_and_b64 s[0:1], s[0:1], vcc
	v_lshlrev_b32_e32 v3, 3, v4
	ds_write2st64_b64 v1, v[6:7], v[6:7] offset1:16
	s_and_saveexec_b64 s[28:29], s[0:1]
	s_cbranch_execz .LBB156_3
; %bb.2:
	s_add_u32 s0, s12, s30
	s_addc_u32 s1, s13, s31
	s_load_dwordx2 s[0:1], s[0:1], 0x0
	v_mad_u64_u32 v[6:7], s[12:13], v2, s14, 0
	s_lshl_b64 s[12:13], s[16:17], 3
	v_mov_b32_e32 v8, v7
	s_waitcnt lgkmcnt(0)
	s_add_u32 s7, s0, s12
	s_addc_u32 s10, s1, s13
	v_mad_u64_u32 v[8:9], s[0:1], v2, s15, v[8:9]
	v_mov_b32_e32 v7, v8
	v_lshlrev_b64 v[6:7], 3, v[6:7]
	v_mov_b32_e32 v5, s10
	v_add_co_u32_e64 v6, s[0:1], s7, v6
	v_addc_co_u32_e64 v5, s[0:1], v5, v7, s[0:1]
	v_add_co_u32_e64 v6, s[0:1], v6, v3
	v_addc_co_u32_e64 v7, s[0:1], 0, v5, s[0:1]
	global_load_dwordx2 v[6:7], v[6:7], off
	s_waitcnt vmcnt(0)
	ds_write_b64 v1, v[6:7]
.LBB156_3:
	s_or_b64 exec, exec, s[28:29]
	s_add_i32 s0, s11, -1
	s_ashr_i32 s1, s0, 31
	s_lshr_b32 s1, s1, 27
	s_add_i32 s0, s0, s1
	s_ashr_i32 s1, s0, 5
	s_andn2_b32 s0, s0, 31
	s_sub_i32 s0, s11, s0
	s_cmp_ge_i32 s6, s1
	s_cselect_b32 s0, s0, 32
	s_lshl_b32 s10, s6, 5
	v_cmp_gt_i32_e64 s[0:1], s0, v2
	s_ashr_i32 s11, s10, 31
	s_and_b64 s[0:1], vcc, s[0:1]
	s_and_saveexec_b64 s[6:7], s[0:1]
	s_cbranch_execz .LBB156_5
; %bb.4:
	s_lshl_b64 s[12:13], s[22:23], 3
	s_waitcnt lgkmcnt(0)
	s_add_u32 s14, s26, s12
	s_addc_u32 s15, s27, s13
	s_mul_i32 s12, s10, s21
	s_mul_hi_u32 s13, s10, s20
	s_add_i32 s12, s13, s12
	s_mul_i32 s13, s11, s20
	s_add_i32 s13, s12, s13
	s_mul_i32 s12, s10, s20
	s_lshl_b64 s[12:13], s[12:13], 3
	s_add_u32 s14, s14, s12
	s_addc_u32 s15, s15, s13
	v_mad_u64_u32 v[6:7], s[12:13], v2, s20, 0
	v_mov_b32_e32 v8, v7
	v_mad_u64_u32 v[8:9], s[12:13], v2, s21, v[8:9]
	v_mov_b32_e32 v7, v8
	v_lshlrev_b64 v[6:7], 3, v[6:7]
	v_mov_b32_e32 v5, s15
	v_add_co_u32_e32 v6, vcc, s14, v6
	v_addc_co_u32_e32 v5, vcc, v5, v7, vcc
	v_add_co_u32_e32 v6, vcc, v6, v3
	v_addc_co_u32_e32 v7, vcc, 0, v5, vcc
	global_load_dwordx2 v[6:7], v[6:7], off
	v_add_u32_e32 v5, 0x2000, v1
	s_waitcnt vmcnt(0)
	ds_write_b64 v5, v[6:7]
.LBB156_5:
	s_or_b64 exec, exec, s[6:7]
	s_cmpk_eq_i32 s9, 0x84
	s_cselect_b64 s[6:7], -1, 0
	v_cmp_eq_u32_e32 vcc, v2, v4
	s_and_b64 s[12:13], vcc, s[6:7]
	s_and_saveexec_b64 s[6:7], s[12:13]
	s_cbranch_execz .LBB156_7
; %bb.6:
	v_mov_b32_e32 v6, 0
	v_mov_b32_e32 v7, 0x3ff00000
	ds_write_b64 v1, v[6:7]
.LBB156_7:
	s_or_b64 exec, exec, s[6:7]
	s_cmpk_lg_i32 s8, 0x79
	s_cbranch_scc0 .LBB156_9
; %bb.8:
	v_cmp_lt_u32_e32 vcc, v4, v2
	s_and_b64 s[6:7], vcc, exec
	s_cbranch_execz .LBB156_10
	s_branch .LBB156_11
.LBB156_9:
	s_mov_b64 s[6:7], 0
.LBB156_10:
	v_cmp_gt_u32_e32 vcc, v4, v2
	s_andn2_b64 s[6:7], s[6:7], exec
	s_and_b64 s[8:9], vcc, exec
	s_or_b64 s[6:7], s[6:7], s[8:9]
.LBB156_11:
	s_and_saveexec_b64 s[8:9], s[6:7]
	s_cbranch_execz .LBB156_13
; %bb.12:
	v_mov_b32_e32 v4, 0
	v_mov_b32_e32 v5, v4
	ds_write_b64 v1, v[4:5]
.LBB156_13:
	s_or_b64 exec, exec, s[8:9]
	s_waitcnt lgkmcnt(0)
	s_barrier
	s_and_saveexec_b64 s[6:7], s[0:1]
	s_cbranch_execz .LBB156_15
; %bb.14:
	ds_read2_b64 v[4:7], v3 offset1:32
	v_lshlrev_b32_e32 v32, 3, v0
	ds_read_b128 v[8:11], v32 offset:8192
	ds_read_b128 v[12:15], v32 offset:8208
	ds_read2_b64 v[16:19], v3 offset0:64 offset1:96
	ds_read_b128 v[20:23], v32 offset:8224
	ds_read_b128 v[24:27], v32 offset:8240
	ds_read2_b64 v[28:31], v3 offset0:128 offset1:160
	s_load_dwordx2 s[0:1], s[4:5], 0x60
	s_mul_i32 s4, s10, s3
	s_waitcnt lgkmcnt(0)
	v_fma_f64 v[0:1], v[4:5], v[8:9], 0
	v_fmac_f64_e32 v[0:1], v[6:7], v[10:11]
	ds_read2_b64 v[4:7], v3 offset0:192 offset1:224
	v_fmac_f64_e32 v[0:1], v[16:17], v[12:13]
	v_fmac_f64_e32 v[0:1], v[18:19], v[14:15]
	;; [unrolled: 1-line block ×3, first 2 shown]
	v_add_u32_e32 v28, 0x800, v3
	v_fmac_f64_e32 v[0:1], v[30:31], v[22:23]
	ds_read2_b64 v[8:11], v28 offset1:32
	ds_read_b128 v[12:15], v32 offset:8256
	s_waitcnt lgkmcnt(2)
	v_fmac_f64_e32 v[0:1], v[4:5], v[24:25]
	v_fmac_f64_e32 v[0:1], v[6:7], v[26:27]
	ds_read2_b64 v[4:7], v28 offset0:64 offset1:96
	ds_read_b128 v[16:19], v32 offset:8272
	ds_read2_b64 v[20:23], v28 offset0:128 offset1:160
	ds_read_b128 v[24:27], v32 offset:8288
	s_waitcnt lgkmcnt(4)
	v_fmac_f64_e32 v[0:1], v[8:9], v[12:13]
	v_fmac_f64_e32 v[0:1], v[10:11], v[14:15]
	ds_read2_b64 v[8:11], v28 offset0:192 offset1:224
	s_waitcnt lgkmcnt(3)
	v_fmac_f64_e32 v[0:1], v[4:5], v[16:17]
	v_fmac_f64_e32 v[0:1], v[6:7], v[18:19]
	ds_read_b128 v[4:7], v32 offset:8304
	s_waitcnt lgkmcnt(2)
	v_fmac_f64_e32 v[0:1], v[20:21], v[24:25]
	v_add_u32_e32 v28, 0x1000, v3
	v_fmac_f64_e32 v[0:1], v[22:23], v[26:27]
	ds_read2_b64 v[12:15], v28 offset1:32
	ds_read_b128 v[16:19], v32 offset:8320
	s_waitcnt lgkmcnt(2)
	v_fmac_f64_e32 v[0:1], v[8:9], v[4:5]
	v_fmac_f64_e32 v[0:1], v[10:11], v[6:7]
	ds_read2_b64 v[4:7], v28 offset0:64 offset1:96
	ds_read_b128 v[8:11], v32 offset:8336
	ds_read2_b64 v[20:23], v28 offset0:128 offset1:160
	ds_read_b128 v[24:27], v32 offset:8352
	s_waitcnt lgkmcnt(4)
	v_fmac_f64_e32 v[0:1], v[12:13], v[16:17]
	v_fmac_f64_e32 v[0:1], v[14:15], v[18:19]
	s_lshl_b64 s[0:1], s[0:1], 3
	s_waitcnt lgkmcnt(2)
	v_fmac_f64_e32 v[0:1], v[4:5], v[8:9]
	v_fmac_f64_e32 v[0:1], v[6:7], v[10:11]
	ds_read_b128 v[4:7], v32 offset:8368
	ds_read2_b64 v[8:11], v28 offset0:192 offset1:224
	s_waitcnt lgkmcnt(2)
	v_fmac_f64_e32 v[0:1], v[20:21], v[24:25]
	v_add_u32_e32 v20, 0x1800, v3
	ds_read2_b64 v[12:15], v20 offset1:32
	ds_read_b128 v[16:19], v32 offset:8384
	v_fmac_f64_e32 v[0:1], v[22:23], v[26:27]
	s_waitcnt lgkmcnt(2)
	v_fmac_f64_e32 v[0:1], v[8:9], v[4:5]
	v_fmac_f64_e32 v[0:1], v[10:11], v[6:7]
	ds_read_b128 v[4:7], v32 offset:8400
	s_waitcnt lgkmcnt(1)
	v_fmac_f64_e32 v[0:1], v[12:13], v[16:17]
	s_mul_hi_u32 s5, s10, s2
	s_add_u32 s6, s18, s0
	v_fmac_f64_e32 v[0:1], v[14:15], v[18:19]
	ds_read2_b64 v[8:11], v20 offset0:64 offset1:96
	ds_read2_b64 v[12:15], v20 offset0:128 offset1:160
	ds_read_b128 v[16:19], v32 offset:8416
	ds_read2_b64 v[20:23], v20 offset0:192 offset1:224
	ds_read_b128 v[24:27], v32 offset:8432
	s_mul_i32 s11, s11, s2
	s_addc_u32 s7, s19, s1
	s_add_i32 s0, s5, s4
	s_waitcnt lgkmcnt(4)
	v_fmac_f64_e32 v[0:1], v[8:9], v[4:5]
	v_mad_u64_u32 v[4:5], s[4:5], v2, s2, 0
	s_add_i32 s1, s0, s11
	s_mul_i32 s0, s10, s2
	v_fmac_f64_e32 v[0:1], v[10:11], v[6:7]
	v_mov_b32_e32 v6, v5
	s_lshl_b64 s[0:1], s[0:1], 3
	v_mad_u64_u32 v[6:7], s[2:3], v2, s3, v[6:7]
	s_add_u32 s0, s6, s0
	v_mov_b32_e32 v5, v6
	s_addc_u32 s1, s7, s1
	s_waitcnt lgkmcnt(2)
	v_fmac_f64_e32 v[0:1], v[12:13], v[16:17]
	v_lshlrev_b64 v[4:5], 3, v[4:5]
	v_fmac_f64_e32 v[0:1], v[14:15], v[18:19]
	v_mov_b32_e32 v2, s1
	v_add_co_u32_e32 v4, vcc, s0, v4
	s_waitcnt lgkmcnt(0)
	v_fmac_f64_e32 v[0:1], v[20:21], v[24:25]
	v_addc_co_u32_e32 v5, vcc, v2, v5, vcc
	v_fmac_f64_e32 v[0:1], v[22:23], v[26:27]
	v_add_co_u32_e32 v2, vcc, v4, v3
	v_mul_f64 v[0:1], s[24:25], v[0:1]
	v_addc_co_u32_e32 v3, vcc, 0, v5, vcc
	global_store_dwordx2 v[2:3], v[0:1], off
.LBB156_15:
	s_endpgm
	.section	.rodata,"a",@progbits
	.p2align	6, 0x0
	.amdhsa_kernel _ZL23rocblas_trmm_lNx_kernelILi32EdPKdKS1_KPdEv13rocblas_fill_17rocblas_diagonal_iiT1_lPT2_llS9_llPT3_lli
		.amdhsa_group_segment_fixed_size 16384
		.amdhsa_private_segment_fixed_size 0
		.amdhsa_kernarg_size 108
		.amdhsa_user_sgpr_count 6
		.amdhsa_user_sgpr_private_segment_buffer 1
		.amdhsa_user_sgpr_dispatch_ptr 0
		.amdhsa_user_sgpr_queue_ptr 0
		.amdhsa_user_sgpr_kernarg_segment_ptr 1
		.amdhsa_user_sgpr_dispatch_id 0
		.amdhsa_user_sgpr_flat_scratch_init 0
		.amdhsa_user_sgpr_kernarg_preload_length 0
		.amdhsa_user_sgpr_kernarg_preload_offset 0
		.amdhsa_user_sgpr_private_segment_size 0
		.amdhsa_uses_dynamic_stack 0
		.amdhsa_system_sgpr_private_segment_wavefront_offset 0
		.amdhsa_system_sgpr_workgroup_id_x 1
		.amdhsa_system_sgpr_workgroup_id_y 0
		.amdhsa_system_sgpr_workgroup_id_z 1
		.amdhsa_system_sgpr_workgroup_info 0
		.amdhsa_system_vgpr_workitem_id 1
		.amdhsa_next_free_vgpr 33
		.amdhsa_next_free_sgpr 32
		.amdhsa_accum_offset 36
		.amdhsa_reserve_vcc 1
		.amdhsa_reserve_flat_scratch 0
		.amdhsa_float_round_mode_32 0
		.amdhsa_float_round_mode_16_64 0
		.amdhsa_float_denorm_mode_32 3
		.amdhsa_float_denorm_mode_16_64 3
		.amdhsa_dx10_clamp 1
		.amdhsa_ieee_mode 1
		.amdhsa_fp16_overflow 0
		.amdhsa_tg_split 0
		.amdhsa_exception_fp_ieee_invalid_op 0
		.amdhsa_exception_fp_denorm_src 0
		.amdhsa_exception_fp_ieee_div_zero 0
		.amdhsa_exception_fp_ieee_overflow 0
		.amdhsa_exception_fp_ieee_underflow 0
		.amdhsa_exception_fp_ieee_inexact 0
		.amdhsa_exception_int_div_zero 0
	.end_amdhsa_kernel
	.section	.text._ZL23rocblas_trmm_lNx_kernelILi32EdPKdKS1_KPdEv13rocblas_fill_17rocblas_diagonal_iiT1_lPT2_llS9_llPT3_lli,"axG",@progbits,_ZL23rocblas_trmm_lNx_kernelILi32EdPKdKS1_KPdEv13rocblas_fill_17rocblas_diagonal_iiT1_lPT2_llS9_llPT3_lli,comdat
.Lfunc_end156:
	.size	_ZL23rocblas_trmm_lNx_kernelILi32EdPKdKS1_KPdEv13rocblas_fill_17rocblas_diagonal_iiT1_lPT2_llS9_llPT3_lli, .Lfunc_end156-_ZL23rocblas_trmm_lNx_kernelILi32EdPKdKS1_KPdEv13rocblas_fill_17rocblas_diagonal_iiT1_lPT2_llS9_llPT3_lli
                                        ; -- End function
	.section	.AMDGPU.csdata,"",@progbits
; Kernel info:
; codeLenInByte = 1268
; NumSgprs: 36
; NumVgprs: 33
; NumAgprs: 0
; TotalNumVgprs: 33
; ScratchSize: 0
; MemoryBound: 0
; FloatMode: 240
; IeeeMode: 1
; LDSByteSize: 16384 bytes/workgroup (compile time only)
; SGPRBlocks: 4
; VGPRBlocks: 4
; NumSGPRsForWavesPerEU: 36
; NumVGPRsForWavesPerEU: 33
; AccumOffset: 36
; Occupancy: 8
; WaveLimiterHint : 1
; COMPUTE_PGM_RSRC2:SCRATCH_EN: 0
; COMPUTE_PGM_RSRC2:USER_SGPR: 6
; COMPUTE_PGM_RSRC2:TRAP_HANDLER: 0
; COMPUTE_PGM_RSRC2:TGID_X_EN: 1
; COMPUTE_PGM_RSRC2:TGID_Y_EN: 0
; COMPUTE_PGM_RSRC2:TGID_Z_EN: 1
; COMPUTE_PGM_RSRC2:TIDIG_COMP_CNT: 1
; COMPUTE_PGM_RSRC3_GFX90A:ACCUM_OFFSET: 8
; COMPUTE_PGM_RSRC3_GFX90A:TG_SPLIT: 0
	.section	.text._ZL23rocblas_trmm_lNx_kernelILi32EddKPKdKPdEv13rocblas_fill_17rocblas_diagonal_iiT1_lPT2_llS9_llPT3_lli,"axG",@progbits,_ZL23rocblas_trmm_lNx_kernelILi32EddKPKdKPdEv13rocblas_fill_17rocblas_diagonal_iiT1_lPT2_llS9_llPT3_lli,comdat
	.globl	_ZL23rocblas_trmm_lNx_kernelILi32EddKPKdKPdEv13rocblas_fill_17rocblas_diagonal_iiT1_lPT2_llS9_llPT3_lli ; -- Begin function _ZL23rocblas_trmm_lNx_kernelILi32EddKPKdKPdEv13rocblas_fill_17rocblas_diagonal_iiT1_lPT2_llS9_llPT3_lli
	.p2align	8
	.type	_ZL23rocblas_trmm_lNx_kernelILi32EddKPKdKPdEv13rocblas_fill_17rocblas_diagonal_iiT1_lPT2_llS9_llPT3_lli,@function
_ZL23rocblas_trmm_lNx_kernelILi32EddKPKdKPdEv13rocblas_fill_17rocblas_diagonal_iiT1_lPT2_llS9_llPT3_lli: ; @_ZL23rocblas_trmm_lNx_kernelILi32EddKPKdKPdEv13rocblas_fill_17rocblas_diagonal_iiT1_lPT2_llS9_llPT3_lli
; %bb.0:
	s_load_dwordx2 s[2:3], s[4:5], 0x10
	s_waitcnt lgkmcnt(0)
	v_cmp_eq_f64_e64 s[8:9], s[2:3], 0
	s_and_b64 vcc, exec, s[8:9]
	s_cbranch_vccnz .LBB157_15
; %bb.1:
	s_load_dwordx4 s[24:27], s[4:5], 0x0
	s_load_dwordx16 s[8:23], s[4:5], 0x20
	s_mov_b32 s0, s7
	s_mov_b32 s1, 0
	s_lshl_b64 s[30:31], s[0:1], 3
	v_and_b32_e32 v4, 0x3ff, v0
	s_waitcnt lgkmcnt(0)
	s_add_u32 s14, s14, s30
	s_addc_u32 s15, s15, s31
	s_load_dwordx2 s[28:29], s[14:15], 0x0
	s_add_u32 s14, s20, s30
	s_addc_u32 s15, s21, s31
	s_load_dwordx2 s[14:15], s[14:15], 0x0
	v_bfe_u32 v2, v0, 10, 10
	s_mov_b32 s0, s1
	v_lshlrev_b32_e32 v0, 5, v2
	v_pk_mov_b32 v[6:7], s[0:1], s[0:1] op_sel:[0,1]
	v_cmp_gt_i32_e64 s[0:1], s26, v2
	v_cmp_gt_i32_e32 vcc, s26, v4
	v_add_lshl_u32 v1, v0, v4, 3
	s_and_b64 s[0:1], s[0:1], vcc
	v_lshlrev_b32_e32 v3, 3, v4
	ds_write2st64_b64 v1, v[6:7], v[6:7] offset1:16
	s_and_saveexec_b64 s[20:21], s[0:1]
	s_cbranch_execz .LBB157_3
; %bb.2:
	s_add_u32 s0, s8, s30
	s_addc_u32 s1, s9, s31
	s_load_dwordx2 s[0:1], s[0:1], 0x0
	v_mad_u64_u32 v[6:7], s[8:9], v2, s10, 0
	s_lshl_b64 s[8:9], s[12:13], 3
	v_mov_b32_e32 v8, v7
	s_waitcnt lgkmcnt(0)
	s_add_u32 s7, s0, s8
	s_addc_u32 s8, s1, s9
	v_mad_u64_u32 v[8:9], s[0:1], v2, s11, v[8:9]
	v_mov_b32_e32 v7, v8
	v_lshlrev_b64 v[6:7], 3, v[6:7]
	v_mov_b32_e32 v5, s8
	v_add_co_u32_e64 v6, s[0:1], s7, v6
	v_addc_co_u32_e64 v5, s[0:1], v5, v7, s[0:1]
	v_add_co_u32_e64 v6, s[0:1], v6, v3
	v_addc_co_u32_e64 v7, s[0:1], 0, v5, s[0:1]
	global_load_dwordx2 v[6:7], v[6:7], off
	s_waitcnt vmcnt(0)
	ds_write_b64 v1, v[6:7]
.LBB157_3:
	s_or_b64 exec, exec, s[20:21]
	s_add_i32 s0, s27, -1
	s_ashr_i32 s1, s0, 31
	s_lshr_b32 s1, s1, 27
	s_add_i32 s0, s0, s1
	s_ashr_i32 s1, s0, 5
	s_andn2_b32 s0, s0, 31
	s_sub_i32 s0, s27, s0
	s_cmp_ge_i32 s6, s1
	s_cselect_b32 s0, s0, 32
	s_lshl_b32 s10, s6, 5
	v_cmp_gt_i32_e64 s[0:1], s0, v2
	s_ashr_i32 s11, s10, 31
	s_and_b64 s[0:1], vcc, s[0:1]
	s_and_saveexec_b64 s[6:7], s[0:1]
	s_cbranch_execz .LBB157_5
; %bb.4:
	s_lshl_b64 s[8:9], s[18:19], 3
	s_waitcnt lgkmcnt(0)
	s_add_u32 s12, s28, s8
	s_addc_u32 s13, s29, s9
	s_mul_i32 s8, s10, s17
	s_mul_hi_u32 s9, s10, s16
	s_add_i32 s8, s9, s8
	s_mul_i32 s9, s11, s16
	s_add_i32 s9, s8, s9
	s_mul_i32 s8, s10, s16
	s_lshl_b64 s[8:9], s[8:9], 3
	s_add_u32 s12, s12, s8
	s_addc_u32 s13, s13, s9
	v_mad_u64_u32 v[6:7], s[8:9], v2, s16, 0
	v_mov_b32_e32 v8, v7
	v_mad_u64_u32 v[8:9], s[8:9], v2, s17, v[8:9]
	v_mov_b32_e32 v7, v8
	v_lshlrev_b64 v[6:7], 3, v[6:7]
	v_mov_b32_e32 v5, s13
	v_add_co_u32_e32 v6, vcc, s12, v6
	v_addc_co_u32_e32 v5, vcc, v5, v7, vcc
	v_add_co_u32_e32 v6, vcc, v6, v3
	v_addc_co_u32_e32 v7, vcc, 0, v5, vcc
	global_load_dwordx2 v[6:7], v[6:7], off
	v_add_u32_e32 v5, 0x2000, v1
	s_waitcnt vmcnt(0)
	ds_write_b64 v5, v[6:7]
.LBB157_5:
	s_or_b64 exec, exec, s[6:7]
	s_cmpk_eq_i32 s25, 0x84
	s_cselect_b64 s[6:7], -1, 0
	v_cmp_eq_u32_e32 vcc, v2, v4
	s_and_b64 s[8:9], vcc, s[6:7]
	s_and_saveexec_b64 s[6:7], s[8:9]
	s_cbranch_execz .LBB157_7
; %bb.6:
	v_mov_b32_e32 v6, 0
	v_mov_b32_e32 v7, 0x3ff00000
	ds_write_b64 v1, v[6:7]
.LBB157_7:
	s_or_b64 exec, exec, s[6:7]
	s_cmpk_lg_i32 s24, 0x79
	s_cbranch_scc0 .LBB157_9
; %bb.8:
	v_cmp_lt_u32_e32 vcc, v4, v2
	s_and_b64 s[6:7], vcc, exec
	s_cbranch_execz .LBB157_10
	s_branch .LBB157_11
.LBB157_9:
	s_mov_b64 s[6:7], 0
.LBB157_10:
	v_cmp_gt_u32_e32 vcc, v4, v2
	s_andn2_b64 s[6:7], s[6:7], exec
	s_and_b64 s[8:9], vcc, exec
	s_or_b64 s[6:7], s[6:7], s[8:9]
.LBB157_11:
	s_and_saveexec_b64 s[8:9], s[6:7]
	s_cbranch_execz .LBB157_13
; %bb.12:
	v_mov_b32_e32 v4, 0
	v_mov_b32_e32 v5, v4
	ds_write_b64 v1, v[4:5]
.LBB157_13:
	s_or_b64 exec, exec, s[8:9]
	s_waitcnt lgkmcnt(0)
	s_barrier
	s_and_saveexec_b64 s[6:7], s[0:1]
	s_cbranch_execz .LBB157_15
; %bb.14:
	ds_read2_b64 v[4:7], v3 offset1:32
	v_lshlrev_b32_e32 v32, 3, v0
	ds_read_b128 v[8:11], v32 offset:8192
	ds_read_b128 v[12:15], v32 offset:8208
	ds_read2_b64 v[16:19], v3 offset0:64 offset1:96
	ds_read_b128 v[20:23], v32 offset:8224
	ds_read_b128 v[24:27], v32 offset:8240
	ds_read2_b64 v[28:31], v3 offset0:128 offset1:160
	s_load_dwordx2 s[0:1], s[4:5], 0x60
	s_mul_i32 s4, s10, s23
	s_waitcnt lgkmcnt(0)
	v_fma_f64 v[0:1], v[4:5], v[8:9], 0
	v_fmac_f64_e32 v[0:1], v[6:7], v[10:11]
	ds_read2_b64 v[4:7], v3 offset0:192 offset1:224
	v_fmac_f64_e32 v[0:1], v[16:17], v[12:13]
	v_fmac_f64_e32 v[0:1], v[18:19], v[14:15]
	;; [unrolled: 1-line block ×3, first 2 shown]
	v_add_u32_e32 v28, 0x800, v3
	v_fmac_f64_e32 v[0:1], v[30:31], v[22:23]
	ds_read2_b64 v[8:11], v28 offset1:32
	ds_read_b128 v[12:15], v32 offset:8256
	s_waitcnt lgkmcnt(2)
	v_fmac_f64_e32 v[0:1], v[4:5], v[24:25]
	v_fmac_f64_e32 v[0:1], v[6:7], v[26:27]
	ds_read2_b64 v[4:7], v28 offset0:64 offset1:96
	ds_read_b128 v[16:19], v32 offset:8272
	ds_read2_b64 v[20:23], v28 offset0:128 offset1:160
	ds_read_b128 v[24:27], v32 offset:8288
	s_waitcnt lgkmcnt(4)
	v_fmac_f64_e32 v[0:1], v[8:9], v[12:13]
	v_fmac_f64_e32 v[0:1], v[10:11], v[14:15]
	ds_read2_b64 v[8:11], v28 offset0:192 offset1:224
	s_waitcnt lgkmcnt(3)
	v_fmac_f64_e32 v[0:1], v[4:5], v[16:17]
	v_fmac_f64_e32 v[0:1], v[6:7], v[18:19]
	ds_read_b128 v[4:7], v32 offset:8304
	s_waitcnt lgkmcnt(2)
	v_fmac_f64_e32 v[0:1], v[20:21], v[24:25]
	v_add_u32_e32 v28, 0x1000, v3
	v_fmac_f64_e32 v[0:1], v[22:23], v[26:27]
	ds_read2_b64 v[12:15], v28 offset1:32
	ds_read_b128 v[16:19], v32 offset:8320
	s_waitcnt lgkmcnt(2)
	v_fmac_f64_e32 v[0:1], v[8:9], v[4:5]
	v_fmac_f64_e32 v[0:1], v[10:11], v[6:7]
	ds_read2_b64 v[4:7], v28 offset0:64 offset1:96
	ds_read_b128 v[8:11], v32 offset:8336
	ds_read2_b64 v[20:23], v28 offset0:128 offset1:160
	ds_read_b128 v[24:27], v32 offset:8352
	s_waitcnt lgkmcnt(4)
	v_fmac_f64_e32 v[0:1], v[12:13], v[16:17]
	v_fmac_f64_e32 v[0:1], v[14:15], v[18:19]
	s_lshl_b64 s[0:1], s[0:1], 3
	s_waitcnt lgkmcnt(2)
	v_fmac_f64_e32 v[0:1], v[4:5], v[8:9]
	v_fmac_f64_e32 v[0:1], v[6:7], v[10:11]
	ds_read_b128 v[4:7], v32 offset:8368
	ds_read2_b64 v[8:11], v28 offset0:192 offset1:224
	s_waitcnt lgkmcnt(2)
	v_fmac_f64_e32 v[0:1], v[20:21], v[24:25]
	v_add_u32_e32 v20, 0x1800, v3
	ds_read2_b64 v[12:15], v20 offset1:32
	ds_read_b128 v[16:19], v32 offset:8384
	v_fmac_f64_e32 v[0:1], v[22:23], v[26:27]
	s_waitcnt lgkmcnt(2)
	v_fmac_f64_e32 v[0:1], v[8:9], v[4:5]
	v_fmac_f64_e32 v[0:1], v[10:11], v[6:7]
	ds_read_b128 v[4:7], v32 offset:8400
	s_waitcnt lgkmcnt(1)
	v_fmac_f64_e32 v[0:1], v[12:13], v[16:17]
	v_fmac_f64_e32 v[0:1], v[14:15], v[18:19]
	ds_read2_b64 v[8:11], v20 offset0:64 offset1:96
	ds_read2_b64 v[12:15], v20 offset0:128 offset1:160
	ds_read_b128 v[16:19], v32 offset:8416
	ds_read2_b64 v[20:23], v20 offset0:192 offset1:224
	ds_read_b128 v[24:27], v32 offset:8432
	s_mul_hi_u32 s5, s10, s22
	s_waitcnt lgkmcnt(4)
	v_fmac_f64_e32 v[0:1], v[8:9], v[4:5]
	v_fmac_f64_e32 v[0:1], v[10:11], v[6:7]
	s_waitcnt lgkmcnt(2)
	v_fmac_f64_e32 v[0:1], v[12:13], v[16:17]
	v_fmac_f64_e32 v[0:1], v[14:15], v[18:19]
	s_waitcnt lgkmcnt(0)
	v_fmac_f64_e32 v[0:1], v[20:21], v[24:25]
	s_add_u32 s6, s14, s0
	v_fmac_f64_e32 v[0:1], v[22:23], v[26:27]
	s_mul_i32 s11, s11, s22
	s_addc_u32 s7, s15, s1
	s_add_i32 s0, s5, s4
	v_mul_f64 v[0:1], v[0:1], s[2:3]
	v_mad_u64_u32 v[4:5], s[2:3], v2, s22, 0
	s_add_i32 s1, s0, s11
	s_mul_i32 s0, s10, s22
	v_mov_b32_e32 v6, v5
	s_lshl_b64 s[0:1], s[0:1], 3
	v_mad_u64_u32 v[6:7], s[2:3], v2, s23, v[6:7]
	s_add_u32 s0, s6, s0
	v_mov_b32_e32 v5, v6
	s_addc_u32 s1, s7, s1
	v_lshlrev_b64 v[4:5], 3, v[4:5]
	v_mov_b32_e32 v2, s1
	v_add_co_u32_e32 v4, vcc, s0, v4
	v_addc_co_u32_e32 v5, vcc, v2, v5, vcc
	v_add_co_u32_e32 v2, vcc, v4, v3
	v_addc_co_u32_e32 v3, vcc, 0, v5, vcc
	global_store_dwordx2 v[2:3], v[0:1], off
.LBB157_15:
	s_endpgm
	.section	.rodata,"a",@progbits
	.p2align	6, 0x0
	.amdhsa_kernel _ZL23rocblas_trmm_lNx_kernelILi32EddKPKdKPdEv13rocblas_fill_17rocblas_diagonal_iiT1_lPT2_llS9_llPT3_lli
		.amdhsa_group_segment_fixed_size 16384
		.amdhsa_private_segment_fixed_size 0
		.amdhsa_kernarg_size 108
		.amdhsa_user_sgpr_count 6
		.amdhsa_user_sgpr_private_segment_buffer 1
		.amdhsa_user_sgpr_dispatch_ptr 0
		.amdhsa_user_sgpr_queue_ptr 0
		.amdhsa_user_sgpr_kernarg_segment_ptr 1
		.amdhsa_user_sgpr_dispatch_id 0
		.amdhsa_user_sgpr_flat_scratch_init 0
		.amdhsa_user_sgpr_kernarg_preload_length 0
		.amdhsa_user_sgpr_kernarg_preload_offset 0
		.amdhsa_user_sgpr_private_segment_size 0
		.amdhsa_uses_dynamic_stack 0
		.amdhsa_system_sgpr_private_segment_wavefront_offset 0
		.amdhsa_system_sgpr_workgroup_id_x 1
		.amdhsa_system_sgpr_workgroup_id_y 0
		.amdhsa_system_sgpr_workgroup_id_z 1
		.amdhsa_system_sgpr_workgroup_info 0
		.amdhsa_system_vgpr_workitem_id 1
		.amdhsa_next_free_vgpr 33
		.amdhsa_next_free_sgpr 32
		.amdhsa_accum_offset 36
		.amdhsa_reserve_vcc 1
		.amdhsa_reserve_flat_scratch 0
		.amdhsa_float_round_mode_32 0
		.amdhsa_float_round_mode_16_64 0
		.amdhsa_float_denorm_mode_32 3
		.amdhsa_float_denorm_mode_16_64 3
		.amdhsa_dx10_clamp 1
		.amdhsa_ieee_mode 1
		.amdhsa_fp16_overflow 0
		.amdhsa_tg_split 0
		.amdhsa_exception_fp_ieee_invalid_op 0
		.amdhsa_exception_fp_denorm_src 0
		.amdhsa_exception_fp_ieee_div_zero 0
		.amdhsa_exception_fp_ieee_overflow 0
		.amdhsa_exception_fp_ieee_underflow 0
		.amdhsa_exception_fp_ieee_inexact 0
		.amdhsa_exception_int_div_zero 0
	.end_amdhsa_kernel
	.section	.text._ZL23rocblas_trmm_lNx_kernelILi32EddKPKdKPdEv13rocblas_fill_17rocblas_diagonal_iiT1_lPT2_llS9_llPT3_lli,"axG",@progbits,_ZL23rocblas_trmm_lNx_kernelILi32EddKPKdKPdEv13rocblas_fill_17rocblas_diagonal_iiT1_lPT2_llS9_llPT3_lli,comdat
.Lfunc_end157:
	.size	_ZL23rocblas_trmm_lNx_kernelILi32EddKPKdKPdEv13rocblas_fill_17rocblas_diagonal_iiT1_lPT2_llS9_llPT3_lli, .Lfunc_end157-_ZL23rocblas_trmm_lNx_kernelILi32EddKPKdKPdEv13rocblas_fill_17rocblas_diagonal_iiT1_lPT2_llS9_llPT3_lli
                                        ; -- End function
	.section	.AMDGPU.csdata,"",@progbits
; Kernel info:
; codeLenInByte = 1228
; NumSgprs: 36
; NumVgprs: 33
; NumAgprs: 0
; TotalNumVgprs: 33
; ScratchSize: 0
; MemoryBound: 0
; FloatMode: 240
; IeeeMode: 1
; LDSByteSize: 16384 bytes/workgroup (compile time only)
; SGPRBlocks: 4
; VGPRBlocks: 4
; NumSGPRsForWavesPerEU: 36
; NumVGPRsForWavesPerEU: 33
; AccumOffset: 36
; Occupancy: 8
; WaveLimiterHint : 1
; COMPUTE_PGM_RSRC2:SCRATCH_EN: 0
; COMPUTE_PGM_RSRC2:USER_SGPR: 6
; COMPUTE_PGM_RSRC2:TRAP_HANDLER: 0
; COMPUTE_PGM_RSRC2:TGID_X_EN: 1
; COMPUTE_PGM_RSRC2:TGID_Y_EN: 0
; COMPUTE_PGM_RSRC2:TGID_Z_EN: 1
; COMPUTE_PGM_RSRC2:TIDIG_COMP_CNT: 1
; COMPUTE_PGM_RSRC3_GFX90A:ACCUM_OFFSET: 8
; COMPUTE_PGM_RSRC3_GFX90A:TG_SPLIT: 0
	.section	.text._ZL23rocblas_trmm_lTx_kernelILi32ELb0EdPKdKS1_KPdEv13rocblas_fill_17rocblas_diagonal_iiT2_lPT3_llS9_llPT4_lli,"axG",@progbits,_ZL23rocblas_trmm_lTx_kernelILi32ELb0EdPKdKS1_KPdEv13rocblas_fill_17rocblas_diagonal_iiT2_lPT3_llS9_llPT4_lli,comdat
	.globl	_ZL23rocblas_trmm_lTx_kernelILi32ELb0EdPKdKS1_KPdEv13rocblas_fill_17rocblas_diagonal_iiT2_lPT3_llS9_llPT4_lli ; -- Begin function _ZL23rocblas_trmm_lTx_kernelILi32ELb0EdPKdKS1_KPdEv13rocblas_fill_17rocblas_diagonal_iiT2_lPT3_llS9_llPT4_lli
	.p2align	8
	.type	_ZL23rocblas_trmm_lTx_kernelILi32ELb0EdPKdKS1_KPdEv13rocblas_fill_17rocblas_diagonal_iiT2_lPT3_llS9_llPT4_lli,@function
_ZL23rocblas_trmm_lTx_kernelILi32ELb0EdPKdKS1_KPdEv13rocblas_fill_17rocblas_diagonal_iiT2_lPT3_llS9_llPT4_lli: ; @_ZL23rocblas_trmm_lTx_kernelILi32ELb0EdPKdKS1_KPdEv13rocblas_fill_17rocblas_diagonal_iiT2_lPT3_llS9_llPT4_lli
; %bb.0:
	s_load_dwordx16 s[8:23], s[4:5], 0x10
	s_waitcnt lgkmcnt(0)
	s_mul_i32 s0, s7, s11
	s_mul_hi_u32 s1, s7, s10
	s_add_i32 s1, s1, s0
	s_mul_i32 s0, s7, s10
	s_lshl_b64 s[0:1], s[0:1], 3
	s_add_u32 s0, s8, s0
	s_addc_u32 s1, s9, s1
	s_load_dwordx2 s[24:25], s[0:1], 0x0
	s_waitcnt lgkmcnt(0)
	v_cmp_eq_f64_e64 s[0:1], s[24:25], 0
	s_and_b64 vcc, exec, s[0:1]
	s_cbranch_vccnz .LBB158_15
; %bb.1:
	s_mov_b32 s26, s7
	s_mov_b32 s27, 0
	s_load_dwordx4 s[8:11], s[4:5], 0x0
	s_load_dwordx4 s[0:3], s[4:5], 0x50
	s_lshl_b64 s[30:31], s[26:27], 3
	s_add_u32 s12, s12, s30
	s_addc_u32 s13, s13, s31
	s_load_dwordx2 s[28:29], s[12:13], 0x0
	s_add_u32 s12, s18, s30
	s_addc_u32 s13, s19, s31
	s_waitcnt lgkmcnt(0)
	s_add_u32 s0, s0, s30
	s_addc_u32 s1, s1, s31
	s_load_dwordx2 s[18:19], s[12:13], 0x0
	v_and_b32_e32 v4, 0x3ff, v0
	s_load_dwordx2 s[12:13], s[0:1], 0x0
	v_bfe_u32 v2, v0, 10, 10
	v_lshlrev_b32_e32 v0, 5, v2
	s_mov_b32 s26, s27
	v_cmp_gt_i32_e64 s[0:1], s10, v2
	v_cmp_gt_i32_e32 vcc, s10, v4
	v_add_lshl_u32 v1, v0, v4, 3
	v_pk_mov_b32 v[6:7], s[26:27], s[26:27] op_sel:[0,1]
	s_and_b64 s[0:1], s[0:1], vcc
	v_lshlrev_b32_e32 v3, 3, v4
	ds_write2st64_b64 v1, v[6:7], v[6:7] offset1:16
	s_waitcnt lgkmcnt(0)
	s_barrier
	s_and_saveexec_b64 s[26:27], s[0:1]
	s_cbranch_execz .LBB158_3
; %bb.2:
	s_lshl_b64 s[0:1], s[16:17], 3
	s_add_u32 s7, s28, s0
	s_addc_u32 s10, s29, s1
	v_mad_u64_u32 v[6:7], s[0:1], v2, s14, 0
	v_mov_b32_e32 v8, v7
	v_mad_u64_u32 v[8:9], s[0:1], v2, s15, v[8:9]
	v_mov_b32_e32 v7, v8
	v_lshlrev_b64 v[6:7], 3, v[6:7]
	v_mov_b32_e32 v5, s10
	v_add_co_u32_e64 v6, s[0:1], s7, v6
	v_addc_co_u32_e64 v5, s[0:1], v5, v7, s[0:1]
	v_add_co_u32_e64 v6, s[0:1], v6, v3
	v_addc_co_u32_e64 v7, s[0:1], 0, v5, s[0:1]
	global_load_dwordx2 v[6:7], v[6:7], off
	v_lshlrev_b32_e32 v5, 5, v4
	v_add_lshl_u32 v5, v5, v2, 3
	s_waitcnt vmcnt(0)
	ds_write_b64 v5, v[6:7]
.LBB158_3:
	s_or_b64 exec, exec, s[26:27]
	s_add_i32 s0, s11, -1
	s_ashr_i32 s1, s0, 31
	s_lshr_b32 s1, s1, 27
	s_add_i32 s0, s0, s1
	s_ashr_i32 s1, s0, 5
	s_andn2_b32 s0, s0, 31
	s_sub_i32 s0, s11, s0
	s_cmp_ge_i32 s6, s1
	s_cselect_b32 s0, s0, 32
	s_lshl_b32 s10, s6, 5
	v_cmp_gt_i32_e64 s[0:1], s0, v2
	s_ashr_i32 s11, s10, 31
	s_and_b64 s[0:1], vcc, s[0:1]
	s_and_saveexec_b64 s[6:7], s[0:1]
	s_cbranch_execz .LBB158_5
; %bb.4:
	s_lshl_b64 s[14:15], s[22:23], 3
	s_add_u32 s16, s18, s14
	s_addc_u32 s17, s19, s15
	s_mul_i32 s14, s10, s21
	s_mul_hi_u32 s15, s10, s20
	s_add_i32 s14, s15, s14
	s_mul_i32 s15, s11, s20
	s_add_i32 s15, s14, s15
	s_mul_i32 s14, s10, s20
	s_lshl_b64 s[14:15], s[14:15], 3
	s_add_u32 s16, s16, s14
	s_addc_u32 s17, s17, s15
	v_mad_u64_u32 v[6:7], s[14:15], v2, s20, 0
	v_mov_b32_e32 v8, v7
	v_mad_u64_u32 v[8:9], s[14:15], v2, s21, v[8:9]
	v_mov_b32_e32 v7, v8
	v_lshlrev_b64 v[6:7], 3, v[6:7]
	v_mov_b32_e32 v5, s17
	v_add_co_u32_e32 v6, vcc, s16, v6
	v_addc_co_u32_e32 v5, vcc, v5, v7, vcc
	v_add_co_u32_e32 v6, vcc, v6, v3
	v_addc_co_u32_e32 v7, vcc, 0, v5, vcc
	global_load_dwordx2 v[6:7], v[6:7], off
	v_add_u32_e32 v5, 0x2000, v1
	s_waitcnt vmcnt(0)
	ds_write_b64 v5, v[6:7]
.LBB158_5:
	s_or_b64 exec, exec, s[6:7]
	s_cmpk_eq_i32 s9, 0x84
	s_cselect_b64 s[6:7], -1, 0
	v_cmp_eq_u32_e32 vcc, v2, v4
	s_and_b64 s[14:15], vcc, s[6:7]
	s_and_saveexec_b64 s[6:7], s[14:15]
	s_cbranch_execz .LBB158_7
; %bb.6:
	v_mov_b32_e32 v6, 0
	v_mov_b32_e32 v7, 0x3ff00000
	ds_write_b64 v1, v[6:7]
.LBB158_7:
	s_or_b64 exec, exec, s[6:7]
	s_cmpk_lg_i32 s8, 0x7a
	s_waitcnt lgkmcnt(0)
	s_barrier
	s_cbranch_scc0 .LBB158_9
; %bb.8:
	v_cmp_lt_u32_e32 vcc, v4, v2
	s_and_b64 s[6:7], vcc, exec
	s_cbranch_execz .LBB158_10
	s_branch .LBB158_11
.LBB158_9:
	s_mov_b64 s[6:7], 0
.LBB158_10:
	v_cmp_gt_u32_e32 vcc, v4, v2
	s_andn2_b64 s[6:7], s[6:7], exec
	s_and_b64 s[8:9], vcc, exec
	s_or_b64 s[6:7], s[6:7], s[8:9]
.LBB158_11:
	s_and_saveexec_b64 s[8:9], s[6:7]
	s_cbranch_execz .LBB158_13
; %bb.12:
	v_mov_b32_e32 v4, 0
	v_mov_b32_e32 v5, v4
	ds_write_b64 v1, v[4:5]
.LBB158_13:
	s_or_b64 exec, exec, s[8:9]
	s_waitcnt lgkmcnt(0)
	s_barrier
	s_and_saveexec_b64 s[6:7], s[0:1]
	s_cbranch_execz .LBB158_15
; %bb.14:
	ds_read2_b64 v[4:7], v3 offset1:32
	v_lshlrev_b32_e32 v32, 3, v0
	ds_read_b128 v[8:11], v32 offset:8192
	ds_read_b128 v[12:15], v32 offset:8208
	ds_read2_b64 v[16:19], v3 offset0:64 offset1:96
	ds_read_b128 v[20:23], v32 offset:8224
	ds_read_b128 v[24:27], v32 offset:8240
	ds_read2_b64 v[28:31], v3 offset0:128 offset1:160
	s_load_dwordx2 s[0:1], s[4:5], 0x60
	s_mul_i32 s4, s10, s3
	s_waitcnt lgkmcnt(0)
	v_fma_f64 v[0:1], v[4:5], v[8:9], 0
	v_fmac_f64_e32 v[0:1], v[6:7], v[10:11]
	ds_read2_b64 v[4:7], v3 offset0:192 offset1:224
	v_fmac_f64_e32 v[0:1], v[16:17], v[12:13]
	v_fmac_f64_e32 v[0:1], v[18:19], v[14:15]
	;; [unrolled: 1-line block ×3, first 2 shown]
	v_add_u32_e32 v28, 0x800, v3
	v_fmac_f64_e32 v[0:1], v[30:31], v[22:23]
	ds_read2_b64 v[8:11], v28 offset1:32
	ds_read_b128 v[12:15], v32 offset:8256
	s_waitcnt lgkmcnt(2)
	v_fmac_f64_e32 v[0:1], v[4:5], v[24:25]
	v_fmac_f64_e32 v[0:1], v[6:7], v[26:27]
	ds_read2_b64 v[4:7], v28 offset0:64 offset1:96
	ds_read_b128 v[16:19], v32 offset:8272
	ds_read2_b64 v[20:23], v28 offset0:128 offset1:160
	ds_read_b128 v[24:27], v32 offset:8288
	s_waitcnt lgkmcnt(4)
	v_fmac_f64_e32 v[0:1], v[8:9], v[12:13]
	v_fmac_f64_e32 v[0:1], v[10:11], v[14:15]
	ds_read2_b64 v[8:11], v28 offset0:192 offset1:224
	s_waitcnt lgkmcnt(3)
	v_fmac_f64_e32 v[0:1], v[4:5], v[16:17]
	v_fmac_f64_e32 v[0:1], v[6:7], v[18:19]
	ds_read_b128 v[4:7], v32 offset:8304
	s_waitcnt lgkmcnt(2)
	v_fmac_f64_e32 v[0:1], v[20:21], v[24:25]
	v_add_u32_e32 v28, 0x1000, v3
	v_fmac_f64_e32 v[0:1], v[22:23], v[26:27]
	ds_read2_b64 v[12:15], v28 offset1:32
	ds_read_b128 v[16:19], v32 offset:8320
	s_waitcnt lgkmcnt(2)
	v_fmac_f64_e32 v[0:1], v[8:9], v[4:5]
	v_fmac_f64_e32 v[0:1], v[10:11], v[6:7]
	ds_read2_b64 v[4:7], v28 offset0:64 offset1:96
	ds_read_b128 v[8:11], v32 offset:8336
	ds_read2_b64 v[20:23], v28 offset0:128 offset1:160
	ds_read_b128 v[24:27], v32 offset:8352
	s_waitcnt lgkmcnt(4)
	v_fmac_f64_e32 v[0:1], v[12:13], v[16:17]
	v_fmac_f64_e32 v[0:1], v[14:15], v[18:19]
	s_lshl_b64 s[0:1], s[0:1], 3
	s_waitcnt lgkmcnt(2)
	v_fmac_f64_e32 v[0:1], v[4:5], v[8:9]
	v_fmac_f64_e32 v[0:1], v[6:7], v[10:11]
	ds_read_b128 v[4:7], v32 offset:8368
	ds_read2_b64 v[8:11], v28 offset0:192 offset1:224
	s_waitcnt lgkmcnt(2)
	v_fmac_f64_e32 v[0:1], v[20:21], v[24:25]
	v_add_u32_e32 v20, 0x1800, v3
	ds_read2_b64 v[12:15], v20 offset1:32
	ds_read_b128 v[16:19], v32 offset:8384
	v_fmac_f64_e32 v[0:1], v[22:23], v[26:27]
	s_waitcnt lgkmcnt(2)
	v_fmac_f64_e32 v[0:1], v[8:9], v[4:5]
	v_fmac_f64_e32 v[0:1], v[10:11], v[6:7]
	ds_read_b128 v[4:7], v32 offset:8400
	s_waitcnt lgkmcnt(1)
	v_fmac_f64_e32 v[0:1], v[12:13], v[16:17]
	s_mul_hi_u32 s5, s10, s2
	s_add_u32 s6, s12, s0
	v_fmac_f64_e32 v[0:1], v[14:15], v[18:19]
	ds_read2_b64 v[8:11], v20 offset0:64 offset1:96
	ds_read2_b64 v[12:15], v20 offset0:128 offset1:160
	ds_read_b128 v[16:19], v32 offset:8416
	ds_read2_b64 v[20:23], v20 offset0:192 offset1:224
	ds_read_b128 v[24:27], v32 offset:8432
	s_mul_i32 s11, s11, s2
	s_addc_u32 s7, s13, s1
	s_add_i32 s0, s5, s4
	s_waitcnt lgkmcnt(4)
	v_fmac_f64_e32 v[0:1], v[8:9], v[4:5]
	v_mad_u64_u32 v[4:5], s[4:5], v2, s2, 0
	s_add_i32 s1, s0, s11
	s_mul_i32 s0, s10, s2
	v_fmac_f64_e32 v[0:1], v[10:11], v[6:7]
	v_mov_b32_e32 v6, v5
	s_lshl_b64 s[0:1], s[0:1], 3
	v_mad_u64_u32 v[6:7], s[2:3], v2, s3, v[6:7]
	s_add_u32 s0, s6, s0
	v_mov_b32_e32 v5, v6
	s_addc_u32 s1, s7, s1
	s_waitcnt lgkmcnt(2)
	v_fmac_f64_e32 v[0:1], v[12:13], v[16:17]
	v_lshlrev_b64 v[4:5], 3, v[4:5]
	v_fmac_f64_e32 v[0:1], v[14:15], v[18:19]
	v_mov_b32_e32 v2, s1
	v_add_co_u32_e32 v4, vcc, s0, v4
	s_waitcnt lgkmcnt(0)
	v_fmac_f64_e32 v[0:1], v[20:21], v[24:25]
	v_addc_co_u32_e32 v5, vcc, v2, v5, vcc
	v_fmac_f64_e32 v[0:1], v[22:23], v[26:27]
	v_add_co_u32_e32 v2, vcc, v4, v3
	v_mul_f64 v[0:1], s[24:25], v[0:1]
	v_addc_co_u32_e32 v3, vcc, 0, v5, vcc
	global_store_dwordx2 v[2:3], v[0:1], off
.LBB158_15:
	s_endpgm
	.section	.rodata,"a",@progbits
	.p2align	6, 0x0
	.amdhsa_kernel _ZL23rocblas_trmm_lTx_kernelILi32ELb0EdPKdKS1_KPdEv13rocblas_fill_17rocblas_diagonal_iiT2_lPT3_llS9_llPT4_lli
		.amdhsa_group_segment_fixed_size 16384
		.amdhsa_private_segment_fixed_size 0
		.amdhsa_kernarg_size 108
		.amdhsa_user_sgpr_count 6
		.amdhsa_user_sgpr_private_segment_buffer 1
		.amdhsa_user_sgpr_dispatch_ptr 0
		.amdhsa_user_sgpr_queue_ptr 0
		.amdhsa_user_sgpr_kernarg_segment_ptr 1
		.amdhsa_user_sgpr_dispatch_id 0
		.amdhsa_user_sgpr_flat_scratch_init 0
		.amdhsa_user_sgpr_kernarg_preload_length 0
		.amdhsa_user_sgpr_kernarg_preload_offset 0
		.amdhsa_user_sgpr_private_segment_size 0
		.amdhsa_uses_dynamic_stack 0
		.amdhsa_system_sgpr_private_segment_wavefront_offset 0
		.amdhsa_system_sgpr_workgroup_id_x 1
		.amdhsa_system_sgpr_workgroup_id_y 0
		.amdhsa_system_sgpr_workgroup_id_z 1
		.amdhsa_system_sgpr_workgroup_info 0
		.amdhsa_system_vgpr_workitem_id 1
		.amdhsa_next_free_vgpr 33
		.amdhsa_next_free_sgpr 32
		.amdhsa_accum_offset 36
		.amdhsa_reserve_vcc 1
		.amdhsa_reserve_flat_scratch 0
		.amdhsa_float_round_mode_32 0
		.amdhsa_float_round_mode_16_64 0
		.amdhsa_float_denorm_mode_32 3
		.amdhsa_float_denorm_mode_16_64 3
		.amdhsa_dx10_clamp 1
		.amdhsa_ieee_mode 1
		.amdhsa_fp16_overflow 0
		.amdhsa_tg_split 0
		.amdhsa_exception_fp_ieee_invalid_op 0
		.amdhsa_exception_fp_denorm_src 0
		.amdhsa_exception_fp_ieee_div_zero 0
		.amdhsa_exception_fp_ieee_overflow 0
		.amdhsa_exception_fp_ieee_underflow 0
		.amdhsa_exception_fp_ieee_inexact 0
		.amdhsa_exception_int_div_zero 0
	.end_amdhsa_kernel
	.section	.text._ZL23rocblas_trmm_lTx_kernelILi32ELb0EdPKdKS1_KPdEv13rocblas_fill_17rocblas_diagonal_iiT2_lPT3_llS9_llPT4_lli,"axG",@progbits,_ZL23rocblas_trmm_lTx_kernelILi32ELb0EdPKdKS1_KPdEv13rocblas_fill_17rocblas_diagonal_iiT2_lPT3_llS9_llPT4_lli,comdat
.Lfunc_end158:
	.size	_ZL23rocblas_trmm_lTx_kernelILi32ELb0EdPKdKS1_KPdEv13rocblas_fill_17rocblas_diagonal_iiT2_lPT3_llS9_llPT4_lli, .Lfunc_end158-_ZL23rocblas_trmm_lTx_kernelILi32ELb0EdPKdKS1_KPdEv13rocblas_fill_17rocblas_diagonal_iiT2_lPT3_llS9_llPT4_lli
                                        ; -- End function
	.section	.AMDGPU.csdata,"",@progbits
; Kernel info:
; codeLenInByte = 1288
; NumSgprs: 36
; NumVgprs: 33
; NumAgprs: 0
; TotalNumVgprs: 33
; ScratchSize: 0
; MemoryBound: 0
; FloatMode: 240
; IeeeMode: 1
; LDSByteSize: 16384 bytes/workgroup (compile time only)
; SGPRBlocks: 4
; VGPRBlocks: 4
; NumSGPRsForWavesPerEU: 36
; NumVGPRsForWavesPerEU: 33
; AccumOffset: 36
; Occupancy: 8
; WaveLimiterHint : 1
; COMPUTE_PGM_RSRC2:SCRATCH_EN: 0
; COMPUTE_PGM_RSRC2:USER_SGPR: 6
; COMPUTE_PGM_RSRC2:TRAP_HANDLER: 0
; COMPUTE_PGM_RSRC2:TGID_X_EN: 1
; COMPUTE_PGM_RSRC2:TGID_Y_EN: 0
; COMPUTE_PGM_RSRC2:TGID_Z_EN: 1
; COMPUTE_PGM_RSRC2:TIDIG_COMP_CNT: 1
; COMPUTE_PGM_RSRC3_GFX90A:ACCUM_OFFSET: 8
; COMPUTE_PGM_RSRC3_GFX90A:TG_SPLIT: 0
	.section	.text._ZL23rocblas_trmm_lTx_kernelILi32ELb0EddKPKdKPdEv13rocblas_fill_17rocblas_diagonal_iiT2_lPT3_llS9_llPT4_lli,"axG",@progbits,_ZL23rocblas_trmm_lTx_kernelILi32ELb0EddKPKdKPdEv13rocblas_fill_17rocblas_diagonal_iiT2_lPT3_llS9_llPT4_lli,comdat
	.globl	_ZL23rocblas_trmm_lTx_kernelILi32ELb0EddKPKdKPdEv13rocblas_fill_17rocblas_diagonal_iiT2_lPT3_llS9_llPT4_lli ; -- Begin function _ZL23rocblas_trmm_lTx_kernelILi32ELb0EddKPKdKPdEv13rocblas_fill_17rocblas_diagonal_iiT2_lPT3_llS9_llPT4_lli
	.p2align	8
	.type	_ZL23rocblas_trmm_lTx_kernelILi32ELb0EddKPKdKPdEv13rocblas_fill_17rocblas_diagonal_iiT2_lPT3_llS9_llPT4_lli,@function
_ZL23rocblas_trmm_lTx_kernelILi32ELb0EddKPKdKPdEv13rocblas_fill_17rocblas_diagonal_iiT2_lPT3_llS9_llPT4_lli: ; @_ZL23rocblas_trmm_lTx_kernelILi32ELb0EddKPKdKPdEv13rocblas_fill_17rocblas_diagonal_iiT2_lPT3_llS9_llPT4_lli
; %bb.0:
	s_load_dwordx2 s[2:3], s[4:5], 0x10
	s_waitcnt lgkmcnt(0)
	v_cmp_eq_f64_e64 s[8:9], s[2:3], 0
	s_and_b64 vcc, exec, s[8:9]
	s_cbranch_vccnz .LBB159_15
; %bb.1:
	s_load_dwordx4 s[24:27], s[4:5], 0x0
	s_load_dwordx16 s[8:23], s[4:5], 0x20
	s_mov_b32 s0, s7
	s_mov_b32 s1, 0
	s_lshl_b64 s[30:31], s[0:1], 3
	v_and_b32_e32 v1, 0x3ff, v0
	s_waitcnt lgkmcnt(0)
	s_add_u32 s8, s8, s30
	s_addc_u32 s9, s9, s31
	s_load_dwordx2 s[28:29], s[8:9], 0x0
	s_add_u32 s8, s14, s30
	s_addc_u32 s9, s15, s31
	s_load_dwordx2 s[14:15], s[8:9], 0x0
	;; [unrolled: 3-line block ×3, first 2 shown]
	v_bfe_u32 v2, v0, 10, 10
	s_mov_b32 s0, s1
	v_lshlrev_b32_e32 v0, 5, v2
	v_pk_mov_b32 v[6:7], s[0:1], s[0:1] op_sel:[0,1]
	v_cmp_gt_i32_e64 s[0:1], s26, v2
	v_cmp_gt_i32_e32 vcc, s26, v1
	v_add_lshl_u32 v4, v0, v1, 3
	s_and_b64 s[0:1], s[0:1], vcc
	v_lshlrev_b32_e32 v3, 3, v1
	ds_write2st64_b64 v4, v[6:7], v[6:7] offset1:16
	s_waitcnt lgkmcnt(0)
	s_barrier
	s_and_saveexec_b64 s[20:21], s[0:1]
	s_cbranch_execz .LBB159_3
; %bb.2:
	s_lshl_b64 s[0:1], s[12:13], 3
	s_add_u32 s7, s28, s0
	s_addc_u32 s12, s29, s1
	v_mad_u64_u32 v[6:7], s[0:1], v2, s10, 0
	v_mov_b32_e32 v8, v7
	v_mad_u64_u32 v[8:9], s[0:1], v2, s11, v[8:9]
	v_mov_b32_e32 v7, v8
	v_lshlrev_b64 v[6:7], 3, v[6:7]
	v_mov_b32_e32 v5, s12
	v_add_co_u32_e64 v6, s[0:1], s7, v6
	v_addc_co_u32_e64 v5, s[0:1], v5, v7, s[0:1]
	v_add_co_u32_e64 v6, s[0:1], v6, v3
	v_addc_co_u32_e64 v7, s[0:1], 0, v5, s[0:1]
	global_load_dwordx2 v[6:7], v[6:7], off
	v_lshlrev_b32_e32 v5, 5, v1
	v_add_lshl_u32 v5, v5, v2, 3
	s_waitcnt vmcnt(0)
	ds_write_b64 v5, v[6:7]
.LBB159_3:
	s_or_b64 exec, exec, s[20:21]
	s_add_i32 s0, s27, -1
	s_ashr_i32 s1, s0, 31
	s_lshr_b32 s1, s1, 27
	s_add_i32 s0, s0, s1
	s_ashr_i32 s1, s0, 5
	s_andn2_b32 s0, s0, 31
	s_sub_i32 s0, s27, s0
	s_cmp_ge_i32 s6, s1
	s_cselect_b32 s0, s0, 32
	s_lshl_b32 s12, s6, 5
	v_cmp_gt_i32_e64 s[0:1], s0, v2
	s_ashr_i32 s13, s12, 31
	s_and_b64 s[0:1], vcc, s[0:1]
	s_and_saveexec_b64 s[6:7], s[0:1]
	s_cbranch_execz .LBB159_5
; %bb.4:
	s_lshl_b64 s[10:11], s[18:19], 3
	s_add_u32 s14, s14, s10
	s_addc_u32 s15, s15, s11
	s_mul_i32 s10, s12, s17
	s_mul_hi_u32 s11, s12, s16
	s_add_i32 s10, s11, s10
	s_mul_i32 s11, s13, s16
	s_add_i32 s11, s10, s11
	s_mul_i32 s10, s12, s16
	s_lshl_b64 s[10:11], s[10:11], 3
	s_add_u32 s14, s14, s10
	s_addc_u32 s15, s15, s11
	v_mad_u64_u32 v[6:7], s[10:11], v2, s16, 0
	v_mov_b32_e32 v8, v7
	v_mad_u64_u32 v[8:9], s[10:11], v2, s17, v[8:9]
	v_mov_b32_e32 v7, v8
	v_lshlrev_b64 v[6:7], 3, v[6:7]
	v_mov_b32_e32 v5, s15
	v_add_co_u32_e32 v6, vcc, s14, v6
	v_addc_co_u32_e32 v5, vcc, v5, v7, vcc
	v_add_co_u32_e32 v6, vcc, v6, v3
	v_addc_co_u32_e32 v7, vcc, 0, v5, vcc
	global_load_dwordx2 v[6:7], v[6:7], off
	v_add_u32_e32 v5, 0x2000, v4
	s_waitcnt vmcnt(0)
	ds_write_b64 v5, v[6:7]
.LBB159_5:
	s_or_b64 exec, exec, s[6:7]
	s_cmpk_eq_i32 s25, 0x84
	s_cselect_b64 s[6:7], -1, 0
	v_cmp_eq_u32_e32 vcc, v2, v1
	s_and_b64 s[10:11], vcc, s[6:7]
	s_and_saveexec_b64 s[6:7], s[10:11]
	s_cbranch_execz .LBB159_7
; %bb.6:
	v_mov_b32_e32 v6, 0
	v_mov_b32_e32 v7, 0x3ff00000
	ds_write_b64 v4, v[6:7]
.LBB159_7:
	s_or_b64 exec, exec, s[6:7]
	s_cmpk_lg_i32 s24, 0x7a
	s_waitcnt lgkmcnt(0)
	s_barrier
	s_cbranch_scc0 .LBB159_9
; %bb.8:
	v_cmp_lt_u32_e32 vcc, v1, v2
	s_and_b64 s[6:7], vcc, exec
	s_cbranch_execz .LBB159_10
	s_branch .LBB159_11
.LBB159_9:
	s_mov_b64 s[6:7], 0
.LBB159_10:
	v_cmp_gt_u32_e32 vcc, v1, v2
	s_andn2_b64 s[6:7], s[6:7], exec
	s_and_b64 s[10:11], vcc, exec
	s_or_b64 s[6:7], s[6:7], s[10:11]
.LBB159_11:
	s_and_saveexec_b64 s[10:11], s[6:7]
	s_cbranch_execz .LBB159_13
; %bb.12:
	v_mov_b32_e32 v6, 0
	v_mov_b32_e32 v7, v6
	ds_write_b64 v4, v[6:7]
.LBB159_13:
	s_or_b64 exec, exec, s[10:11]
	s_waitcnt lgkmcnt(0)
	s_barrier
	s_and_saveexec_b64 s[6:7], s[0:1]
	s_cbranch_execz .LBB159_15
; %bb.14:
	ds_read2_b64 v[4:7], v3 offset1:32
	v_lshlrev_b32_e32 v32, 3, v0
	ds_read_b128 v[8:11], v32 offset:8192
	ds_read_b128 v[12:15], v32 offset:8208
	ds_read2_b64 v[16:19], v3 offset0:64 offset1:96
	ds_read_b128 v[20:23], v32 offset:8224
	ds_read_b128 v[24:27], v32 offset:8240
	ds_read2_b64 v[28:31], v3 offset0:128 offset1:160
	s_load_dwordx2 s[0:1], s[4:5], 0x60
	s_mul_i32 s4, s12, s23
	s_waitcnt lgkmcnt(0)
	v_fma_f64 v[0:1], v[4:5], v[8:9], 0
	v_fmac_f64_e32 v[0:1], v[6:7], v[10:11]
	ds_read2_b64 v[4:7], v3 offset0:192 offset1:224
	v_fmac_f64_e32 v[0:1], v[16:17], v[12:13]
	v_fmac_f64_e32 v[0:1], v[18:19], v[14:15]
	;; [unrolled: 1-line block ×3, first 2 shown]
	v_add_u32_e32 v28, 0x800, v3
	v_fmac_f64_e32 v[0:1], v[30:31], v[22:23]
	ds_read2_b64 v[8:11], v28 offset1:32
	ds_read_b128 v[12:15], v32 offset:8256
	s_waitcnt lgkmcnt(2)
	v_fmac_f64_e32 v[0:1], v[4:5], v[24:25]
	v_fmac_f64_e32 v[0:1], v[6:7], v[26:27]
	ds_read2_b64 v[4:7], v28 offset0:64 offset1:96
	ds_read_b128 v[16:19], v32 offset:8272
	ds_read2_b64 v[20:23], v28 offset0:128 offset1:160
	ds_read_b128 v[24:27], v32 offset:8288
	s_waitcnt lgkmcnt(4)
	v_fmac_f64_e32 v[0:1], v[8:9], v[12:13]
	v_fmac_f64_e32 v[0:1], v[10:11], v[14:15]
	ds_read2_b64 v[8:11], v28 offset0:192 offset1:224
	s_waitcnt lgkmcnt(3)
	v_fmac_f64_e32 v[0:1], v[4:5], v[16:17]
	v_fmac_f64_e32 v[0:1], v[6:7], v[18:19]
	ds_read_b128 v[4:7], v32 offset:8304
	s_waitcnt lgkmcnt(2)
	v_fmac_f64_e32 v[0:1], v[20:21], v[24:25]
	v_add_u32_e32 v28, 0x1000, v3
	v_fmac_f64_e32 v[0:1], v[22:23], v[26:27]
	ds_read2_b64 v[12:15], v28 offset1:32
	ds_read_b128 v[16:19], v32 offset:8320
	s_waitcnt lgkmcnt(2)
	v_fmac_f64_e32 v[0:1], v[8:9], v[4:5]
	v_fmac_f64_e32 v[0:1], v[10:11], v[6:7]
	ds_read2_b64 v[4:7], v28 offset0:64 offset1:96
	ds_read_b128 v[8:11], v32 offset:8336
	ds_read2_b64 v[20:23], v28 offset0:128 offset1:160
	ds_read_b128 v[24:27], v32 offset:8352
	s_waitcnt lgkmcnt(4)
	v_fmac_f64_e32 v[0:1], v[12:13], v[16:17]
	v_fmac_f64_e32 v[0:1], v[14:15], v[18:19]
	s_lshl_b64 s[0:1], s[0:1], 3
	s_waitcnt lgkmcnt(2)
	v_fmac_f64_e32 v[0:1], v[4:5], v[8:9]
	v_fmac_f64_e32 v[0:1], v[6:7], v[10:11]
	ds_read_b128 v[4:7], v32 offset:8368
	ds_read2_b64 v[8:11], v28 offset0:192 offset1:224
	s_waitcnt lgkmcnt(2)
	v_fmac_f64_e32 v[0:1], v[20:21], v[24:25]
	v_add_u32_e32 v20, 0x1800, v3
	ds_read2_b64 v[12:15], v20 offset1:32
	ds_read_b128 v[16:19], v32 offset:8384
	v_fmac_f64_e32 v[0:1], v[22:23], v[26:27]
	s_waitcnt lgkmcnt(2)
	v_fmac_f64_e32 v[0:1], v[8:9], v[4:5]
	v_fmac_f64_e32 v[0:1], v[10:11], v[6:7]
	ds_read_b128 v[4:7], v32 offset:8400
	s_waitcnt lgkmcnt(1)
	v_fmac_f64_e32 v[0:1], v[12:13], v[16:17]
	v_fmac_f64_e32 v[0:1], v[14:15], v[18:19]
	ds_read2_b64 v[8:11], v20 offset0:64 offset1:96
	ds_read2_b64 v[12:15], v20 offset0:128 offset1:160
	ds_read_b128 v[16:19], v32 offset:8416
	ds_read2_b64 v[20:23], v20 offset0:192 offset1:224
	ds_read_b128 v[24:27], v32 offset:8432
	s_mul_hi_u32 s5, s12, s22
	s_waitcnt lgkmcnt(4)
	v_fmac_f64_e32 v[0:1], v[8:9], v[4:5]
	v_fmac_f64_e32 v[0:1], v[10:11], v[6:7]
	s_waitcnt lgkmcnt(2)
	v_fmac_f64_e32 v[0:1], v[12:13], v[16:17]
	v_fmac_f64_e32 v[0:1], v[14:15], v[18:19]
	s_waitcnt lgkmcnt(0)
	v_fmac_f64_e32 v[0:1], v[20:21], v[24:25]
	s_add_u32 s6, s8, s0
	v_fmac_f64_e32 v[0:1], v[22:23], v[26:27]
	s_mul_i32 s13, s13, s22
	s_addc_u32 s7, s9, s1
	s_add_i32 s0, s5, s4
	v_mul_f64 v[0:1], v[0:1], s[2:3]
	v_mad_u64_u32 v[4:5], s[2:3], v2, s22, 0
	s_add_i32 s1, s0, s13
	s_mul_i32 s0, s12, s22
	v_mov_b32_e32 v6, v5
	s_lshl_b64 s[0:1], s[0:1], 3
	v_mad_u64_u32 v[6:7], s[2:3], v2, s23, v[6:7]
	s_add_u32 s0, s6, s0
	v_mov_b32_e32 v5, v6
	s_addc_u32 s1, s7, s1
	v_lshlrev_b64 v[4:5], 3, v[4:5]
	v_mov_b32_e32 v2, s1
	v_add_co_u32_e32 v4, vcc, s0, v4
	v_addc_co_u32_e32 v5, vcc, v2, v5, vcc
	v_add_co_u32_e32 v2, vcc, v4, v3
	v_addc_co_u32_e32 v3, vcc, 0, v5, vcc
	global_store_dwordx2 v[2:3], v[0:1], off
.LBB159_15:
	s_endpgm
	.section	.rodata,"a",@progbits
	.p2align	6, 0x0
	.amdhsa_kernel _ZL23rocblas_trmm_lTx_kernelILi32ELb0EddKPKdKPdEv13rocblas_fill_17rocblas_diagonal_iiT2_lPT3_llS9_llPT4_lli
		.amdhsa_group_segment_fixed_size 16384
		.amdhsa_private_segment_fixed_size 0
		.amdhsa_kernarg_size 108
		.amdhsa_user_sgpr_count 6
		.amdhsa_user_sgpr_private_segment_buffer 1
		.amdhsa_user_sgpr_dispatch_ptr 0
		.amdhsa_user_sgpr_queue_ptr 0
		.amdhsa_user_sgpr_kernarg_segment_ptr 1
		.amdhsa_user_sgpr_dispatch_id 0
		.amdhsa_user_sgpr_flat_scratch_init 0
		.amdhsa_user_sgpr_kernarg_preload_length 0
		.amdhsa_user_sgpr_kernarg_preload_offset 0
		.amdhsa_user_sgpr_private_segment_size 0
		.amdhsa_uses_dynamic_stack 0
		.amdhsa_system_sgpr_private_segment_wavefront_offset 0
		.amdhsa_system_sgpr_workgroup_id_x 1
		.amdhsa_system_sgpr_workgroup_id_y 0
		.amdhsa_system_sgpr_workgroup_id_z 1
		.amdhsa_system_sgpr_workgroup_info 0
		.amdhsa_system_vgpr_workitem_id 1
		.amdhsa_next_free_vgpr 33
		.amdhsa_next_free_sgpr 32
		.amdhsa_accum_offset 36
		.amdhsa_reserve_vcc 1
		.amdhsa_reserve_flat_scratch 0
		.amdhsa_float_round_mode_32 0
		.amdhsa_float_round_mode_16_64 0
		.amdhsa_float_denorm_mode_32 3
		.amdhsa_float_denorm_mode_16_64 3
		.amdhsa_dx10_clamp 1
		.amdhsa_ieee_mode 1
		.amdhsa_fp16_overflow 0
		.amdhsa_tg_split 0
		.amdhsa_exception_fp_ieee_invalid_op 0
		.amdhsa_exception_fp_denorm_src 0
		.amdhsa_exception_fp_ieee_div_zero 0
		.amdhsa_exception_fp_ieee_overflow 0
		.amdhsa_exception_fp_ieee_underflow 0
		.amdhsa_exception_fp_ieee_inexact 0
		.amdhsa_exception_int_div_zero 0
	.end_amdhsa_kernel
	.section	.text._ZL23rocblas_trmm_lTx_kernelILi32ELb0EddKPKdKPdEv13rocblas_fill_17rocblas_diagonal_iiT2_lPT3_llS9_llPT4_lli,"axG",@progbits,_ZL23rocblas_trmm_lTx_kernelILi32ELb0EddKPKdKPdEv13rocblas_fill_17rocblas_diagonal_iiT2_lPT3_llS9_llPT4_lli,comdat
.Lfunc_end159:
	.size	_ZL23rocblas_trmm_lTx_kernelILi32ELb0EddKPKdKPdEv13rocblas_fill_17rocblas_diagonal_iiT2_lPT3_llS9_llPT4_lli, .Lfunc_end159-_ZL23rocblas_trmm_lTx_kernelILi32ELb0EddKPKdKPdEv13rocblas_fill_17rocblas_diagonal_iiT2_lPT3_llS9_llPT4_lli
                                        ; -- End function
	.section	.AMDGPU.csdata,"",@progbits
; Kernel info:
; codeLenInByte = 1248
; NumSgprs: 36
; NumVgprs: 33
; NumAgprs: 0
; TotalNumVgprs: 33
; ScratchSize: 0
; MemoryBound: 0
; FloatMode: 240
; IeeeMode: 1
; LDSByteSize: 16384 bytes/workgroup (compile time only)
; SGPRBlocks: 4
; VGPRBlocks: 4
; NumSGPRsForWavesPerEU: 36
; NumVGPRsForWavesPerEU: 33
; AccumOffset: 36
; Occupancy: 8
; WaveLimiterHint : 1
; COMPUTE_PGM_RSRC2:SCRATCH_EN: 0
; COMPUTE_PGM_RSRC2:USER_SGPR: 6
; COMPUTE_PGM_RSRC2:TRAP_HANDLER: 0
; COMPUTE_PGM_RSRC2:TGID_X_EN: 1
; COMPUTE_PGM_RSRC2:TGID_Y_EN: 0
; COMPUTE_PGM_RSRC2:TGID_Z_EN: 1
; COMPUTE_PGM_RSRC2:TIDIG_COMP_CNT: 1
; COMPUTE_PGM_RSRC3_GFX90A:ACCUM_OFFSET: 8
; COMPUTE_PGM_RSRC3_GFX90A:TG_SPLIT: 0
	.section	.text._ZL23rocblas_trmm_lTx_kernelILi32ELb1EdPKdKS1_KPdEv13rocblas_fill_17rocblas_diagonal_iiT2_lPT3_llS9_llPT4_lli,"axG",@progbits,_ZL23rocblas_trmm_lTx_kernelILi32ELb1EdPKdKS1_KPdEv13rocblas_fill_17rocblas_diagonal_iiT2_lPT3_llS9_llPT4_lli,comdat
	.globl	_ZL23rocblas_trmm_lTx_kernelILi32ELb1EdPKdKS1_KPdEv13rocblas_fill_17rocblas_diagonal_iiT2_lPT3_llS9_llPT4_lli ; -- Begin function _ZL23rocblas_trmm_lTx_kernelILi32ELb1EdPKdKS1_KPdEv13rocblas_fill_17rocblas_diagonal_iiT2_lPT3_llS9_llPT4_lli
	.p2align	8
	.type	_ZL23rocblas_trmm_lTx_kernelILi32ELb1EdPKdKS1_KPdEv13rocblas_fill_17rocblas_diagonal_iiT2_lPT3_llS9_llPT4_lli,@function
_ZL23rocblas_trmm_lTx_kernelILi32ELb1EdPKdKS1_KPdEv13rocblas_fill_17rocblas_diagonal_iiT2_lPT3_llS9_llPT4_lli: ; @_ZL23rocblas_trmm_lTx_kernelILi32ELb1EdPKdKS1_KPdEv13rocblas_fill_17rocblas_diagonal_iiT2_lPT3_llS9_llPT4_lli
; %bb.0:
	s_load_dwordx16 s[8:23], s[4:5], 0x10
	s_waitcnt lgkmcnt(0)
	s_mul_i32 s0, s7, s11
	s_mul_hi_u32 s1, s7, s10
	s_add_i32 s1, s1, s0
	s_mul_i32 s0, s7, s10
	s_lshl_b64 s[0:1], s[0:1], 3
	s_add_u32 s0, s8, s0
	s_addc_u32 s1, s9, s1
	s_load_dwordx2 s[24:25], s[0:1], 0x0
	s_waitcnt lgkmcnt(0)
	v_cmp_eq_f64_e64 s[0:1], s[24:25], 0
	s_and_b64 vcc, exec, s[0:1]
	s_cbranch_vccnz .LBB160_15
; %bb.1:
	s_mov_b32 s26, s7
	s_mov_b32 s27, 0
	s_load_dwordx4 s[8:11], s[4:5], 0x0
	s_load_dwordx4 s[0:3], s[4:5], 0x50
	s_lshl_b64 s[30:31], s[26:27], 3
	s_add_u32 s12, s12, s30
	s_addc_u32 s13, s13, s31
	s_load_dwordx2 s[28:29], s[12:13], 0x0
	s_add_u32 s12, s18, s30
	s_addc_u32 s13, s19, s31
	s_waitcnt lgkmcnt(0)
	s_add_u32 s0, s0, s30
	s_addc_u32 s1, s1, s31
	s_load_dwordx2 s[18:19], s[12:13], 0x0
	v_and_b32_e32 v4, 0x3ff, v0
	s_load_dwordx2 s[12:13], s[0:1], 0x0
	v_bfe_u32 v2, v0, 10, 10
	v_lshlrev_b32_e32 v0, 5, v2
	s_mov_b32 s26, s27
	v_cmp_gt_i32_e64 s[0:1], s10, v2
	v_cmp_gt_i32_e32 vcc, s10, v4
	v_add_lshl_u32 v1, v0, v4, 3
	v_pk_mov_b32 v[6:7], s[26:27], s[26:27] op_sel:[0,1]
	s_and_b64 s[0:1], s[0:1], vcc
	v_lshlrev_b32_e32 v3, 3, v4
	ds_write2st64_b64 v1, v[6:7], v[6:7] offset1:16
	s_waitcnt lgkmcnt(0)
	s_barrier
	s_and_saveexec_b64 s[26:27], s[0:1]
	s_cbranch_execz .LBB160_3
; %bb.2:
	s_lshl_b64 s[0:1], s[16:17], 3
	s_add_u32 s7, s28, s0
	s_addc_u32 s10, s29, s1
	v_mad_u64_u32 v[6:7], s[0:1], v2, s14, 0
	v_mov_b32_e32 v8, v7
	v_mad_u64_u32 v[8:9], s[0:1], v2, s15, v[8:9]
	v_mov_b32_e32 v7, v8
	v_lshlrev_b64 v[6:7], 3, v[6:7]
	v_mov_b32_e32 v5, s10
	v_add_co_u32_e64 v6, s[0:1], s7, v6
	v_addc_co_u32_e64 v5, s[0:1], v5, v7, s[0:1]
	v_add_co_u32_e64 v6, s[0:1], v6, v3
	v_addc_co_u32_e64 v7, s[0:1], 0, v5, s[0:1]
	global_load_dwordx2 v[6:7], v[6:7], off
	v_lshlrev_b32_e32 v5, 5, v4
	v_add_lshl_u32 v5, v5, v2, 3
	s_waitcnt vmcnt(0)
	ds_write_b64 v5, v[6:7]
.LBB160_3:
	s_or_b64 exec, exec, s[26:27]
	s_add_i32 s0, s11, -1
	s_ashr_i32 s1, s0, 31
	s_lshr_b32 s1, s1, 27
	s_add_i32 s0, s0, s1
	s_ashr_i32 s1, s0, 5
	s_andn2_b32 s0, s0, 31
	s_sub_i32 s0, s11, s0
	s_cmp_ge_i32 s6, s1
	s_cselect_b32 s0, s0, 32
	s_lshl_b32 s10, s6, 5
	v_cmp_gt_i32_e64 s[0:1], s0, v2
	s_ashr_i32 s11, s10, 31
	s_and_b64 s[0:1], vcc, s[0:1]
	s_and_saveexec_b64 s[6:7], s[0:1]
	s_cbranch_execz .LBB160_5
; %bb.4:
	s_lshl_b64 s[14:15], s[22:23], 3
	s_add_u32 s16, s18, s14
	s_addc_u32 s17, s19, s15
	s_mul_i32 s14, s10, s21
	s_mul_hi_u32 s15, s10, s20
	s_add_i32 s14, s15, s14
	s_mul_i32 s15, s11, s20
	s_add_i32 s15, s14, s15
	s_mul_i32 s14, s10, s20
	s_lshl_b64 s[14:15], s[14:15], 3
	s_add_u32 s16, s16, s14
	s_addc_u32 s17, s17, s15
	v_mad_u64_u32 v[6:7], s[14:15], v2, s20, 0
	v_mov_b32_e32 v8, v7
	v_mad_u64_u32 v[8:9], s[14:15], v2, s21, v[8:9]
	v_mov_b32_e32 v7, v8
	v_lshlrev_b64 v[6:7], 3, v[6:7]
	v_mov_b32_e32 v5, s17
	v_add_co_u32_e32 v6, vcc, s16, v6
	v_addc_co_u32_e32 v5, vcc, v5, v7, vcc
	v_add_co_u32_e32 v6, vcc, v6, v3
	v_addc_co_u32_e32 v7, vcc, 0, v5, vcc
	global_load_dwordx2 v[6:7], v[6:7], off
	v_add_u32_e32 v5, 0x2000, v1
	s_waitcnt vmcnt(0)
	ds_write_b64 v5, v[6:7]
.LBB160_5:
	s_or_b64 exec, exec, s[6:7]
	s_cmpk_eq_i32 s9, 0x84
	s_cselect_b64 s[6:7], -1, 0
	v_cmp_eq_u32_e32 vcc, v2, v4
	s_and_b64 s[14:15], vcc, s[6:7]
	s_and_saveexec_b64 s[6:7], s[14:15]
	s_cbranch_execz .LBB160_7
; %bb.6:
	v_mov_b32_e32 v6, 0
	v_mov_b32_e32 v7, 0x3ff00000
	ds_write_b64 v1, v[6:7]
.LBB160_7:
	s_or_b64 exec, exec, s[6:7]
	s_cmpk_lg_i32 s8, 0x7a
	s_waitcnt lgkmcnt(0)
	s_barrier
	s_cbranch_scc0 .LBB160_9
; %bb.8:
	v_cmp_lt_u32_e32 vcc, v4, v2
	s_and_b64 s[6:7], vcc, exec
	s_cbranch_execz .LBB160_10
	s_branch .LBB160_11
.LBB160_9:
	s_mov_b64 s[6:7], 0
.LBB160_10:
	v_cmp_gt_u32_e32 vcc, v4, v2
	s_andn2_b64 s[6:7], s[6:7], exec
	s_and_b64 s[8:9], vcc, exec
	s_or_b64 s[6:7], s[6:7], s[8:9]
.LBB160_11:
	s_and_saveexec_b64 s[8:9], s[6:7]
	s_cbranch_execz .LBB160_13
; %bb.12:
	v_mov_b32_e32 v4, 0
	v_mov_b32_e32 v5, v4
	ds_write_b64 v1, v[4:5]
.LBB160_13:
	s_or_b64 exec, exec, s[8:9]
	s_waitcnt lgkmcnt(0)
	s_barrier
	s_and_saveexec_b64 s[6:7], s[0:1]
	s_cbranch_execz .LBB160_15
; %bb.14:
	ds_read2_b64 v[4:7], v3 offset1:32
	v_lshlrev_b32_e32 v32, 3, v0
	ds_read_b128 v[8:11], v32 offset:8192
	ds_read_b128 v[12:15], v32 offset:8208
	ds_read2_b64 v[16:19], v3 offset0:64 offset1:96
	ds_read_b128 v[20:23], v32 offset:8224
	ds_read_b128 v[24:27], v32 offset:8240
	ds_read2_b64 v[28:31], v3 offset0:128 offset1:160
	s_load_dwordx2 s[0:1], s[4:5], 0x60
	s_mul_i32 s4, s10, s3
	s_waitcnt lgkmcnt(0)
	v_fma_f64 v[0:1], v[4:5], v[8:9], 0
	v_fmac_f64_e32 v[0:1], v[6:7], v[10:11]
	ds_read2_b64 v[4:7], v3 offset0:192 offset1:224
	v_fmac_f64_e32 v[0:1], v[16:17], v[12:13]
	v_fmac_f64_e32 v[0:1], v[18:19], v[14:15]
	;; [unrolled: 1-line block ×3, first 2 shown]
	v_add_u32_e32 v28, 0x800, v3
	v_fmac_f64_e32 v[0:1], v[30:31], v[22:23]
	ds_read2_b64 v[8:11], v28 offset1:32
	ds_read_b128 v[12:15], v32 offset:8256
	s_waitcnt lgkmcnt(2)
	v_fmac_f64_e32 v[0:1], v[4:5], v[24:25]
	v_fmac_f64_e32 v[0:1], v[6:7], v[26:27]
	ds_read2_b64 v[4:7], v28 offset0:64 offset1:96
	ds_read_b128 v[16:19], v32 offset:8272
	ds_read2_b64 v[20:23], v28 offset0:128 offset1:160
	ds_read_b128 v[24:27], v32 offset:8288
	s_waitcnt lgkmcnt(4)
	v_fmac_f64_e32 v[0:1], v[8:9], v[12:13]
	v_fmac_f64_e32 v[0:1], v[10:11], v[14:15]
	ds_read2_b64 v[8:11], v28 offset0:192 offset1:224
	s_waitcnt lgkmcnt(3)
	v_fmac_f64_e32 v[0:1], v[4:5], v[16:17]
	v_fmac_f64_e32 v[0:1], v[6:7], v[18:19]
	ds_read_b128 v[4:7], v32 offset:8304
	s_waitcnt lgkmcnt(2)
	v_fmac_f64_e32 v[0:1], v[20:21], v[24:25]
	v_add_u32_e32 v28, 0x1000, v3
	v_fmac_f64_e32 v[0:1], v[22:23], v[26:27]
	ds_read2_b64 v[12:15], v28 offset1:32
	ds_read_b128 v[16:19], v32 offset:8320
	s_waitcnt lgkmcnt(2)
	v_fmac_f64_e32 v[0:1], v[8:9], v[4:5]
	v_fmac_f64_e32 v[0:1], v[10:11], v[6:7]
	ds_read2_b64 v[4:7], v28 offset0:64 offset1:96
	ds_read_b128 v[8:11], v32 offset:8336
	ds_read2_b64 v[20:23], v28 offset0:128 offset1:160
	ds_read_b128 v[24:27], v32 offset:8352
	s_waitcnt lgkmcnt(4)
	v_fmac_f64_e32 v[0:1], v[12:13], v[16:17]
	v_fmac_f64_e32 v[0:1], v[14:15], v[18:19]
	s_lshl_b64 s[0:1], s[0:1], 3
	s_waitcnt lgkmcnt(2)
	v_fmac_f64_e32 v[0:1], v[4:5], v[8:9]
	v_fmac_f64_e32 v[0:1], v[6:7], v[10:11]
	ds_read_b128 v[4:7], v32 offset:8368
	ds_read2_b64 v[8:11], v28 offset0:192 offset1:224
	s_waitcnt lgkmcnt(2)
	v_fmac_f64_e32 v[0:1], v[20:21], v[24:25]
	v_add_u32_e32 v20, 0x1800, v3
	ds_read2_b64 v[12:15], v20 offset1:32
	ds_read_b128 v[16:19], v32 offset:8384
	v_fmac_f64_e32 v[0:1], v[22:23], v[26:27]
	s_waitcnt lgkmcnt(2)
	v_fmac_f64_e32 v[0:1], v[8:9], v[4:5]
	v_fmac_f64_e32 v[0:1], v[10:11], v[6:7]
	ds_read_b128 v[4:7], v32 offset:8400
	s_waitcnt lgkmcnt(1)
	v_fmac_f64_e32 v[0:1], v[12:13], v[16:17]
	s_mul_hi_u32 s5, s10, s2
	s_add_u32 s6, s12, s0
	v_fmac_f64_e32 v[0:1], v[14:15], v[18:19]
	ds_read2_b64 v[8:11], v20 offset0:64 offset1:96
	ds_read2_b64 v[12:15], v20 offset0:128 offset1:160
	ds_read_b128 v[16:19], v32 offset:8416
	ds_read2_b64 v[20:23], v20 offset0:192 offset1:224
	ds_read_b128 v[24:27], v32 offset:8432
	s_mul_i32 s11, s11, s2
	s_addc_u32 s7, s13, s1
	s_add_i32 s0, s5, s4
	s_waitcnt lgkmcnt(4)
	v_fmac_f64_e32 v[0:1], v[8:9], v[4:5]
	v_mad_u64_u32 v[4:5], s[4:5], v2, s2, 0
	s_add_i32 s1, s0, s11
	s_mul_i32 s0, s10, s2
	v_fmac_f64_e32 v[0:1], v[10:11], v[6:7]
	v_mov_b32_e32 v6, v5
	s_lshl_b64 s[0:1], s[0:1], 3
	v_mad_u64_u32 v[6:7], s[2:3], v2, s3, v[6:7]
	s_add_u32 s0, s6, s0
	v_mov_b32_e32 v5, v6
	s_addc_u32 s1, s7, s1
	s_waitcnt lgkmcnt(2)
	v_fmac_f64_e32 v[0:1], v[12:13], v[16:17]
	v_lshlrev_b64 v[4:5], 3, v[4:5]
	v_fmac_f64_e32 v[0:1], v[14:15], v[18:19]
	v_mov_b32_e32 v2, s1
	v_add_co_u32_e32 v4, vcc, s0, v4
	s_waitcnt lgkmcnt(0)
	v_fmac_f64_e32 v[0:1], v[20:21], v[24:25]
	v_addc_co_u32_e32 v5, vcc, v2, v5, vcc
	v_fmac_f64_e32 v[0:1], v[22:23], v[26:27]
	v_add_co_u32_e32 v2, vcc, v4, v3
	v_mul_f64 v[0:1], s[24:25], v[0:1]
	v_addc_co_u32_e32 v3, vcc, 0, v5, vcc
	global_store_dwordx2 v[2:3], v[0:1], off
.LBB160_15:
	s_endpgm
	.section	.rodata,"a",@progbits
	.p2align	6, 0x0
	.amdhsa_kernel _ZL23rocblas_trmm_lTx_kernelILi32ELb1EdPKdKS1_KPdEv13rocblas_fill_17rocblas_diagonal_iiT2_lPT3_llS9_llPT4_lli
		.amdhsa_group_segment_fixed_size 16384
		.amdhsa_private_segment_fixed_size 0
		.amdhsa_kernarg_size 108
		.amdhsa_user_sgpr_count 6
		.amdhsa_user_sgpr_private_segment_buffer 1
		.amdhsa_user_sgpr_dispatch_ptr 0
		.amdhsa_user_sgpr_queue_ptr 0
		.amdhsa_user_sgpr_kernarg_segment_ptr 1
		.amdhsa_user_sgpr_dispatch_id 0
		.amdhsa_user_sgpr_flat_scratch_init 0
		.amdhsa_user_sgpr_kernarg_preload_length 0
		.amdhsa_user_sgpr_kernarg_preload_offset 0
		.amdhsa_user_sgpr_private_segment_size 0
		.amdhsa_uses_dynamic_stack 0
		.amdhsa_system_sgpr_private_segment_wavefront_offset 0
		.amdhsa_system_sgpr_workgroup_id_x 1
		.amdhsa_system_sgpr_workgroup_id_y 0
		.amdhsa_system_sgpr_workgroup_id_z 1
		.amdhsa_system_sgpr_workgroup_info 0
		.amdhsa_system_vgpr_workitem_id 1
		.amdhsa_next_free_vgpr 33
		.amdhsa_next_free_sgpr 32
		.amdhsa_accum_offset 36
		.amdhsa_reserve_vcc 1
		.amdhsa_reserve_flat_scratch 0
		.amdhsa_float_round_mode_32 0
		.amdhsa_float_round_mode_16_64 0
		.amdhsa_float_denorm_mode_32 3
		.amdhsa_float_denorm_mode_16_64 3
		.amdhsa_dx10_clamp 1
		.amdhsa_ieee_mode 1
		.amdhsa_fp16_overflow 0
		.amdhsa_tg_split 0
		.amdhsa_exception_fp_ieee_invalid_op 0
		.amdhsa_exception_fp_denorm_src 0
		.amdhsa_exception_fp_ieee_div_zero 0
		.amdhsa_exception_fp_ieee_overflow 0
		.amdhsa_exception_fp_ieee_underflow 0
		.amdhsa_exception_fp_ieee_inexact 0
		.amdhsa_exception_int_div_zero 0
	.end_amdhsa_kernel
	.section	.text._ZL23rocblas_trmm_lTx_kernelILi32ELb1EdPKdKS1_KPdEv13rocblas_fill_17rocblas_diagonal_iiT2_lPT3_llS9_llPT4_lli,"axG",@progbits,_ZL23rocblas_trmm_lTx_kernelILi32ELb1EdPKdKS1_KPdEv13rocblas_fill_17rocblas_diagonal_iiT2_lPT3_llS9_llPT4_lli,comdat
.Lfunc_end160:
	.size	_ZL23rocblas_trmm_lTx_kernelILi32ELb1EdPKdKS1_KPdEv13rocblas_fill_17rocblas_diagonal_iiT2_lPT3_llS9_llPT4_lli, .Lfunc_end160-_ZL23rocblas_trmm_lTx_kernelILi32ELb1EdPKdKS1_KPdEv13rocblas_fill_17rocblas_diagonal_iiT2_lPT3_llS9_llPT4_lli
                                        ; -- End function
	.section	.AMDGPU.csdata,"",@progbits
; Kernel info:
; codeLenInByte = 1288
; NumSgprs: 36
; NumVgprs: 33
; NumAgprs: 0
; TotalNumVgprs: 33
; ScratchSize: 0
; MemoryBound: 0
; FloatMode: 240
; IeeeMode: 1
; LDSByteSize: 16384 bytes/workgroup (compile time only)
; SGPRBlocks: 4
; VGPRBlocks: 4
; NumSGPRsForWavesPerEU: 36
; NumVGPRsForWavesPerEU: 33
; AccumOffset: 36
; Occupancy: 8
; WaveLimiterHint : 1
; COMPUTE_PGM_RSRC2:SCRATCH_EN: 0
; COMPUTE_PGM_RSRC2:USER_SGPR: 6
; COMPUTE_PGM_RSRC2:TRAP_HANDLER: 0
; COMPUTE_PGM_RSRC2:TGID_X_EN: 1
; COMPUTE_PGM_RSRC2:TGID_Y_EN: 0
; COMPUTE_PGM_RSRC2:TGID_Z_EN: 1
; COMPUTE_PGM_RSRC2:TIDIG_COMP_CNT: 1
; COMPUTE_PGM_RSRC3_GFX90A:ACCUM_OFFSET: 8
; COMPUTE_PGM_RSRC3_GFX90A:TG_SPLIT: 0
	.section	.text._ZL23rocblas_trmm_lTx_kernelILi32ELb1EddKPKdKPdEv13rocblas_fill_17rocblas_diagonal_iiT2_lPT3_llS9_llPT4_lli,"axG",@progbits,_ZL23rocblas_trmm_lTx_kernelILi32ELb1EddKPKdKPdEv13rocblas_fill_17rocblas_diagonal_iiT2_lPT3_llS9_llPT4_lli,comdat
	.globl	_ZL23rocblas_trmm_lTx_kernelILi32ELb1EddKPKdKPdEv13rocblas_fill_17rocblas_diagonal_iiT2_lPT3_llS9_llPT4_lli ; -- Begin function _ZL23rocblas_trmm_lTx_kernelILi32ELb1EddKPKdKPdEv13rocblas_fill_17rocblas_diagonal_iiT2_lPT3_llS9_llPT4_lli
	.p2align	8
	.type	_ZL23rocblas_trmm_lTx_kernelILi32ELb1EddKPKdKPdEv13rocblas_fill_17rocblas_diagonal_iiT2_lPT3_llS9_llPT4_lli,@function
_ZL23rocblas_trmm_lTx_kernelILi32ELb1EddKPKdKPdEv13rocblas_fill_17rocblas_diagonal_iiT2_lPT3_llS9_llPT4_lli: ; @_ZL23rocblas_trmm_lTx_kernelILi32ELb1EddKPKdKPdEv13rocblas_fill_17rocblas_diagonal_iiT2_lPT3_llS9_llPT4_lli
; %bb.0:
	s_load_dwordx2 s[2:3], s[4:5], 0x10
	s_waitcnt lgkmcnt(0)
	v_cmp_eq_f64_e64 s[8:9], s[2:3], 0
	s_and_b64 vcc, exec, s[8:9]
	s_cbranch_vccnz .LBB161_15
; %bb.1:
	s_load_dwordx4 s[24:27], s[4:5], 0x0
	s_load_dwordx16 s[8:23], s[4:5], 0x20
	s_mov_b32 s0, s7
	s_mov_b32 s1, 0
	s_lshl_b64 s[30:31], s[0:1], 3
	v_and_b32_e32 v1, 0x3ff, v0
	s_waitcnt lgkmcnt(0)
	s_add_u32 s8, s8, s30
	s_addc_u32 s9, s9, s31
	s_load_dwordx2 s[28:29], s[8:9], 0x0
	s_add_u32 s8, s14, s30
	s_addc_u32 s9, s15, s31
	s_load_dwordx2 s[14:15], s[8:9], 0x0
	s_add_u32 s8, s20, s30
	s_addc_u32 s9, s21, s31
	s_load_dwordx2 s[8:9], s[8:9], 0x0
	v_bfe_u32 v2, v0, 10, 10
	s_mov_b32 s0, s1
	v_lshlrev_b32_e32 v0, 5, v2
	v_pk_mov_b32 v[6:7], s[0:1], s[0:1] op_sel:[0,1]
	v_cmp_gt_i32_e64 s[0:1], s26, v2
	v_cmp_gt_i32_e32 vcc, s26, v1
	v_add_lshl_u32 v4, v0, v1, 3
	s_and_b64 s[0:1], s[0:1], vcc
	v_lshlrev_b32_e32 v3, 3, v1
	ds_write2st64_b64 v4, v[6:7], v[6:7] offset1:16
	s_waitcnt lgkmcnt(0)
	s_barrier
	s_and_saveexec_b64 s[20:21], s[0:1]
	s_cbranch_execz .LBB161_3
; %bb.2:
	s_lshl_b64 s[0:1], s[12:13], 3
	s_add_u32 s7, s28, s0
	s_addc_u32 s12, s29, s1
	v_mad_u64_u32 v[6:7], s[0:1], v2, s10, 0
	v_mov_b32_e32 v8, v7
	v_mad_u64_u32 v[8:9], s[0:1], v2, s11, v[8:9]
	v_mov_b32_e32 v7, v8
	v_lshlrev_b64 v[6:7], 3, v[6:7]
	v_mov_b32_e32 v5, s12
	v_add_co_u32_e64 v6, s[0:1], s7, v6
	v_addc_co_u32_e64 v5, s[0:1], v5, v7, s[0:1]
	v_add_co_u32_e64 v6, s[0:1], v6, v3
	v_addc_co_u32_e64 v7, s[0:1], 0, v5, s[0:1]
	global_load_dwordx2 v[6:7], v[6:7], off
	v_lshlrev_b32_e32 v5, 5, v1
	v_add_lshl_u32 v5, v5, v2, 3
	s_waitcnt vmcnt(0)
	ds_write_b64 v5, v[6:7]
.LBB161_3:
	s_or_b64 exec, exec, s[20:21]
	s_add_i32 s0, s27, -1
	s_ashr_i32 s1, s0, 31
	s_lshr_b32 s1, s1, 27
	s_add_i32 s0, s0, s1
	s_ashr_i32 s1, s0, 5
	s_andn2_b32 s0, s0, 31
	s_sub_i32 s0, s27, s0
	s_cmp_ge_i32 s6, s1
	s_cselect_b32 s0, s0, 32
	s_lshl_b32 s12, s6, 5
	v_cmp_gt_i32_e64 s[0:1], s0, v2
	s_ashr_i32 s13, s12, 31
	s_and_b64 s[0:1], vcc, s[0:1]
	s_and_saveexec_b64 s[6:7], s[0:1]
	s_cbranch_execz .LBB161_5
; %bb.4:
	s_lshl_b64 s[10:11], s[18:19], 3
	s_add_u32 s14, s14, s10
	s_addc_u32 s15, s15, s11
	s_mul_i32 s10, s12, s17
	s_mul_hi_u32 s11, s12, s16
	s_add_i32 s10, s11, s10
	s_mul_i32 s11, s13, s16
	s_add_i32 s11, s10, s11
	s_mul_i32 s10, s12, s16
	s_lshl_b64 s[10:11], s[10:11], 3
	s_add_u32 s14, s14, s10
	s_addc_u32 s15, s15, s11
	v_mad_u64_u32 v[6:7], s[10:11], v2, s16, 0
	v_mov_b32_e32 v8, v7
	v_mad_u64_u32 v[8:9], s[10:11], v2, s17, v[8:9]
	v_mov_b32_e32 v7, v8
	v_lshlrev_b64 v[6:7], 3, v[6:7]
	v_mov_b32_e32 v5, s15
	v_add_co_u32_e32 v6, vcc, s14, v6
	v_addc_co_u32_e32 v5, vcc, v5, v7, vcc
	v_add_co_u32_e32 v6, vcc, v6, v3
	v_addc_co_u32_e32 v7, vcc, 0, v5, vcc
	global_load_dwordx2 v[6:7], v[6:7], off
	v_add_u32_e32 v5, 0x2000, v4
	s_waitcnt vmcnt(0)
	ds_write_b64 v5, v[6:7]
.LBB161_5:
	s_or_b64 exec, exec, s[6:7]
	s_cmpk_eq_i32 s25, 0x84
	s_cselect_b64 s[6:7], -1, 0
	v_cmp_eq_u32_e32 vcc, v2, v1
	s_and_b64 s[10:11], vcc, s[6:7]
	s_and_saveexec_b64 s[6:7], s[10:11]
	s_cbranch_execz .LBB161_7
; %bb.6:
	v_mov_b32_e32 v6, 0
	v_mov_b32_e32 v7, 0x3ff00000
	ds_write_b64 v4, v[6:7]
.LBB161_7:
	s_or_b64 exec, exec, s[6:7]
	s_cmpk_lg_i32 s24, 0x7a
	s_waitcnt lgkmcnt(0)
	s_barrier
	s_cbranch_scc0 .LBB161_9
; %bb.8:
	v_cmp_lt_u32_e32 vcc, v1, v2
	s_and_b64 s[6:7], vcc, exec
	s_cbranch_execz .LBB161_10
	s_branch .LBB161_11
.LBB161_9:
	s_mov_b64 s[6:7], 0
.LBB161_10:
	v_cmp_gt_u32_e32 vcc, v1, v2
	s_andn2_b64 s[6:7], s[6:7], exec
	s_and_b64 s[10:11], vcc, exec
	s_or_b64 s[6:7], s[6:7], s[10:11]
.LBB161_11:
	s_and_saveexec_b64 s[10:11], s[6:7]
	s_cbranch_execz .LBB161_13
; %bb.12:
	v_mov_b32_e32 v6, 0
	v_mov_b32_e32 v7, v6
	ds_write_b64 v4, v[6:7]
.LBB161_13:
	s_or_b64 exec, exec, s[10:11]
	s_waitcnt lgkmcnt(0)
	s_barrier
	s_and_saveexec_b64 s[6:7], s[0:1]
	s_cbranch_execz .LBB161_15
; %bb.14:
	ds_read2_b64 v[4:7], v3 offset1:32
	v_lshlrev_b32_e32 v32, 3, v0
	ds_read_b128 v[8:11], v32 offset:8192
	ds_read_b128 v[12:15], v32 offset:8208
	ds_read2_b64 v[16:19], v3 offset0:64 offset1:96
	ds_read_b128 v[20:23], v32 offset:8224
	ds_read_b128 v[24:27], v32 offset:8240
	ds_read2_b64 v[28:31], v3 offset0:128 offset1:160
	s_load_dwordx2 s[0:1], s[4:5], 0x60
	s_mul_i32 s4, s12, s23
	s_waitcnt lgkmcnt(0)
	v_fma_f64 v[0:1], v[4:5], v[8:9], 0
	v_fmac_f64_e32 v[0:1], v[6:7], v[10:11]
	ds_read2_b64 v[4:7], v3 offset0:192 offset1:224
	v_fmac_f64_e32 v[0:1], v[16:17], v[12:13]
	v_fmac_f64_e32 v[0:1], v[18:19], v[14:15]
	;; [unrolled: 1-line block ×3, first 2 shown]
	v_add_u32_e32 v28, 0x800, v3
	v_fmac_f64_e32 v[0:1], v[30:31], v[22:23]
	ds_read2_b64 v[8:11], v28 offset1:32
	ds_read_b128 v[12:15], v32 offset:8256
	s_waitcnt lgkmcnt(2)
	v_fmac_f64_e32 v[0:1], v[4:5], v[24:25]
	v_fmac_f64_e32 v[0:1], v[6:7], v[26:27]
	ds_read2_b64 v[4:7], v28 offset0:64 offset1:96
	ds_read_b128 v[16:19], v32 offset:8272
	ds_read2_b64 v[20:23], v28 offset0:128 offset1:160
	ds_read_b128 v[24:27], v32 offset:8288
	s_waitcnt lgkmcnt(4)
	v_fmac_f64_e32 v[0:1], v[8:9], v[12:13]
	v_fmac_f64_e32 v[0:1], v[10:11], v[14:15]
	ds_read2_b64 v[8:11], v28 offset0:192 offset1:224
	s_waitcnt lgkmcnt(3)
	v_fmac_f64_e32 v[0:1], v[4:5], v[16:17]
	v_fmac_f64_e32 v[0:1], v[6:7], v[18:19]
	ds_read_b128 v[4:7], v32 offset:8304
	s_waitcnt lgkmcnt(2)
	v_fmac_f64_e32 v[0:1], v[20:21], v[24:25]
	v_add_u32_e32 v28, 0x1000, v3
	v_fmac_f64_e32 v[0:1], v[22:23], v[26:27]
	ds_read2_b64 v[12:15], v28 offset1:32
	ds_read_b128 v[16:19], v32 offset:8320
	s_waitcnt lgkmcnt(2)
	v_fmac_f64_e32 v[0:1], v[8:9], v[4:5]
	v_fmac_f64_e32 v[0:1], v[10:11], v[6:7]
	ds_read2_b64 v[4:7], v28 offset0:64 offset1:96
	ds_read_b128 v[8:11], v32 offset:8336
	ds_read2_b64 v[20:23], v28 offset0:128 offset1:160
	ds_read_b128 v[24:27], v32 offset:8352
	s_waitcnt lgkmcnt(4)
	v_fmac_f64_e32 v[0:1], v[12:13], v[16:17]
	v_fmac_f64_e32 v[0:1], v[14:15], v[18:19]
	s_lshl_b64 s[0:1], s[0:1], 3
	s_waitcnt lgkmcnt(2)
	v_fmac_f64_e32 v[0:1], v[4:5], v[8:9]
	v_fmac_f64_e32 v[0:1], v[6:7], v[10:11]
	ds_read_b128 v[4:7], v32 offset:8368
	ds_read2_b64 v[8:11], v28 offset0:192 offset1:224
	s_waitcnt lgkmcnt(2)
	v_fmac_f64_e32 v[0:1], v[20:21], v[24:25]
	v_add_u32_e32 v20, 0x1800, v3
	ds_read2_b64 v[12:15], v20 offset1:32
	ds_read_b128 v[16:19], v32 offset:8384
	v_fmac_f64_e32 v[0:1], v[22:23], v[26:27]
	s_waitcnt lgkmcnt(2)
	v_fmac_f64_e32 v[0:1], v[8:9], v[4:5]
	v_fmac_f64_e32 v[0:1], v[10:11], v[6:7]
	ds_read_b128 v[4:7], v32 offset:8400
	s_waitcnt lgkmcnt(1)
	v_fmac_f64_e32 v[0:1], v[12:13], v[16:17]
	v_fmac_f64_e32 v[0:1], v[14:15], v[18:19]
	ds_read2_b64 v[8:11], v20 offset0:64 offset1:96
	ds_read2_b64 v[12:15], v20 offset0:128 offset1:160
	ds_read_b128 v[16:19], v32 offset:8416
	ds_read2_b64 v[20:23], v20 offset0:192 offset1:224
	ds_read_b128 v[24:27], v32 offset:8432
	s_mul_hi_u32 s5, s12, s22
	s_waitcnt lgkmcnt(4)
	v_fmac_f64_e32 v[0:1], v[8:9], v[4:5]
	v_fmac_f64_e32 v[0:1], v[10:11], v[6:7]
	s_waitcnt lgkmcnt(2)
	v_fmac_f64_e32 v[0:1], v[12:13], v[16:17]
	v_fmac_f64_e32 v[0:1], v[14:15], v[18:19]
	s_waitcnt lgkmcnt(0)
	v_fmac_f64_e32 v[0:1], v[20:21], v[24:25]
	s_add_u32 s6, s8, s0
	v_fmac_f64_e32 v[0:1], v[22:23], v[26:27]
	s_mul_i32 s13, s13, s22
	s_addc_u32 s7, s9, s1
	s_add_i32 s0, s5, s4
	v_mul_f64 v[0:1], v[0:1], s[2:3]
	v_mad_u64_u32 v[4:5], s[2:3], v2, s22, 0
	s_add_i32 s1, s0, s13
	s_mul_i32 s0, s12, s22
	v_mov_b32_e32 v6, v5
	s_lshl_b64 s[0:1], s[0:1], 3
	v_mad_u64_u32 v[6:7], s[2:3], v2, s23, v[6:7]
	s_add_u32 s0, s6, s0
	v_mov_b32_e32 v5, v6
	s_addc_u32 s1, s7, s1
	v_lshlrev_b64 v[4:5], 3, v[4:5]
	v_mov_b32_e32 v2, s1
	v_add_co_u32_e32 v4, vcc, s0, v4
	v_addc_co_u32_e32 v5, vcc, v2, v5, vcc
	v_add_co_u32_e32 v2, vcc, v4, v3
	v_addc_co_u32_e32 v3, vcc, 0, v5, vcc
	global_store_dwordx2 v[2:3], v[0:1], off
.LBB161_15:
	s_endpgm
	.section	.rodata,"a",@progbits
	.p2align	6, 0x0
	.amdhsa_kernel _ZL23rocblas_trmm_lTx_kernelILi32ELb1EddKPKdKPdEv13rocblas_fill_17rocblas_diagonal_iiT2_lPT3_llS9_llPT4_lli
		.amdhsa_group_segment_fixed_size 16384
		.amdhsa_private_segment_fixed_size 0
		.amdhsa_kernarg_size 108
		.amdhsa_user_sgpr_count 6
		.amdhsa_user_sgpr_private_segment_buffer 1
		.amdhsa_user_sgpr_dispatch_ptr 0
		.amdhsa_user_sgpr_queue_ptr 0
		.amdhsa_user_sgpr_kernarg_segment_ptr 1
		.amdhsa_user_sgpr_dispatch_id 0
		.amdhsa_user_sgpr_flat_scratch_init 0
		.amdhsa_user_sgpr_kernarg_preload_length 0
		.amdhsa_user_sgpr_kernarg_preload_offset 0
		.amdhsa_user_sgpr_private_segment_size 0
		.amdhsa_uses_dynamic_stack 0
		.amdhsa_system_sgpr_private_segment_wavefront_offset 0
		.amdhsa_system_sgpr_workgroup_id_x 1
		.amdhsa_system_sgpr_workgroup_id_y 0
		.amdhsa_system_sgpr_workgroup_id_z 1
		.amdhsa_system_sgpr_workgroup_info 0
		.amdhsa_system_vgpr_workitem_id 1
		.amdhsa_next_free_vgpr 33
		.amdhsa_next_free_sgpr 32
		.amdhsa_accum_offset 36
		.amdhsa_reserve_vcc 1
		.amdhsa_reserve_flat_scratch 0
		.amdhsa_float_round_mode_32 0
		.amdhsa_float_round_mode_16_64 0
		.amdhsa_float_denorm_mode_32 3
		.amdhsa_float_denorm_mode_16_64 3
		.amdhsa_dx10_clamp 1
		.amdhsa_ieee_mode 1
		.amdhsa_fp16_overflow 0
		.amdhsa_tg_split 0
		.amdhsa_exception_fp_ieee_invalid_op 0
		.amdhsa_exception_fp_denorm_src 0
		.amdhsa_exception_fp_ieee_div_zero 0
		.amdhsa_exception_fp_ieee_overflow 0
		.amdhsa_exception_fp_ieee_underflow 0
		.amdhsa_exception_fp_ieee_inexact 0
		.amdhsa_exception_int_div_zero 0
	.end_amdhsa_kernel
	.section	.text._ZL23rocblas_trmm_lTx_kernelILi32ELb1EddKPKdKPdEv13rocblas_fill_17rocblas_diagonal_iiT2_lPT3_llS9_llPT4_lli,"axG",@progbits,_ZL23rocblas_trmm_lTx_kernelILi32ELb1EddKPKdKPdEv13rocblas_fill_17rocblas_diagonal_iiT2_lPT3_llS9_llPT4_lli,comdat
.Lfunc_end161:
	.size	_ZL23rocblas_trmm_lTx_kernelILi32ELb1EddKPKdKPdEv13rocblas_fill_17rocblas_diagonal_iiT2_lPT3_llS9_llPT4_lli, .Lfunc_end161-_ZL23rocblas_trmm_lTx_kernelILi32ELb1EddKPKdKPdEv13rocblas_fill_17rocblas_diagonal_iiT2_lPT3_llS9_llPT4_lli
                                        ; -- End function
	.section	.AMDGPU.csdata,"",@progbits
; Kernel info:
; codeLenInByte = 1248
; NumSgprs: 36
; NumVgprs: 33
; NumAgprs: 0
; TotalNumVgprs: 33
; ScratchSize: 0
; MemoryBound: 0
; FloatMode: 240
; IeeeMode: 1
; LDSByteSize: 16384 bytes/workgroup (compile time only)
; SGPRBlocks: 4
; VGPRBlocks: 4
; NumSGPRsForWavesPerEU: 36
; NumVGPRsForWavesPerEU: 33
; AccumOffset: 36
; Occupancy: 8
; WaveLimiterHint : 1
; COMPUTE_PGM_RSRC2:SCRATCH_EN: 0
; COMPUTE_PGM_RSRC2:USER_SGPR: 6
; COMPUTE_PGM_RSRC2:TRAP_HANDLER: 0
; COMPUTE_PGM_RSRC2:TGID_X_EN: 1
; COMPUTE_PGM_RSRC2:TGID_Y_EN: 0
; COMPUTE_PGM_RSRC2:TGID_Z_EN: 1
; COMPUTE_PGM_RSRC2:TIDIG_COMP_CNT: 1
; COMPUTE_PGM_RSRC3_GFX90A:ACCUM_OFFSET: 8
; COMPUTE_PGM_RSRC3_GFX90A:TG_SPLIT: 0
	.section	.text._ZL23rocblas_trmm_rNx_kernelILi32EdPKdKS1_KPdEv13rocblas_fill_17rocblas_diagonal_iiT1_lPT2_llS9_llPT3_lli,"axG",@progbits,_ZL23rocblas_trmm_rNx_kernelILi32EdPKdKS1_KPdEv13rocblas_fill_17rocblas_diagonal_iiT1_lPT2_llS9_llPT3_lli,comdat
	.globl	_ZL23rocblas_trmm_rNx_kernelILi32EdPKdKS1_KPdEv13rocblas_fill_17rocblas_diagonal_iiT1_lPT2_llS9_llPT3_lli ; -- Begin function _ZL23rocblas_trmm_rNx_kernelILi32EdPKdKS1_KPdEv13rocblas_fill_17rocblas_diagonal_iiT1_lPT2_llS9_llPT3_lli
	.p2align	8
	.type	_ZL23rocblas_trmm_rNx_kernelILi32EdPKdKS1_KPdEv13rocblas_fill_17rocblas_diagonal_iiT1_lPT2_llS9_llPT3_lli,@function
_ZL23rocblas_trmm_rNx_kernelILi32EdPKdKS1_KPdEv13rocblas_fill_17rocblas_diagonal_iiT1_lPT2_llS9_llPT3_lli: ; @_ZL23rocblas_trmm_rNx_kernelILi32EdPKdKS1_KPdEv13rocblas_fill_17rocblas_diagonal_iiT1_lPT2_llS9_llPT3_lli
; %bb.0:
	s_load_dwordx16 s[8:23], s[4:5], 0x10
	s_waitcnt lgkmcnt(0)
	s_mul_i32 s0, s7, s11
	s_mul_hi_u32 s1, s7, s10
	s_add_i32 s1, s1, s0
	s_mul_i32 s0, s7, s10
	s_lshl_b64 s[0:1], s[0:1], 3
	s_add_u32 s0, s8, s0
	s_addc_u32 s1, s9, s1
	s_load_dwordx2 s[24:25], s[0:1], 0x0
	s_waitcnt lgkmcnt(0)
	v_cmp_eq_f64_e64 s[0:1], s[24:25], 0
	s_and_b64 vcc, exec, s[0:1]
	s_cbranch_vccnz .LBB162_15
; %bb.1:
	s_load_dwordx4 s[8:11], s[4:5], 0x0
	s_load_dwordx4 s[0:3], s[4:5], 0x50
	s_mov_b32 s28, s7
	s_mov_b32 s29, 0
	s_lshl_b64 s[30:31], s[28:29], 3
	s_add_u32 s18, s18, s30
	s_addc_u32 s19, s19, s31
	s_waitcnt lgkmcnt(0)
	s_add_u32 s0, s0, s30
	s_addc_u32 s1, s1, s31
	s_load_dwordx2 s[26:27], s[18:19], 0x0
	v_and_b32_e32 v4, 0x3ff, v0
	s_load_dwordx2 s[18:19], s[0:1], 0x0
	v_bfe_u32 v2, v0, 10, 10
	v_lshlrev_b32_e32 v0, 5, v2
	s_mov_b32 s28, s29
	v_cmp_gt_i32_e32 vcc, s11, v2
	v_cmp_gt_i32_e64 s[0:1], s11, v4
	v_add_lshl_u32 v1, v0, v4, 3
	v_pk_mov_b32 v[6:7], s[28:29], s[28:29] op_sel:[0,1]
	s_and_b64 s[0:1], vcc, s[0:1]
	v_lshlrev_b32_e32 v3, 3, v4
	ds_write2st64_b64 v1, v[6:7], v[6:7] offset1:16
	s_and_saveexec_b64 s[28:29], s[0:1]
	s_cbranch_execz .LBB162_3
; %bb.2:
	s_add_u32 s0, s12, s30
	s_addc_u32 s1, s13, s31
	s_load_dwordx2 s[0:1], s[0:1], 0x0
	v_mad_u64_u32 v[6:7], s[12:13], v2, s14, 0
	s_lshl_b64 s[12:13], s[16:17], 3
	v_mov_b32_e32 v8, v7
	s_waitcnt lgkmcnt(0)
	s_add_u32 s7, s0, s12
	s_addc_u32 s11, s1, s13
	v_mad_u64_u32 v[8:9], s[0:1], v2, s15, v[8:9]
	v_mov_b32_e32 v7, v8
	v_lshlrev_b64 v[6:7], 3, v[6:7]
	v_mov_b32_e32 v5, s11
	v_add_co_u32_e64 v6, s[0:1], s7, v6
	v_addc_co_u32_e64 v5, s[0:1], v5, v7, s[0:1]
	v_add_co_u32_e64 v6, s[0:1], v6, v3
	v_addc_co_u32_e64 v7, s[0:1], 0, v5, s[0:1]
	global_load_dwordx2 v[6:7], v[6:7], off
	s_waitcnt vmcnt(0)
	ds_write_b64 v1, v[6:7]
.LBB162_3:
	s_or_b64 exec, exec, s[28:29]
	s_add_i32 s0, s10, -1
	s_ashr_i32 s1, s0, 31
	s_lshr_b32 s1, s1, 27
	s_add_i32 s0, s0, s1
	s_ashr_i32 s1, s0, 5
	s_andn2_b32 s0, s0, 31
	s_sub_i32 s0, s10, s0
	s_cmp_ge_i32 s6, s1
	s_cselect_b32 s0, s0, 32
	s_lshl_b32 s6, s6, 5
	v_cmp_gt_i32_e64 s[0:1], s0, v4
	s_ashr_i32 s7, s6, 31
	s_and_b64 s[0:1], vcc, s[0:1]
	s_and_saveexec_b64 s[10:11], s[0:1]
	s_cbranch_execz .LBB162_5
; %bb.4:
	s_lshl_b64 s[12:13], s[22:23], 3
	s_waitcnt lgkmcnt(0)
	s_add_u32 s14, s26, s12
	s_addc_u32 s15, s27, s13
	s_lshl_b64 s[12:13], s[6:7], 3
	s_add_u32 s14, s14, s12
	s_addc_u32 s15, s15, s13
	v_mad_u64_u32 v[6:7], s[12:13], v2, s20, 0
	v_mov_b32_e32 v8, v7
	v_mad_u64_u32 v[8:9], s[12:13], v2, s21, v[8:9]
	v_mov_b32_e32 v7, v8
	v_lshlrev_b64 v[6:7], 3, v[6:7]
	v_mov_b32_e32 v5, s15
	v_add_co_u32_e32 v6, vcc, s14, v6
	v_addc_co_u32_e32 v5, vcc, v5, v7, vcc
	v_add_co_u32_e32 v6, vcc, v6, v3
	v_addc_co_u32_e32 v7, vcc, 0, v5, vcc
	global_load_dwordx2 v[6:7], v[6:7], off
	v_add_u32_e32 v5, 0x2000, v1
	s_waitcnt vmcnt(0)
	ds_write_b64 v5, v[6:7]
.LBB162_5:
	s_or_b64 exec, exec, s[10:11]
	s_cmpk_eq_i32 s9, 0x84
	s_cselect_b64 s[10:11], -1, 0
	v_cmp_eq_u32_e32 vcc, v2, v4
	s_and_b64 s[12:13], vcc, s[10:11]
	s_and_saveexec_b64 s[10:11], s[12:13]
	s_cbranch_execz .LBB162_7
; %bb.6:
	v_mov_b32_e32 v6, 0
	v_mov_b32_e32 v7, 0x3ff00000
	ds_write_b64 v1, v[6:7]
.LBB162_7:
	s_or_b64 exec, exec, s[10:11]
	s_cmpk_lg_i32 s8, 0x79
	s_cbranch_scc0 .LBB162_9
; %bb.8:
	v_cmp_lt_u32_e32 vcc, v4, v2
	s_and_b64 s[8:9], vcc, exec
	s_cbranch_execz .LBB162_10
	s_branch .LBB162_11
.LBB162_9:
	s_mov_b64 s[8:9], 0
.LBB162_10:
	v_cmp_gt_u32_e32 vcc, v4, v2
	s_andn2_b64 s[8:9], s[8:9], exec
	s_and_b64 s[10:11], vcc, exec
	s_or_b64 s[8:9], s[8:9], s[10:11]
.LBB162_11:
	s_and_saveexec_b64 s[10:11], s[8:9]
	s_cbranch_execz .LBB162_13
; %bb.12:
	v_mov_b32_e32 v4, 0
	v_mov_b32_e32 v5, v4
	ds_write_b64 v1, v[4:5]
.LBB162_13:
	s_or_b64 exec, exec, s[10:11]
	s_waitcnt lgkmcnt(0)
	s_barrier
	s_and_saveexec_b64 s[8:9], s[0:1]
	s_cbranch_execz .LBB162_15
; %bb.14:
	v_add_u32_e32 v32, 0x2000, v3
	ds_read2_b64 v[4:7], v32 offset1:32
	v_lshlrev_b32_e32 v33, 3, v0
	ds_read_b128 v[8:11], v33
	ds_read_b128 v[12:15], v33 offset:16
	ds_read2_b64 v[16:19], v32 offset0:64 offset1:96
	ds_read_b128 v[20:23], v33 offset:32
	ds_read_b128 v[24:27], v33 offset:48
	ds_read2_b64 v[28:31], v32 offset0:128 offset1:160
	s_load_dwordx2 s[0:1], s[4:5], 0x60
	s_waitcnt lgkmcnt(0)
	v_fma_f64 v[0:1], v[4:5], v[8:9], 0
	v_fmac_f64_e32 v[0:1], v[6:7], v[10:11]
	ds_read2_b64 v[4:7], v32 offset0:192 offset1:224
	v_fmac_f64_e32 v[0:1], v[16:17], v[12:13]
	v_fmac_f64_e32 v[0:1], v[18:19], v[14:15]
	;; [unrolled: 1-line block ×3, first 2 shown]
	v_add_u32_e32 v28, 0x2800, v3
	v_fmac_f64_e32 v[0:1], v[30:31], v[22:23]
	ds_read2_b64 v[8:11], v28 offset1:32
	ds_read_b128 v[12:15], v33 offset:64
	s_waitcnt lgkmcnt(2)
	v_fmac_f64_e32 v[0:1], v[4:5], v[24:25]
	v_fmac_f64_e32 v[0:1], v[6:7], v[26:27]
	ds_read2_b64 v[4:7], v28 offset0:64 offset1:96
	ds_read_b128 v[16:19], v33 offset:80
	ds_read2_b64 v[20:23], v28 offset0:128 offset1:160
	ds_read_b128 v[24:27], v33 offset:96
	s_waitcnt lgkmcnt(4)
	v_fmac_f64_e32 v[0:1], v[8:9], v[12:13]
	v_fmac_f64_e32 v[0:1], v[10:11], v[14:15]
	ds_read2_b64 v[8:11], v28 offset0:192 offset1:224
	s_waitcnt lgkmcnt(3)
	v_fmac_f64_e32 v[0:1], v[4:5], v[16:17]
	v_fmac_f64_e32 v[0:1], v[6:7], v[18:19]
	ds_read_b128 v[4:7], v33 offset:112
	s_waitcnt lgkmcnt(2)
	v_fmac_f64_e32 v[0:1], v[20:21], v[24:25]
	v_add_u32_e32 v28, 0x3000, v3
	v_fmac_f64_e32 v[0:1], v[22:23], v[26:27]
	ds_read2_b64 v[12:15], v28 offset1:32
	ds_read_b128 v[16:19], v33 offset:128
	s_waitcnt lgkmcnt(2)
	v_fmac_f64_e32 v[0:1], v[8:9], v[4:5]
	v_fmac_f64_e32 v[0:1], v[10:11], v[6:7]
	ds_read2_b64 v[4:7], v28 offset0:64 offset1:96
	ds_read_b128 v[8:11], v33 offset:144
	ds_read2_b64 v[20:23], v28 offset0:128 offset1:160
	ds_read_b128 v[24:27], v33 offset:160
	s_waitcnt lgkmcnt(4)
	v_fmac_f64_e32 v[0:1], v[12:13], v[16:17]
	v_fmac_f64_e32 v[0:1], v[14:15], v[18:19]
	s_lshl_b64 s[0:1], s[0:1], 3
	s_waitcnt lgkmcnt(2)
	v_fmac_f64_e32 v[0:1], v[4:5], v[8:9]
	v_fmac_f64_e32 v[0:1], v[6:7], v[10:11]
	ds_read_b128 v[4:7], v33 offset:176
	ds_read2_b64 v[8:11], v28 offset0:192 offset1:224
	s_waitcnt lgkmcnt(2)
	v_fmac_f64_e32 v[0:1], v[20:21], v[24:25]
	v_add_u32_e32 v20, 0x3800, v3
	ds_read2_b64 v[12:15], v20 offset1:32
	ds_read_b128 v[16:19], v33 offset:192
	v_fmac_f64_e32 v[0:1], v[22:23], v[26:27]
	s_waitcnt lgkmcnt(2)
	v_fmac_f64_e32 v[0:1], v[8:9], v[4:5]
	v_fmac_f64_e32 v[0:1], v[10:11], v[6:7]
	ds_read_b128 v[4:7], v33 offset:208
	s_add_u32 s4, s18, s0
	s_addc_u32 s5, s19, s1
	s_lshl_b64 s[0:1], s[6:7], 3
	s_waitcnt lgkmcnt(1)
	v_fmac_f64_e32 v[0:1], v[12:13], v[16:17]
	s_add_u32 s0, s4, s0
	v_fmac_f64_e32 v[0:1], v[14:15], v[18:19]
	ds_read2_b64 v[8:11], v20 offset0:64 offset1:96
	ds_read2_b64 v[12:15], v20 offset0:128 offset1:160
	ds_read_b128 v[16:19], v33 offset:224
	ds_read2_b64 v[20:23], v20 offset0:192 offset1:224
	ds_read_b128 v[24:27], v33 offset:240
	s_addc_u32 s1, s5, s1
	s_waitcnt lgkmcnt(4)
	v_fmac_f64_e32 v[0:1], v[8:9], v[4:5]
	v_mad_u64_u32 v[4:5], s[4:5], v2, s2, 0
	v_fmac_f64_e32 v[0:1], v[10:11], v[6:7]
	v_mov_b32_e32 v6, v5
	v_mad_u64_u32 v[6:7], s[2:3], v2, s3, v[6:7]
	v_mov_b32_e32 v5, v6
	s_waitcnt lgkmcnt(2)
	v_fmac_f64_e32 v[0:1], v[12:13], v[16:17]
	v_lshlrev_b64 v[4:5], 3, v[4:5]
	v_fmac_f64_e32 v[0:1], v[14:15], v[18:19]
	v_mov_b32_e32 v2, s1
	v_add_co_u32_e32 v4, vcc, s0, v4
	s_waitcnt lgkmcnt(0)
	v_fmac_f64_e32 v[0:1], v[20:21], v[24:25]
	v_addc_co_u32_e32 v5, vcc, v2, v5, vcc
	v_fmac_f64_e32 v[0:1], v[22:23], v[26:27]
	v_add_co_u32_e32 v2, vcc, v4, v3
	v_mul_f64 v[0:1], s[24:25], v[0:1]
	v_addc_co_u32_e32 v3, vcc, 0, v5, vcc
	global_store_dwordx2 v[2:3], v[0:1], off
.LBB162_15:
	s_endpgm
	.section	.rodata,"a",@progbits
	.p2align	6, 0x0
	.amdhsa_kernel _ZL23rocblas_trmm_rNx_kernelILi32EdPKdKS1_KPdEv13rocblas_fill_17rocblas_diagonal_iiT1_lPT2_llS9_llPT3_lli
		.amdhsa_group_segment_fixed_size 16384
		.amdhsa_private_segment_fixed_size 0
		.amdhsa_kernarg_size 108
		.amdhsa_user_sgpr_count 6
		.amdhsa_user_sgpr_private_segment_buffer 1
		.amdhsa_user_sgpr_dispatch_ptr 0
		.amdhsa_user_sgpr_queue_ptr 0
		.amdhsa_user_sgpr_kernarg_segment_ptr 1
		.amdhsa_user_sgpr_dispatch_id 0
		.amdhsa_user_sgpr_flat_scratch_init 0
		.amdhsa_user_sgpr_kernarg_preload_length 0
		.amdhsa_user_sgpr_kernarg_preload_offset 0
		.amdhsa_user_sgpr_private_segment_size 0
		.amdhsa_uses_dynamic_stack 0
		.amdhsa_system_sgpr_private_segment_wavefront_offset 0
		.amdhsa_system_sgpr_workgroup_id_x 1
		.amdhsa_system_sgpr_workgroup_id_y 0
		.amdhsa_system_sgpr_workgroup_id_z 1
		.amdhsa_system_sgpr_workgroup_info 0
		.amdhsa_system_vgpr_workitem_id 1
		.amdhsa_next_free_vgpr 34
		.amdhsa_next_free_sgpr 32
		.amdhsa_accum_offset 36
		.amdhsa_reserve_vcc 1
		.amdhsa_reserve_flat_scratch 0
		.amdhsa_float_round_mode_32 0
		.amdhsa_float_round_mode_16_64 0
		.amdhsa_float_denorm_mode_32 3
		.amdhsa_float_denorm_mode_16_64 3
		.amdhsa_dx10_clamp 1
		.amdhsa_ieee_mode 1
		.amdhsa_fp16_overflow 0
		.amdhsa_tg_split 0
		.amdhsa_exception_fp_ieee_invalid_op 0
		.amdhsa_exception_fp_denorm_src 0
		.amdhsa_exception_fp_ieee_div_zero 0
		.amdhsa_exception_fp_ieee_overflow 0
		.amdhsa_exception_fp_ieee_underflow 0
		.amdhsa_exception_fp_ieee_inexact 0
		.amdhsa_exception_int_div_zero 0
	.end_amdhsa_kernel
	.section	.text._ZL23rocblas_trmm_rNx_kernelILi32EdPKdKS1_KPdEv13rocblas_fill_17rocblas_diagonal_iiT1_lPT2_llS9_llPT3_lli,"axG",@progbits,_ZL23rocblas_trmm_rNx_kernelILi32EdPKdKS1_KPdEv13rocblas_fill_17rocblas_diagonal_iiT1_lPT2_llS9_llPT3_lli,comdat
.Lfunc_end162:
	.size	_ZL23rocblas_trmm_rNx_kernelILi32EdPKdKS1_KPdEv13rocblas_fill_17rocblas_diagonal_iiT1_lPT2_llS9_llPT3_lli, .Lfunc_end162-_ZL23rocblas_trmm_rNx_kernelILi32EdPKdKS1_KPdEv13rocblas_fill_17rocblas_diagonal_iiT1_lPT2_llS9_llPT3_lli
                                        ; -- End function
	.section	.AMDGPU.csdata,"",@progbits
; Kernel info:
; codeLenInByte = 1228
; NumSgprs: 36
; NumVgprs: 34
; NumAgprs: 0
; TotalNumVgprs: 34
; ScratchSize: 0
; MemoryBound: 0
; FloatMode: 240
; IeeeMode: 1
; LDSByteSize: 16384 bytes/workgroup (compile time only)
; SGPRBlocks: 4
; VGPRBlocks: 4
; NumSGPRsForWavesPerEU: 36
; NumVGPRsForWavesPerEU: 34
; AccumOffset: 36
; Occupancy: 8
; WaveLimiterHint : 1
; COMPUTE_PGM_RSRC2:SCRATCH_EN: 0
; COMPUTE_PGM_RSRC2:USER_SGPR: 6
; COMPUTE_PGM_RSRC2:TRAP_HANDLER: 0
; COMPUTE_PGM_RSRC2:TGID_X_EN: 1
; COMPUTE_PGM_RSRC2:TGID_Y_EN: 0
; COMPUTE_PGM_RSRC2:TGID_Z_EN: 1
; COMPUTE_PGM_RSRC2:TIDIG_COMP_CNT: 1
; COMPUTE_PGM_RSRC3_GFX90A:ACCUM_OFFSET: 8
; COMPUTE_PGM_RSRC3_GFX90A:TG_SPLIT: 0
	.section	.text._ZL23rocblas_trmm_rNx_kernelILi32EddKPKdKPdEv13rocblas_fill_17rocblas_diagonal_iiT1_lPT2_llS9_llPT3_lli,"axG",@progbits,_ZL23rocblas_trmm_rNx_kernelILi32EddKPKdKPdEv13rocblas_fill_17rocblas_diagonal_iiT1_lPT2_llS9_llPT3_lli,comdat
	.globl	_ZL23rocblas_trmm_rNx_kernelILi32EddKPKdKPdEv13rocblas_fill_17rocblas_diagonal_iiT1_lPT2_llS9_llPT3_lli ; -- Begin function _ZL23rocblas_trmm_rNx_kernelILi32EddKPKdKPdEv13rocblas_fill_17rocblas_diagonal_iiT1_lPT2_llS9_llPT3_lli
	.p2align	8
	.type	_ZL23rocblas_trmm_rNx_kernelILi32EddKPKdKPdEv13rocblas_fill_17rocblas_diagonal_iiT1_lPT2_llS9_llPT3_lli,@function
_ZL23rocblas_trmm_rNx_kernelILi32EddKPKdKPdEv13rocblas_fill_17rocblas_diagonal_iiT1_lPT2_llS9_llPT3_lli: ; @_ZL23rocblas_trmm_rNx_kernelILi32EddKPKdKPdEv13rocblas_fill_17rocblas_diagonal_iiT1_lPT2_llS9_llPT3_lli
; %bb.0:
	s_load_dwordx2 s[2:3], s[4:5], 0x10
	s_waitcnt lgkmcnt(0)
	v_cmp_eq_f64_e64 s[8:9], s[2:3], 0
	s_and_b64 vcc, exec, s[8:9]
	s_cbranch_vccnz .LBB163_15
; %bb.1:
	s_load_dwordx4 s[24:27], s[4:5], 0x0
	s_load_dwordx16 s[8:23], s[4:5], 0x20
	s_mov_b32 s0, s7
	s_mov_b32 s1, 0
	s_lshl_b64 s[30:31], s[0:1], 3
	v_and_b32_e32 v4, 0x3ff, v0
	s_waitcnt lgkmcnt(0)
	s_add_u32 s14, s14, s30
	s_addc_u32 s15, s15, s31
	s_load_dwordx2 s[28:29], s[14:15], 0x0
	s_add_u32 s14, s20, s30
	s_addc_u32 s15, s21, s31
	s_load_dwordx2 s[14:15], s[14:15], 0x0
	v_bfe_u32 v2, v0, 10, 10
	s_mov_b32 s0, s1
	v_lshlrev_b32_e32 v0, 5, v2
	v_pk_mov_b32 v[6:7], s[0:1], s[0:1] op_sel:[0,1]
	v_cmp_gt_i32_e32 vcc, s27, v2
	v_cmp_gt_i32_e64 s[0:1], s27, v4
	v_add_lshl_u32 v1, v0, v4, 3
	s_and_b64 s[0:1], vcc, s[0:1]
	v_lshlrev_b32_e32 v3, 3, v4
	ds_write2st64_b64 v1, v[6:7], v[6:7] offset1:16
	s_and_saveexec_b64 s[20:21], s[0:1]
	s_cbranch_execz .LBB163_3
; %bb.2:
	s_add_u32 s0, s8, s30
	s_addc_u32 s1, s9, s31
	s_load_dwordx2 s[0:1], s[0:1], 0x0
	v_mad_u64_u32 v[6:7], s[8:9], v2, s10, 0
	s_lshl_b64 s[8:9], s[12:13], 3
	v_mov_b32_e32 v8, v7
	s_waitcnt lgkmcnt(0)
	s_add_u32 s7, s0, s8
	s_addc_u32 s8, s1, s9
	v_mad_u64_u32 v[8:9], s[0:1], v2, s11, v[8:9]
	v_mov_b32_e32 v7, v8
	v_lshlrev_b64 v[6:7], 3, v[6:7]
	v_mov_b32_e32 v5, s8
	v_add_co_u32_e64 v6, s[0:1], s7, v6
	v_addc_co_u32_e64 v5, s[0:1], v5, v7, s[0:1]
	v_add_co_u32_e64 v6, s[0:1], v6, v3
	v_addc_co_u32_e64 v7, s[0:1], 0, v5, s[0:1]
	global_load_dwordx2 v[6:7], v[6:7], off
	s_waitcnt vmcnt(0)
	ds_write_b64 v1, v[6:7]
.LBB163_3:
	s_or_b64 exec, exec, s[20:21]
	s_add_i32 s0, s26, -1
	s_ashr_i32 s1, s0, 31
	s_lshr_b32 s1, s1, 27
	s_add_i32 s0, s0, s1
	s_ashr_i32 s1, s0, 5
	s_andn2_b32 s0, s0, 31
	s_sub_i32 s0, s26, s0
	s_cmp_ge_i32 s6, s1
	s_cselect_b32 s0, s0, 32
	s_lshl_b32 s6, s6, 5
	v_cmp_gt_i32_e64 s[0:1], s0, v4
	s_ashr_i32 s7, s6, 31
	s_and_b64 s[0:1], vcc, s[0:1]
	s_and_saveexec_b64 s[8:9], s[0:1]
	s_cbranch_execz .LBB163_5
; %bb.4:
	s_lshl_b64 s[10:11], s[18:19], 3
	s_waitcnt lgkmcnt(0)
	s_add_u32 s12, s28, s10
	s_addc_u32 s13, s29, s11
	s_lshl_b64 s[10:11], s[6:7], 3
	s_add_u32 s12, s12, s10
	s_addc_u32 s13, s13, s11
	v_mad_u64_u32 v[6:7], s[10:11], v2, s16, 0
	v_mov_b32_e32 v8, v7
	v_mad_u64_u32 v[8:9], s[10:11], v2, s17, v[8:9]
	v_mov_b32_e32 v7, v8
	v_lshlrev_b64 v[6:7], 3, v[6:7]
	v_mov_b32_e32 v5, s13
	v_add_co_u32_e32 v6, vcc, s12, v6
	v_addc_co_u32_e32 v5, vcc, v5, v7, vcc
	v_add_co_u32_e32 v6, vcc, v6, v3
	v_addc_co_u32_e32 v7, vcc, 0, v5, vcc
	global_load_dwordx2 v[6:7], v[6:7], off
	v_add_u32_e32 v5, 0x2000, v1
	s_waitcnt vmcnt(0)
	ds_write_b64 v5, v[6:7]
.LBB163_5:
	s_or_b64 exec, exec, s[8:9]
	s_cmpk_eq_i32 s25, 0x84
	s_cselect_b64 s[8:9], -1, 0
	v_cmp_eq_u32_e32 vcc, v2, v4
	s_and_b64 s[10:11], vcc, s[8:9]
	s_and_saveexec_b64 s[8:9], s[10:11]
	s_cbranch_execz .LBB163_7
; %bb.6:
	v_mov_b32_e32 v6, 0
	v_mov_b32_e32 v7, 0x3ff00000
	ds_write_b64 v1, v[6:7]
.LBB163_7:
	s_or_b64 exec, exec, s[8:9]
	s_cmpk_lg_i32 s24, 0x79
	s_cbranch_scc0 .LBB163_9
; %bb.8:
	v_cmp_lt_u32_e32 vcc, v4, v2
	s_and_b64 s[8:9], vcc, exec
	s_cbranch_execz .LBB163_10
	s_branch .LBB163_11
.LBB163_9:
	s_mov_b64 s[8:9], 0
.LBB163_10:
	v_cmp_gt_u32_e32 vcc, v4, v2
	s_andn2_b64 s[8:9], s[8:9], exec
	s_and_b64 s[10:11], vcc, exec
	s_or_b64 s[8:9], s[8:9], s[10:11]
.LBB163_11:
	s_and_saveexec_b64 s[10:11], s[8:9]
	s_cbranch_execz .LBB163_13
; %bb.12:
	v_mov_b32_e32 v4, 0
	v_mov_b32_e32 v5, v4
	ds_write_b64 v1, v[4:5]
.LBB163_13:
	s_or_b64 exec, exec, s[10:11]
	s_waitcnt lgkmcnt(0)
	s_barrier
	s_and_saveexec_b64 s[8:9], s[0:1]
	s_cbranch_execz .LBB163_15
; %bb.14:
	v_add_u32_e32 v32, 0x2000, v3
	ds_read2_b64 v[4:7], v32 offset1:32
	v_lshlrev_b32_e32 v33, 3, v0
	ds_read_b128 v[8:11], v33
	ds_read_b128 v[12:15], v33 offset:16
	ds_read2_b64 v[16:19], v32 offset0:64 offset1:96
	ds_read_b128 v[20:23], v33 offset:32
	ds_read_b128 v[24:27], v33 offset:48
	ds_read2_b64 v[28:31], v32 offset0:128 offset1:160
	s_load_dwordx2 s[0:1], s[4:5], 0x60
	s_waitcnt lgkmcnt(0)
	v_fma_f64 v[0:1], v[4:5], v[8:9], 0
	v_fmac_f64_e32 v[0:1], v[6:7], v[10:11]
	ds_read2_b64 v[4:7], v32 offset0:192 offset1:224
	v_fmac_f64_e32 v[0:1], v[16:17], v[12:13]
	v_fmac_f64_e32 v[0:1], v[18:19], v[14:15]
	v_fmac_f64_e32 v[0:1], v[28:29], v[20:21]
	v_add_u32_e32 v28, 0x2800, v3
	v_fmac_f64_e32 v[0:1], v[30:31], v[22:23]
	ds_read2_b64 v[8:11], v28 offset1:32
	ds_read_b128 v[12:15], v33 offset:64
	s_waitcnt lgkmcnt(2)
	v_fmac_f64_e32 v[0:1], v[4:5], v[24:25]
	v_fmac_f64_e32 v[0:1], v[6:7], v[26:27]
	ds_read2_b64 v[4:7], v28 offset0:64 offset1:96
	ds_read_b128 v[16:19], v33 offset:80
	ds_read2_b64 v[20:23], v28 offset0:128 offset1:160
	ds_read_b128 v[24:27], v33 offset:96
	s_waitcnt lgkmcnt(4)
	v_fmac_f64_e32 v[0:1], v[8:9], v[12:13]
	v_fmac_f64_e32 v[0:1], v[10:11], v[14:15]
	ds_read2_b64 v[8:11], v28 offset0:192 offset1:224
	s_waitcnt lgkmcnt(3)
	v_fmac_f64_e32 v[0:1], v[4:5], v[16:17]
	v_fmac_f64_e32 v[0:1], v[6:7], v[18:19]
	ds_read_b128 v[4:7], v33 offset:112
	s_waitcnt lgkmcnt(2)
	v_fmac_f64_e32 v[0:1], v[20:21], v[24:25]
	v_add_u32_e32 v28, 0x3000, v3
	v_fmac_f64_e32 v[0:1], v[22:23], v[26:27]
	ds_read2_b64 v[12:15], v28 offset1:32
	ds_read_b128 v[16:19], v33 offset:128
	s_waitcnt lgkmcnt(2)
	v_fmac_f64_e32 v[0:1], v[8:9], v[4:5]
	v_fmac_f64_e32 v[0:1], v[10:11], v[6:7]
	ds_read2_b64 v[4:7], v28 offset0:64 offset1:96
	ds_read_b128 v[8:11], v33 offset:144
	ds_read2_b64 v[20:23], v28 offset0:128 offset1:160
	ds_read_b128 v[24:27], v33 offset:160
	s_waitcnt lgkmcnt(4)
	v_fmac_f64_e32 v[0:1], v[12:13], v[16:17]
	v_fmac_f64_e32 v[0:1], v[14:15], v[18:19]
	s_lshl_b64 s[0:1], s[0:1], 3
	s_waitcnt lgkmcnt(2)
	v_fmac_f64_e32 v[0:1], v[4:5], v[8:9]
	v_fmac_f64_e32 v[0:1], v[6:7], v[10:11]
	ds_read_b128 v[4:7], v33 offset:176
	ds_read2_b64 v[8:11], v28 offset0:192 offset1:224
	s_waitcnt lgkmcnt(2)
	v_fmac_f64_e32 v[0:1], v[20:21], v[24:25]
	v_add_u32_e32 v20, 0x3800, v3
	ds_read2_b64 v[12:15], v20 offset1:32
	ds_read_b128 v[16:19], v33 offset:192
	v_fmac_f64_e32 v[0:1], v[22:23], v[26:27]
	s_waitcnt lgkmcnt(2)
	v_fmac_f64_e32 v[0:1], v[8:9], v[4:5]
	v_fmac_f64_e32 v[0:1], v[10:11], v[6:7]
	ds_read_b128 v[4:7], v33 offset:208
	s_waitcnt lgkmcnt(1)
	v_fmac_f64_e32 v[0:1], v[12:13], v[16:17]
	v_fmac_f64_e32 v[0:1], v[14:15], v[18:19]
	ds_read2_b64 v[8:11], v20 offset0:64 offset1:96
	ds_read2_b64 v[12:15], v20 offset0:128 offset1:160
	ds_read_b128 v[16:19], v33 offset:224
	ds_read2_b64 v[20:23], v20 offset0:192 offset1:224
	ds_read_b128 v[24:27], v33 offset:240
	s_add_u32 s4, s14, s0
	s_waitcnt lgkmcnt(4)
	v_fmac_f64_e32 v[0:1], v[8:9], v[4:5]
	v_fmac_f64_e32 v[0:1], v[10:11], v[6:7]
	s_waitcnt lgkmcnt(2)
	v_fmac_f64_e32 v[0:1], v[12:13], v[16:17]
	v_fmac_f64_e32 v[0:1], v[14:15], v[18:19]
	;; [unrolled: 3-line block ×3, first 2 shown]
	v_mul_f64 v[0:1], v[0:1], s[2:3]
	v_mad_u64_u32 v[4:5], s[2:3], v2, s22, 0
	v_mov_b32_e32 v6, v5
	s_addc_u32 s5, s15, s1
	s_lshl_b64 s[0:1], s[6:7], 3
	v_mad_u64_u32 v[6:7], s[2:3], v2, s23, v[6:7]
	s_add_u32 s0, s4, s0
	v_mov_b32_e32 v5, v6
	s_addc_u32 s1, s5, s1
	v_lshlrev_b64 v[4:5], 3, v[4:5]
	v_mov_b32_e32 v2, s1
	v_add_co_u32_e32 v4, vcc, s0, v4
	v_addc_co_u32_e32 v5, vcc, v2, v5, vcc
	v_add_co_u32_e32 v2, vcc, v4, v3
	v_addc_co_u32_e32 v3, vcc, 0, v5, vcc
	global_store_dwordx2 v[2:3], v[0:1], off
.LBB163_15:
	s_endpgm
	.section	.rodata,"a",@progbits
	.p2align	6, 0x0
	.amdhsa_kernel _ZL23rocblas_trmm_rNx_kernelILi32EddKPKdKPdEv13rocblas_fill_17rocblas_diagonal_iiT1_lPT2_llS9_llPT3_lli
		.amdhsa_group_segment_fixed_size 16384
		.amdhsa_private_segment_fixed_size 0
		.amdhsa_kernarg_size 108
		.amdhsa_user_sgpr_count 6
		.amdhsa_user_sgpr_private_segment_buffer 1
		.amdhsa_user_sgpr_dispatch_ptr 0
		.amdhsa_user_sgpr_queue_ptr 0
		.amdhsa_user_sgpr_kernarg_segment_ptr 1
		.amdhsa_user_sgpr_dispatch_id 0
		.amdhsa_user_sgpr_flat_scratch_init 0
		.amdhsa_user_sgpr_kernarg_preload_length 0
		.amdhsa_user_sgpr_kernarg_preload_offset 0
		.amdhsa_user_sgpr_private_segment_size 0
		.amdhsa_uses_dynamic_stack 0
		.amdhsa_system_sgpr_private_segment_wavefront_offset 0
		.amdhsa_system_sgpr_workgroup_id_x 1
		.amdhsa_system_sgpr_workgroup_id_y 0
		.amdhsa_system_sgpr_workgroup_id_z 1
		.amdhsa_system_sgpr_workgroup_info 0
		.amdhsa_system_vgpr_workitem_id 1
		.amdhsa_next_free_vgpr 34
		.amdhsa_next_free_sgpr 32
		.amdhsa_accum_offset 36
		.amdhsa_reserve_vcc 1
		.amdhsa_reserve_flat_scratch 0
		.amdhsa_float_round_mode_32 0
		.amdhsa_float_round_mode_16_64 0
		.amdhsa_float_denorm_mode_32 3
		.amdhsa_float_denorm_mode_16_64 3
		.amdhsa_dx10_clamp 1
		.amdhsa_ieee_mode 1
		.amdhsa_fp16_overflow 0
		.amdhsa_tg_split 0
		.amdhsa_exception_fp_ieee_invalid_op 0
		.amdhsa_exception_fp_denorm_src 0
		.amdhsa_exception_fp_ieee_div_zero 0
		.amdhsa_exception_fp_ieee_overflow 0
		.amdhsa_exception_fp_ieee_underflow 0
		.amdhsa_exception_fp_ieee_inexact 0
		.amdhsa_exception_int_div_zero 0
	.end_amdhsa_kernel
	.section	.text._ZL23rocblas_trmm_rNx_kernelILi32EddKPKdKPdEv13rocblas_fill_17rocblas_diagonal_iiT1_lPT2_llS9_llPT3_lli,"axG",@progbits,_ZL23rocblas_trmm_rNx_kernelILi32EddKPKdKPdEv13rocblas_fill_17rocblas_diagonal_iiT1_lPT2_llS9_llPT3_lli,comdat
.Lfunc_end163:
	.size	_ZL23rocblas_trmm_rNx_kernelILi32EddKPKdKPdEv13rocblas_fill_17rocblas_diagonal_iiT1_lPT2_llS9_llPT3_lli, .Lfunc_end163-_ZL23rocblas_trmm_rNx_kernelILi32EddKPKdKPdEv13rocblas_fill_17rocblas_diagonal_iiT1_lPT2_llS9_llPT3_lli
                                        ; -- End function
	.section	.AMDGPU.csdata,"",@progbits
; Kernel info:
; codeLenInByte = 1188
; NumSgprs: 36
; NumVgprs: 34
; NumAgprs: 0
; TotalNumVgprs: 34
; ScratchSize: 0
; MemoryBound: 0
; FloatMode: 240
; IeeeMode: 1
; LDSByteSize: 16384 bytes/workgroup (compile time only)
; SGPRBlocks: 4
; VGPRBlocks: 4
; NumSGPRsForWavesPerEU: 36
; NumVGPRsForWavesPerEU: 34
; AccumOffset: 36
; Occupancy: 8
; WaveLimiterHint : 1
; COMPUTE_PGM_RSRC2:SCRATCH_EN: 0
; COMPUTE_PGM_RSRC2:USER_SGPR: 6
; COMPUTE_PGM_RSRC2:TRAP_HANDLER: 0
; COMPUTE_PGM_RSRC2:TGID_X_EN: 1
; COMPUTE_PGM_RSRC2:TGID_Y_EN: 0
; COMPUTE_PGM_RSRC2:TGID_Z_EN: 1
; COMPUTE_PGM_RSRC2:TIDIG_COMP_CNT: 1
; COMPUTE_PGM_RSRC3_GFX90A:ACCUM_OFFSET: 8
; COMPUTE_PGM_RSRC3_GFX90A:TG_SPLIT: 0
	.section	.text._ZL23rocblas_trmm_rTx_kernelILi32ELb0EdPKdKS1_KPdEv13rocblas_fill_17rocblas_diagonal_iiT2_lPT3_llS9_llPT4_lli,"axG",@progbits,_ZL23rocblas_trmm_rTx_kernelILi32ELb0EdPKdKS1_KPdEv13rocblas_fill_17rocblas_diagonal_iiT2_lPT3_llS9_llPT4_lli,comdat
	.globl	_ZL23rocblas_trmm_rTx_kernelILi32ELb0EdPKdKS1_KPdEv13rocblas_fill_17rocblas_diagonal_iiT2_lPT3_llS9_llPT4_lli ; -- Begin function _ZL23rocblas_trmm_rTx_kernelILi32ELb0EdPKdKS1_KPdEv13rocblas_fill_17rocblas_diagonal_iiT2_lPT3_llS9_llPT4_lli
	.p2align	8
	.type	_ZL23rocblas_trmm_rTx_kernelILi32ELb0EdPKdKS1_KPdEv13rocblas_fill_17rocblas_diagonal_iiT2_lPT3_llS9_llPT4_lli,@function
_ZL23rocblas_trmm_rTx_kernelILi32ELb0EdPKdKS1_KPdEv13rocblas_fill_17rocblas_diagonal_iiT2_lPT3_llS9_llPT4_lli: ; @_ZL23rocblas_trmm_rTx_kernelILi32ELb0EdPKdKS1_KPdEv13rocblas_fill_17rocblas_diagonal_iiT2_lPT3_llS9_llPT4_lli
; %bb.0:
	s_load_dwordx16 s[8:23], s[4:5], 0x10
	s_waitcnt lgkmcnt(0)
	s_mul_i32 s0, s7, s11
	s_mul_hi_u32 s1, s7, s10
	s_add_i32 s1, s1, s0
	s_mul_i32 s0, s7, s10
	s_lshl_b64 s[0:1], s[0:1], 3
	s_add_u32 s0, s8, s0
	s_addc_u32 s1, s9, s1
	s_load_dwordx2 s[24:25], s[0:1], 0x0
	s_waitcnt lgkmcnt(0)
	v_cmp_eq_f64_e64 s[0:1], s[24:25], 0
	s_and_b64 vcc, exec, s[0:1]
	s_cbranch_vccnz .LBB164_15
; %bb.1:
	s_load_dwordx4 s[8:11], s[4:5], 0x0
	s_load_dwordx4 s[0:3], s[4:5], 0x50
	s_mov_b32 s28, s7
	s_mov_b32 s29, 0
	s_lshl_b64 s[30:31], s[28:29], 3
	s_add_u32 s18, s18, s30
	s_addc_u32 s19, s19, s31
	s_waitcnt lgkmcnt(0)
	s_add_u32 s0, s0, s30
	s_addc_u32 s1, s1, s31
	s_load_dwordx2 s[26:27], s[18:19], 0x0
	v_and_b32_e32 v3, 0x3ff, v0
	s_load_dwordx2 s[18:19], s[0:1], 0x0
	v_bfe_u32 v0, v0, 10, 10
	v_lshlrev_b32_e32 v1, 5, v0
	s_mov_b32 s28, s29
	v_cmp_gt_i32_e32 vcc, s11, v0
	v_cmp_gt_i32_e64 s[0:1], s11, v3
	v_add_lshl_u32 v2, v1, v3, 3
	v_pk_mov_b32 v[4:5], s[28:29], s[28:29] op_sel:[0,1]
	s_and_b64 s[0:1], vcc, s[0:1]
	v_lshlrev_b32_e32 v1, 3, v3
	ds_write2st64_b64 v2, v[4:5], v[4:5] offset1:16
	s_and_saveexec_b64 s[28:29], s[0:1]
	s_cbranch_execz .LBB164_3
; %bb.2:
	s_add_u32 s0, s12, s30
	s_addc_u32 s1, s13, s31
	s_load_dwordx2 s[0:1], s[0:1], 0x0
	v_mad_u64_u32 v[4:5], s[12:13], v0, s14, 0
	s_lshl_b64 s[12:13], s[16:17], 3
	v_mov_b32_e32 v6, v5
	s_waitcnt lgkmcnt(0)
	s_add_u32 s7, s0, s12
	s_addc_u32 s11, s1, s13
	v_mad_u64_u32 v[6:7], s[0:1], v0, s15, v[6:7]
	v_mov_b32_e32 v5, v6
	v_lshlrev_b64 v[4:5], 3, v[4:5]
	v_mov_b32_e32 v6, s11
	v_add_co_u32_e64 v4, s[0:1], s7, v4
	v_addc_co_u32_e64 v5, s[0:1], v6, v5, s[0:1]
	v_add_co_u32_e64 v4, s[0:1], v4, v1
	v_addc_co_u32_e64 v5, s[0:1], 0, v5, s[0:1]
	global_load_dwordx2 v[4:5], v[4:5], off
	s_waitcnt vmcnt(0)
	ds_write_b64 v2, v[4:5]
.LBB164_3:
	s_or_b64 exec, exec, s[28:29]
	s_add_i32 s0, s10, -1
	s_ashr_i32 s1, s0, 31
	s_lshr_b32 s1, s1, 27
	s_add_i32 s0, s0, s1
	s_ashr_i32 s1, s0, 5
	s_andn2_b32 s0, s0, 31
	s_sub_i32 s0, s10, s0
	s_cmp_ge_i32 s6, s1
	s_cselect_b32 s0, s0, 32
	s_lshl_b32 s6, s6, 5
	v_cmp_gt_i32_e64 s[0:1], s0, v3
	s_ashr_i32 s7, s6, 31
	s_and_b64 s[0:1], vcc, s[0:1]
	s_and_saveexec_b64 s[10:11], s[0:1]
	s_cbranch_execz .LBB164_5
; %bb.4:
	s_lshl_b64 s[12:13], s[22:23], 3
	s_waitcnt lgkmcnt(0)
	s_add_u32 s14, s26, s12
	s_addc_u32 s15, s27, s13
	s_lshl_b64 s[12:13], s[6:7], 3
	s_add_u32 s14, s14, s12
	s_addc_u32 s15, s15, s13
	v_mad_u64_u32 v[4:5], s[12:13], v0, s20, 0
	v_mov_b32_e32 v6, v5
	v_mad_u64_u32 v[6:7], s[12:13], v0, s21, v[6:7]
	v_mov_b32_e32 v5, v6
	v_lshlrev_b64 v[4:5], 3, v[4:5]
	v_mov_b32_e32 v6, s15
	v_add_co_u32_e32 v4, vcc, s14, v4
	v_addc_co_u32_e32 v5, vcc, v6, v5, vcc
	v_add_co_u32_e32 v4, vcc, v4, v1
	v_addc_co_u32_e32 v5, vcc, 0, v5, vcc
	global_load_dwordx2 v[4:5], v[4:5], off
	v_add_u32_e32 v6, 0x2000, v2
	s_waitcnt vmcnt(0)
	ds_write_b64 v6, v[4:5]
.LBB164_5:
	s_or_b64 exec, exec, s[10:11]
	s_cmpk_eq_i32 s9, 0x84
	s_cselect_b64 s[10:11], -1, 0
	v_cmp_eq_u32_e32 vcc, v0, v3
	s_and_b64 s[12:13], vcc, s[10:11]
	s_and_saveexec_b64 s[10:11], s[12:13]
	s_cbranch_execz .LBB164_7
; %bb.6:
	v_mov_b32_e32 v4, 0
	v_mov_b32_e32 v5, 0x3ff00000
	ds_write_b64 v2, v[4:5]
.LBB164_7:
	s_or_b64 exec, exec, s[10:11]
	s_cmpk_lg_i32 s8, 0x79
	s_cbranch_scc0 .LBB164_9
; %bb.8:
	v_cmp_lt_u32_e32 vcc, v3, v0
	s_and_b64 s[8:9], vcc, exec
	s_cbranch_execz .LBB164_10
	s_branch .LBB164_11
.LBB164_9:
	s_mov_b64 s[8:9], 0
.LBB164_10:
	v_cmp_gt_u32_e32 vcc, v3, v0
	s_andn2_b64 s[8:9], s[8:9], exec
	s_and_b64 s[10:11], vcc, exec
	s_or_b64 s[8:9], s[8:9], s[10:11]
.LBB164_11:
	s_and_saveexec_b64 s[10:11], s[8:9]
	s_cbranch_execz .LBB164_13
; %bb.12:
	v_mov_b32_e32 v4, 0
	v_mov_b32_e32 v5, v4
	ds_write_b64 v2, v[4:5]
.LBB164_13:
	s_or_b64 exec, exec, s[10:11]
	s_waitcnt lgkmcnt(0)
	s_barrier
	s_and_saveexec_b64 s[8:9], s[0:1]
	s_cbranch_execz .LBB164_15
; %bb.14:
	v_add_u32_e32 v18, 0x2000, v1
	v_lshlrev_b32_e32 v28, 3, v0
	ds_read2_b64 v[2:5], v18 offset1:32
	ds_read2_b64 v[6:9], v28 offset1:32
	v_add_u32_e32 v29, 0x2800, v1
	v_add_u32_e32 v30, 0x800, v28
	s_load_dwordx2 s[0:1], s[4:5], 0x60
	s_waitcnt lgkmcnt(0)
	v_fma_f64 v[26:27], v[2:3], v[6:7], 0
	v_fmac_f64_e32 v[26:27], v[4:5], v[8:9]
	ds_read2_b64 v[2:5], v18 offset0:64 offset1:96
	ds_read2_b64 v[6:9], v28 offset0:64 offset1:96
	;; [unrolled: 1-line block ×6, first 2 shown]
	s_waitcnt lgkmcnt(4)
	v_fmac_f64_e32 v[26:27], v[2:3], v[6:7]
	v_fmac_f64_e32 v[26:27], v[4:5], v[8:9]
	ds_read2_b64 v[2:5], v29 offset1:32
	s_waitcnt lgkmcnt(3)
	v_fmac_f64_e32 v[26:27], v[10:11], v[14:15]
	v_fmac_f64_e32 v[26:27], v[12:13], v[16:17]
	s_waitcnt lgkmcnt(1)
	v_fmac_f64_e32 v[26:27], v[18:19], v[22:23]
	v_fmac_f64_e32 v[26:27], v[20:21], v[24:25]
	ds_read2_b64 v[6:9], v30 offset1:32
	ds_read2_b64 v[10:13], v29 offset0:64 offset1:96
	ds_read2_b64 v[14:17], v30 offset0:64 offset1:96
	;; [unrolled: 1-line block ×4, first 2 shown]
	s_waitcnt lgkmcnt(4)
	v_fmac_f64_e32 v[26:27], v[2:3], v[6:7]
	v_fmac_f64_e32 v[26:27], v[4:5], v[8:9]
	ds_read2_b64 v[2:5], v29 offset0:192 offset1:224
	ds_read2_b64 v[6:9], v30 offset0:192 offset1:224
	s_waitcnt lgkmcnt(4)
	v_fmac_f64_e32 v[26:27], v[10:11], v[14:15]
	v_add_u32_e32 v29, 0x3000, v1
	v_fmac_f64_e32 v[26:27], v[12:13], v[16:17]
	ds_read2_b64 v[10:13], v29 offset1:32
	s_waitcnt lgkmcnt(3)
	v_fmac_f64_e32 v[26:27], v[18:19], v[22:23]
	v_add_u32_e32 v30, 0x1000, v28
	v_fmac_f64_e32 v[26:27], v[20:21], v[24:25]
	ds_read2_b64 v[14:17], v30 offset1:32
	ds_read2_b64 v[18:21], v29 offset0:64 offset1:96
	ds_read2_b64 v[22:25], v30 offset0:64 offset1:96
	s_waitcnt lgkmcnt(4)
	v_fmac_f64_e32 v[26:27], v[2:3], v[6:7]
	v_fmac_f64_e32 v[26:27], v[4:5], v[8:9]
	s_waitcnt lgkmcnt(2)
	v_fmac_f64_e32 v[26:27], v[10:11], v[14:15]
	v_fmac_f64_e32 v[26:27], v[12:13], v[16:17]
	ds_read2_b64 v[2:5], v29 offset0:128 offset1:160
	ds_read2_b64 v[6:9], v30 offset0:128 offset1:160
	;; [unrolled: 1-line block ×4, first 2 shown]
	s_waitcnt lgkmcnt(4)
	v_fmac_f64_e32 v[26:27], v[18:19], v[22:23]
	v_add_u32_e32 v29, 0x3800, v1
	v_add_u32_e32 v28, 0x1800, v28
	v_fmac_f64_e32 v[26:27], v[20:21], v[24:25]
	ds_read2_b64 v[18:21], v29 offset1:32
	ds_read2_b64 v[22:25], v28 offset1:32
	s_waitcnt lgkmcnt(4)
	v_fmac_f64_e32 v[26:27], v[2:3], v[6:7]
	v_fmac_f64_e32 v[26:27], v[4:5], v[8:9]
	s_waitcnt lgkmcnt(2)
	v_fmac_f64_e32 v[26:27], v[10:11], v[14:15]
	s_lshl_b64 s[0:1], s[0:1], 3
	v_fmac_f64_e32 v[26:27], v[12:13], v[16:17]
	s_add_u32 s4, s18, s0
	s_waitcnt lgkmcnt(0)
	v_fmac_f64_e32 v[26:27], v[18:19], v[22:23]
	s_addc_u32 s5, s19, s1
	s_lshl_b64 s[0:1], s[6:7], 3
	v_fmac_f64_e32 v[26:27], v[20:21], v[24:25]
	ds_read2_b64 v[2:5], v29 offset0:64 offset1:96
	ds_read2_b64 v[6:9], v28 offset0:64 offset1:96
	;; [unrolled: 1-line block ×6, first 2 shown]
	s_add_u32 s4, s4, s0
	s_waitcnt lgkmcnt(4)
	v_fmac_f64_e32 v[26:27], v[2:3], v[6:7]
	s_addc_u32 s5, s5, s1
	v_fmac_f64_e32 v[26:27], v[4:5], v[8:9]
	v_mad_u64_u32 v[4:5], s[0:1], v0, s2, 0
	v_mov_b32_e32 v6, v5
	v_mad_u64_u32 v[6:7], s[0:1], v0, s3, v[6:7]
	v_mov_b32_e32 v5, v6
	s_waitcnt lgkmcnt(2)
	v_fmac_f64_e32 v[26:27], v[10:11], v[14:15]
	v_lshlrev_b64 v[4:5], 3, v[4:5]
	v_fmac_f64_e32 v[26:27], v[12:13], v[16:17]
	v_mov_b32_e32 v0, s5
	v_add_co_u32_e32 v4, vcc, s4, v4
	s_waitcnt lgkmcnt(0)
	v_fmac_f64_e32 v[26:27], v[18:19], v[22:23]
	v_addc_co_u32_e32 v5, vcc, v0, v5, vcc
	v_fmac_f64_e32 v[26:27], v[20:21], v[24:25]
	v_add_co_u32_e32 v0, vcc, v4, v1
	v_mul_f64 v[2:3], s[24:25], v[26:27]
	v_addc_co_u32_e32 v1, vcc, 0, v5, vcc
	global_store_dwordx2 v[0:1], v[2:3], off
.LBB164_15:
	s_endpgm
	.section	.rodata,"a",@progbits
	.p2align	6, 0x0
	.amdhsa_kernel _ZL23rocblas_trmm_rTx_kernelILi32ELb0EdPKdKS1_KPdEv13rocblas_fill_17rocblas_diagonal_iiT2_lPT3_llS9_llPT4_lli
		.amdhsa_group_segment_fixed_size 16384
		.amdhsa_private_segment_fixed_size 0
		.amdhsa_kernarg_size 108
		.amdhsa_user_sgpr_count 6
		.amdhsa_user_sgpr_private_segment_buffer 1
		.amdhsa_user_sgpr_dispatch_ptr 0
		.amdhsa_user_sgpr_queue_ptr 0
		.amdhsa_user_sgpr_kernarg_segment_ptr 1
		.amdhsa_user_sgpr_dispatch_id 0
		.amdhsa_user_sgpr_flat_scratch_init 0
		.amdhsa_user_sgpr_kernarg_preload_length 0
		.amdhsa_user_sgpr_kernarg_preload_offset 0
		.amdhsa_user_sgpr_private_segment_size 0
		.amdhsa_uses_dynamic_stack 0
		.amdhsa_system_sgpr_private_segment_wavefront_offset 0
		.amdhsa_system_sgpr_workgroup_id_x 1
		.amdhsa_system_sgpr_workgroup_id_y 0
		.amdhsa_system_sgpr_workgroup_id_z 1
		.amdhsa_system_sgpr_workgroup_info 0
		.amdhsa_system_vgpr_workitem_id 1
		.amdhsa_next_free_vgpr 31
		.amdhsa_next_free_sgpr 32
		.amdhsa_accum_offset 32
		.amdhsa_reserve_vcc 1
		.amdhsa_reserve_flat_scratch 0
		.amdhsa_float_round_mode_32 0
		.amdhsa_float_round_mode_16_64 0
		.amdhsa_float_denorm_mode_32 3
		.amdhsa_float_denorm_mode_16_64 3
		.amdhsa_dx10_clamp 1
		.amdhsa_ieee_mode 1
		.amdhsa_fp16_overflow 0
		.amdhsa_tg_split 0
		.amdhsa_exception_fp_ieee_invalid_op 0
		.amdhsa_exception_fp_denorm_src 0
		.amdhsa_exception_fp_ieee_div_zero 0
		.amdhsa_exception_fp_ieee_overflow 0
		.amdhsa_exception_fp_ieee_underflow 0
		.amdhsa_exception_fp_ieee_inexact 0
		.amdhsa_exception_int_div_zero 0
	.end_amdhsa_kernel
	.section	.text._ZL23rocblas_trmm_rTx_kernelILi32ELb0EdPKdKS1_KPdEv13rocblas_fill_17rocblas_diagonal_iiT2_lPT3_llS9_llPT4_lli,"axG",@progbits,_ZL23rocblas_trmm_rTx_kernelILi32ELb0EdPKdKS1_KPdEv13rocblas_fill_17rocblas_diagonal_iiT2_lPT3_llS9_llPT4_lli,comdat
.Lfunc_end164:
	.size	_ZL23rocblas_trmm_rTx_kernelILi32ELb0EdPKdKS1_KPdEv13rocblas_fill_17rocblas_diagonal_iiT2_lPT3_llS9_llPT4_lli, .Lfunc_end164-_ZL23rocblas_trmm_rTx_kernelILi32ELb0EdPKdKS1_KPdEv13rocblas_fill_17rocblas_diagonal_iiT2_lPT3_llS9_llPT4_lli
                                        ; -- End function
	.section	.AMDGPU.csdata,"",@progbits
; Kernel info:
; codeLenInByte = 1260
; NumSgprs: 36
; NumVgprs: 31
; NumAgprs: 0
; TotalNumVgprs: 31
; ScratchSize: 0
; MemoryBound: 0
; FloatMode: 240
; IeeeMode: 1
; LDSByteSize: 16384 bytes/workgroup (compile time only)
; SGPRBlocks: 4
; VGPRBlocks: 3
; NumSGPRsForWavesPerEU: 36
; NumVGPRsForWavesPerEU: 31
; AccumOffset: 32
; Occupancy: 8
; WaveLimiterHint : 1
; COMPUTE_PGM_RSRC2:SCRATCH_EN: 0
; COMPUTE_PGM_RSRC2:USER_SGPR: 6
; COMPUTE_PGM_RSRC2:TRAP_HANDLER: 0
; COMPUTE_PGM_RSRC2:TGID_X_EN: 1
; COMPUTE_PGM_RSRC2:TGID_Y_EN: 0
; COMPUTE_PGM_RSRC2:TGID_Z_EN: 1
; COMPUTE_PGM_RSRC2:TIDIG_COMP_CNT: 1
; COMPUTE_PGM_RSRC3_GFX90A:ACCUM_OFFSET: 7
; COMPUTE_PGM_RSRC3_GFX90A:TG_SPLIT: 0
	.section	.text._ZL23rocblas_trmm_rTx_kernelILi32ELb0EddKPKdKPdEv13rocblas_fill_17rocblas_diagonal_iiT2_lPT3_llS9_llPT4_lli,"axG",@progbits,_ZL23rocblas_trmm_rTx_kernelILi32ELb0EddKPKdKPdEv13rocblas_fill_17rocblas_diagonal_iiT2_lPT3_llS9_llPT4_lli,comdat
	.globl	_ZL23rocblas_trmm_rTx_kernelILi32ELb0EddKPKdKPdEv13rocblas_fill_17rocblas_diagonal_iiT2_lPT3_llS9_llPT4_lli ; -- Begin function _ZL23rocblas_trmm_rTx_kernelILi32ELb0EddKPKdKPdEv13rocblas_fill_17rocblas_diagonal_iiT2_lPT3_llS9_llPT4_lli
	.p2align	8
	.type	_ZL23rocblas_trmm_rTx_kernelILi32ELb0EddKPKdKPdEv13rocblas_fill_17rocblas_diagonal_iiT2_lPT3_llS9_llPT4_lli,@function
_ZL23rocblas_trmm_rTx_kernelILi32ELb0EddKPKdKPdEv13rocblas_fill_17rocblas_diagonal_iiT2_lPT3_llS9_llPT4_lli: ; @_ZL23rocblas_trmm_rTx_kernelILi32ELb0EddKPKdKPdEv13rocblas_fill_17rocblas_diagonal_iiT2_lPT3_llS9_llPT4_lli
; %bb.0:
	s_load_dwordx2 s[2:3], s[4:5], 0x10
	s_waitcnt lgkmcnt(0)
	v_cmp_eq_f64_e64 s[8:9], s[2:3], 0
	s_and_b64 vcc, exec, s[8:9]
	s_cbranch_vccnz .LBB165_15
; %bb.1:
	s_load_dwordx4 s[24:27], s[4:5], 0x0
	s_load_dwordx16 s[8:23], s[4:5], 0x20
	s_mov_b32 s0, s7
	s_mov_b32 s1, 0
	s_lshl_b64 s[30:31], s[0:1], 3
	v_and_b32_e32 v3, 0x3ff, v0
	s_waitcnt lgkmcnt(0)
	s_add_u32 s14, s14, s30
	s_addc_u32 s15, s15, s31
	s_load_dwordx2 s[28:29], s[14:15], 0x0
	s_add_u32 s14, s20, s30
	s_addc_u32 s15, s21, s31
	s_load_dwordx2 s[14:15], s[14:15], 0x0
	v_bfe_u32 v0, v0, 10, 10
	s_mov_b32 s0, s1
	v_lshlrev_b32_e32 v1, 5, v0
	v_pk_mov_b32 v[4:5], s[0:1], s[0:1] op_sel:[0,1]
	v_cmp_gt_i32_e32 vcc, s27, v0
	v_cmp_gt_i32_e64 s[0:1], s27, v3
	v_add_lshl_u32 v2, v1, v3, 3
	s_and_b64 s[0:1], vcc, s[0:1]
	v_lshlrev_b32_e32 v1, 3, v3
	ds_write2st64_b64 v2, v[4:5], v[4:5] offset1:16
	s_and_saveexec_b64 s[20:21], s[0:1]
	s_cbranch_execz .LBB165_3
; %bb.2:
	s_add_u32 s0, s8, s30
	s_addc_u32 s1, s9, s31
	s_load_dwordx2 s[0:1], s[0:1], 0x0
	v_mad_u64_u32 v[4:5], s[8:9], v0, s10, 0
	s_lshl_b64 s[8:9], s[12:13], 3
	v_mov_b32_e32 v6, v5
	s_waitcnt lgkmcnt(0)
	s_add_u32 s7, s0, s8
	s_addc_u32 s8, s1, s9
	v_mad_u64_u32 v[6:7], s[0:1], v0, s11, v[6:7]
	v_mov_b32_e32 v5, v6
	v_lshlrev_b64 v[4:5], 3, v[4:5]
	v_mov_b32_e32 v6, s8
	v_add_co_u32_e64 v4, s[0:1], s7, v4
	v_addc_co_u32_e64 v5, s[0:1], v6, v5, s[0:1]
	v_add_co_u32_e64 v4, s[0:1], v4, v1
	v_addc_co_u32_e64 v5, s[0:1], 0, v5, s[0:1]
	global_load_dwordx2 v[4:5], v[4:5], off
	s_waitcnt vmcnt(0)
	ds_write_b64 v2, v[4:5]
.LBB165_3:
	s_or_b64 exec, exec, s[20:21]
	s_add_i32 s0, s26, -1
	s_ashr_i32 s1, s0, 31
	s_lshr_b32 s1, s1, 27
	s_add_i32 s0, s0, s1
	s_ashr_i32 s1, s0, 5
	s_andn2_b32 s0, s0, 31
	s_sub_i32 s0, s26, s0
	s_cmp_ge_i32 s6, s1
	s_cselect_b32 s0, s0, 32
	s_lshl_b32 s6, s6, 5
	v_cmp_gt_i32_e64 s[0:1], s0, v3
	s_ashr_i32 s7, s6, 31
	s_and_b64 s[0:1], vcc, s[0:1]
	s_and_saveexec_b64 s[8:9], s[0:1]
	s_cbranch_execz .LBB165_5
; %bb.4:
	s_lshl_b64 s[10:11], s[18:19], 3
	s_waitcnt lgkmcnt(0)
	s_add_u32 s12, s28, s10
	s_addc_u32 s13, s29, s11
	s_lshl_b64 s[10:11], s[6:7], 3
	s_add_u32 s12, s12, s10
	s_addc_u32 s13, s13, s11
	v_mad_u64_u32 v[4:5], s[10:11], v0, s16, 0
	v_mov_b32_e32 v6, v5
	v_mad_u64_u32 v[6:7], s[10:11], v0, s17, v[6:7]
	v_mov_b32_e32 v5, v6
	v_lshlrev_b64 v[4:5], 3, v[4:5]
	v_mov_b32_e32 v6, s13
	v_add_co_u32_e32 v4, vcc, s12, v4
	v_addc_co_u32_e32 v5, vcc, v6, v5, vcc
	v_add_co_u32_e32 v4, vcc, v4, v1
	v_addc_co_u32_e32 v5, vcc, 0, v5, vcc
	global_load_dwordx2 v[4:5], v[4:5], off
	v_add_u32_e32 v6, 0x2000, v2
	s_waitcnt vmcnt(0)
	ds_write_b64 v6, v[4:5]
.LBB165_5:
	s_or_b64 exec, exec, s[8:9]
	s_cmpk_eq_i32 s25, 0x84
	s_cselect_b64 s[8:9], -1, 0
	v_cmp_eq_u32_e32 vcc, v0, v3
	s_and_b64 s[10:11], vcc, s[8:9]
	s_and_saveexec_b64 s[8:9], s[10:11]
	s_cbranch_execz .LBB165_7
; %bb.6:
	v_mov_b32_e32 v4, 0
	v_mov_b32_e32 v5, 0x3ff00000
	ds_write_b64 v2, v[4:5]
.LBB165_7:
	s_or_b64 exec, exec, s[8:9]
	s_cmpk_lg_i32 s24, 0x79
	s_cbranch_scc0 .LBB165_9
; %bb.8:
	v_cmp_lt_u32_e32 vcc, v3, v0
	s_and_b64 s[8:9], vcc, exec
	s_cbranch_execz .LBB165_10
	s_branch .LBB165_11
.LBB165_9:
	s_mov_b64 s[8:9], 0
.LBB165_10:
	v_cmp_gt_u32_e32 vcc, v3, v0
	s_andn2_b64 s[8:9], s[8:9], exec
	s_and_b64 s[10:11], vcc, exec
	s_or_b64 s[8:9], s[8:9], s[10:11]
.LBB165_11:
	s_and_saveexec_b64 s[10:11], s[8:9]
	s_cbranch_execz .LBB165_13
; %bb.12:
	v_mov_b32_e32 v4, 0
	v_mov_b32_e32 v5, v4
	ds_write_b64 v2, v[4:5]
.LBB165_13:
	s_or_b64 exec, exec, s[10:11]
	s_waitcnt lgkmcnt(0)
	s_barrier
	s_and_saveexec_b64 s[8:9], s[0:1]
	s_cbranch_execz .LBB165_15
; %bb.14:
	v_add_u32_e32 v18, 0x2000, v1
	v_lshlrev_b32_e32 v28, 3, v0
	ds_read2_b64 v[2:5], v18 offset1:32
	ds_read2_b64 v[6:9], v28 offset1:32
	v_add_u32_e32 v29, 0x2800, v1
	v_add_u32_e32 v30, 0x800, v28
	s_load_dwordx2 s[0:1], s[4:5], 0x60
	s_waitcnt lgkmcnt(0)
	v_fma_f64 v[26:27], v[2:3], v[6:7], 0
	v_fmac_f64_e32 v[26:27], v[4:5], v[8:9]
	ds_read2_b64 v[2:5], v18 offset0:64 offset1:96
	ds_read2_b64 v[6:9], v28 offset0:64 offset1:96
	;; [unrolled: 1-line block ×6, first 2 shown]
	s_waitcnt lgkmcnt(4)
	v_fmac_f64_e32 v[26:27], v[2:3], v[6:7]
	v_fmac_f64_e32 v[26:27], v[4:5], v[8:9]
	ds_read2_b64 v[2:5], v29 offset1:32
	s_waitcnt lgkmcnt(3)
	v_fmac_f64_e32 v[26:27], v[10:11], v[14:15]
	v_fmac_f64_e32 v[26:27], v[12:13], v[16:17]
	s_waitcnt lgkmcnt(1)
	v_fmac_f64_e32 v[26:27], v[18:19], v[22:23]
	v_fmac_f64_e32 v[26:27], v[20:21], v[24:25]
	ds_read2_b64 v[6:9], v30 offset1:32
	ds_read2_b64 v[10:13], v29 offset0:64 offset1:96
	ds_read2_b64 v[14:17], v30 offset0:64 offset1:96
	;; [unrolled: 1-line block ×4, first 2 shown]
	s_waitcnt lgkmcnt(4)
	v_fmac_f64_e32 v[26:27], v[2:3], v[6:7]
	v_fmac_f64_e32 v[26:27], v[4:5], v[8:9]
	ds_read2_b64 v[2:5], v29 offset0:192 offset1:224
	ds_read2_b64 v[6:9], v30 offset0:192 offset1:224
	s_waitcnt lgkmcnt(4)
	v_fmac_f64_e32 v[26:27], v[10:11], v[14:15]
	v_add_u32_e32 v29, 0x3000, v1
	v_fmac_f64_e32 v[26:27], v[12:13], v[16:17]
	ds_read2_b64 v[10:13], v29 offset1:32
	s_waitcnt lgkmcnt(3)
	v_fmac_f64_e32 v[26:27], v[18:19], v[22:23]
	v_add_u32_e32 v30, 0x1000, v28
	v_fmac_f64_e32 v[26:27], v[20:21], v[24:25]
	ds_read2_b64 v[14:17], v30 offset1:32
	ds_read2_b64 v[18:21], v29 offset0:64 offset1:96
	ds_read2_b64 v[22:25], v30 offset0:64 offset1:96
	s_waitcnt lgkmcnt(4)
	v_fmac_f64_e32 v[26:27], v[2:3], v[6:7]
	v_fmac_f64_e32 v[26:27], v[4:5], v[8:9]
	s_waitcnt lgkmcnt(2)
	v_fmac_f64_e32 v[26:27], v[10:11], v[14:15]
	v_fmac_f64_e32 v[26:27], v[12:13], v[16:17]
	ds_read2_b64 v[2:5], v29 offset0:128 offset1:160
	ds_read2_b64 v[6:9], v30 offset0:128 offset1:160
	ds_read2_b64 v[10:13], v29 offset0:192 offset1:224
	ds_read2_b64 v[14:17], v30 offset0:192 offset1:224
	s_waitcnt lgkmcnt(4)
	v_fmac_f64_e32 v[26:27], v[18:19], v[22:23]
	v_add_u32_e32 v29, 0x3800, v1
	v_add_u32_e32 v28, 0x1800, v28
	v_fmac_f64_e32 v[26:27], v[20:21], v[24:25]
	ds_read2_b64 v[18:21], v29 offset1:32
	ds_read2_b64 v[22:25], v28 offset1:32
	s_waitcnt lgkmcnt(4)
	v_fmac_f64_e32 v[26:27], v[2:3], v[6:7]
	v_fmac_f64_e32 v[26:27], v[4:5], v[8:9]
	s_waitcnt lgkmcnt(2)
	v_fmac_f64_e32 v[26:27], v[10:11], v[14:15]
	s_lshl_b64 s[0:1], s[0:1], 3
	v_fmac_f64_e32 v[26:27], v[12:13], v[16:17]
	s_add_u32 s4, s14, s0
	s_waitcnt lgkmcnt(0)
	v_fmac_f64_e32 v[26:27], v[18:19], v[22:23]
	s_addc_u32 s5, s15, s1
	s_lshl_b64 s[0:1], s[6:7], 3
	v_fmac_f64_e32 v[26:27], v[20:21], v[24:25]
	ds_read2_b64 v[2:5], v29 offset0:64 offset1:96
	ds_read2_b64 v[6:9], v28 offset0:64 offset1:96
	;; [unrolled: 1-line block ×6, first 2 shown]
	s_add_u32 s4, s4, s0
	s_waitcnt lgkmcnt(4)
	v_fmac_f64_e32 v[26:27], v[2:3], v[6:7]
	s_addc_u32 s5, s5, s1
	v_fmac_f64_e32 v[26:27], v[4:5], v[8:9]
	v_mad_u64_u32 v[4:5], s[0:1], v0, s22, 0
	v_mov_b32_e32 v6, v5
	v_mad_u64_u32 v[6:7], s[0:1], v0, s23, v[6:7]
	v_mov_b32_e32 v5, v6
	s_waitcnt lgkmcnt(2)
	v_fmac_f64_e32 v[26:27], v[10:11], v[14:15]
	v_lshlrev_b64 v[4:5], 3, v[4:5]
	v_fmac_f64_e32 v[26:27], v[12:13], v[16:17]
	v_mov_b32_e32 v0, s5
	v_add_co_u32_e32 v4, vcc, s4, v4
	s_waitcnt lgkmcnt(0)
	v_fmac_f64_e32 v[26:27], v[18:19], v[22:23]
	v_addc_co_u32_e32 v5, vcc, v0, v5, vcc
	v_fmac_f64_e32 v[26:27], v[20:21], v[24:25]
	v_add_co_u32_e32 v0, vcc, v4, v1
	v_mul_f64 v[2:3], v[26:27], s[2:3]
	v_addc_co_u32_e32 v1, vcc, 0, v5, vcc
	global_store_dwordx2 v[0:1], v[2:3], off
.LBB165_15:
	s_endpgm
	.section	.rodata,"a",@progbits
	.p2align	6, 0x0
	.amdhsa_kernel _ZL23rocblas_trmm_rTx_kernelILi32ELb0EddKPKdKPdEv13rocblas_fill_17rocblas_diagonal_iiT2_lPT3_llS9_llPT4_lli
		.amdhsa_group_segment_fixed_size 16384
		.amdhsa_private_segment_fixed_size 0
		.amdhsa_kernarg_size 108
		.amdhsa_user_sgpr_count 6
		.amdhsa_user_sgpr_private_segment_buffer 1
		.amdhsa_user_sgpr_dispatch_ptr 0
		.amdhsa_user_sgpr_queue_ptr 0
		.amdhsa_user_sgpr_kernarg_segment_ptr 1
		.amdhsa_user_sgpr_dispatch_id 0
		.amdhsa_user_sgpr_flat_scratch_init 0
		.amdhsa_user_sgpr_kernarg_preload_length 0
		.amdhsa_user_sgpr_kernarg_preload_offset 0
		.amdhsa_user_sgpr_private_segment_size 0
		.amdhsa_uses_dynamic_stack 0
		.amdhsa_system_sgpr_private_segment_wavefront_offset 0
		.amdhsa_system_sgpr_workgroup_id_x 1
		.amdhsa_system_sgpr_workgroup_id_y 0
		.amdhsa_system_sgpr_workgroup_id_z 1
		.amdhsa_system_sgpr_workgroup_info 0
		.amdhsa_system_vgpr_workitem_id 1
		.amdhsa_next_free_vgpr 31
		.amdhsa_next_free_sgpr 32
		.amdhsa_accum_offset 32
		.amdhsa_reserve_vcc 1
		.amdhsa_reserve_flat_scratch 0
		.amdhsa_float_round_mode_32 0
		.amdhsa_float_round_mode_16_64 0
		.amdhsa_float_denorm_mode_32 3
		.amdhsa_float_denorm_mode_16_64 3
		.amdhsa_dx10_clamp 1
		.amdhsa_ieee_mode 1
		.amdhsa_fp16_overflow 0
		.amdhsa_tg_split 0
		.amdhsa_exception_fp_ieee_invalid_op 0
		.amdhsa_exception_fp_denorm_src 0
		.amdhsa_exception_fp_ieee_div_zero 0
		.amdhsa_exception_fp_ieee_overflow 0
		.amdhsa_exception_fp_ieee_underflow 0
		.amdhsa_exception_fp_ieee_inexact 0
		.amdhsa_exception_int_div_zero 0
	.end_amdhsa_kernel
	.section	.text._ZL23rocblas_trmm_rTx_kernelILi32ELb0EddKPKdKPdEv13rocblas_fill_17rocblas_diagonal_iiT2_lPT3_llS9_llPT4_lli,"axG",@progbits,_ZL23rocblas_trmm_rTx_kernelILi32ELb0EddKPKdKPdEv13rocblas_fill_17rocblas_diagonal_iiT2_lPT3_llS9_llPT4_lli,comdat
.Lfunc_end165:
	.size	_ZL23rocblas_trmm_rTx_kernelILi32ELb0EddKPKdKPdEv13rocblas_fill_17rocblas_diagonal_iiT2_lPT3_llS9_llPT4_lli, .Lfunc_end165-_ZL23rocblas_trmm_rTx_kernelILi32ELb0EddKPKdKPdEv13rocblas_fill_17rocblas_diagonal_iiT2_lPT3_llS9_llPT4_lli
                                        ; -- End function
	.section	.AMDGPU.csdata,"",@progbits
; Kernel info:
; codeLenInByte = 1220
; NumSgprs: 36
; NumVgprs: 31
; NumAgprs: 0
; TotalNumVgprs: 31
; ScratchSize: 0
; MemoryBound: 0
; FloatMode: 240
; IeeeMode: 1
; LDSByteSize: 16384 bytes/workgroup (compile time only)
; SGPRBlocks: 4
; VGPRBlocks: 3
; NumSGPRsForWavesPerEU: 36
; NumVGPRsForWavesPerEU: 31
; AccumOffset: 32
; Occupancy: 8
; WaveLimiterHint : 1
; COMPUTE_PGM_RSRC2:SCRATCH_EN: 0
; COMPUTE_PGM_RSRC2:USER_SGPR: 6
; COMPUTE_PGM_RSRC2:TRAP_HANDLER: 0
; COMPUTE_PGM_RSRC2:TGID_X_EN: 1
; COMPUTE_PGM_RSRC2:TGID_Y_EN: 0
; COMPUTE_PGM_RSRC2:TGID_Z_EN: 1
; COMPUTE_PGM_RSRC2:TIDIG_COMP_CNT: 1
; COMPUTE_PGM_RSRC3_GFX90A:ACCUM_OFFSET: 7
; COMPUTE_PGM_RSRC3_GFX90A:TG_SPLIT: 0
	.section	.text._ZL23rocblas_trmm_rTx_kernelILi32ELb1EdPKdKS1_KPdEv13rocblas_fill_17rocblas_diagonal_iiT2_lPT3_llS9_llPT4_lli,"axG",@progbits,_ZL23rocblas_trmm_rTx_kernelILi32ELb1EdPKdKS1_KPdEv13rocblas_fill_17rocblas_diagonal_iiT2_lPT3_llS9_llPT4_lli,comdat
	.globl	_ZL23rocblas_trmm_rTx_kernelILi32ELb1EdPKdKS1_KPdEv13rocblas_fill_17rocblas_diagonal_iiT2_lPT3_llS9_llPT4_lli ; -- Begin function _ZL23rocblas_trmm_rTx_kernelILi32ELb1EdPKdKS1_KPdEv13rocblas_fill_17rocblas_diagonal_iiT2_lPT3_llS9_llPT4_lli
	.p2align	8
	.type	_ZL23rocblas_trmm_rTx_kernelILi32ELb1EdPKdKS1_KPdEv13rocblas_fill_17rocblas_diagonal_iiT2_lPT3_llS9_llPT4_lli,@function
_ZL23rocblas_trmm_rTx_kernelILi32ELb1EdPKdKS1_KPdEv13rocblas_fill_17rocblas_diagonal_iiT2_lPT3_llS9_llPT4_lli: ; @_ZL23rocblas_trmm_rTx_kernelILi32ELb1EdPKdKS1_KPdEv13rocblas_fill_17rocblas_diagonal_iiT2_lPT3_llS9_llPT4_lli
; %bb.0:
	s_load_dwordx16 s[8:23], s[4:5], 0x10
	s_waitcnt lgkmcnt(0)
	s_mul_i32 s0, s7, s11
	s_mul_hi_u32 s1, s7, s10
	s_add_i32 s1, s1, s0
	s_mul_i32 s0, s7, s10
	s_lshl_b64 s[0:1], s[0:1], 3
	s_add_u32 s0, s8, s0
	s_addc_u32 s1, s9, s1
	s_load_dwordx2 s[24:25], s[0:1], 0x0
	s_waitcnt lgkmcnt(0)
	v_cmp_eq_f64_e64 s[0:1], s[24:25], 0
	s_and_b64 vcc, exec, s[0:1]
	s_cbranch_vccnz .LBB166_15
; %bb.1:
	s_load_dwordx4 s[8:11], s[4:5], 0x0
	s_load_dwordx4 s[0:3], s[4:5], 0x50
	s_mov_b32 s28, s7
	s_mov_b32 s29, 0
	s_lshl_b64 s[30:31], s[28:29], 3
	s_add_u32 s18, s18, s30
	s_addc_u32 s19, s19, s31
	s_waitcnt lgkmcnt(0)
	s_add_u32 s0, s0, s30
	s_addc_u32 s1, s1, s31
	s_load_dwordx2 s[26:27], s[18:19], 0x0
	v_and_b32_e32 v3, 0x3ff, v0
	s_load_dwordx2 s[18:19], s[0:1], 0x0
	v_bfe_u32 v0, v0, 10, 10
	v_lshlrev_b32_e32 v1, 5, v0
	s_mov_b32 s28, s29
	v_cmp_gt_i32_e32 vcc, s11, v0
	v_cmp_gt_i32_e64 s[0:1], s11, v3
	v_add_lshl_u32 v2, v1, v3, 3
	v_pk_mov_b32 v[4:5], s[28:29], s[28:29] op_sel:[0,1]
	s_and_b64 s[0:1], vcc, s[0:1]
	v_lshlrev_b32_e32 v1, 3, v3
	ds_write2st64_b64 v2, v[4:5], v[4:5] offset1:16
	s_and_saveexec_b64 s[28:29], s[0:1]
	s_cbranch_execz .LBB166_3
; %bb.2:
	s_add_u32 s0, s12, s30
	s_addc_u32 s1, s13, s31
	s_load_dwordx2 s[0:1], s[0:1], 0x0
	v_mad_u64_u32 v[4:5], s[12:13], v0, s14, 0
	s_lshl_b64 s[12:13], s[16:17], 3
	v_mov_b32_e32 v6, v5
	s_waitcnt lgkmcnt(0)
	s_add_u32 s7, s0, s12
	s_addc_u32 s11, s1, s13
	v_mad_u64_u32 v[6:7], s[0:1], v0, s15, v[6:7]
	v_mov_b32_e32 v5, v6
	v_lshlrev_b64 v[4:5], 3, v[4:5]
	v_mov_b32_e32 v6, s11
	v_add_co_u32_e64 v4, s[0:1], s7, v4
	v_addc_co_u32_e64 v5, s[0:1], v6, v5, s[0:1]
	v_add_co_u32_e64 v4, s[0:1], v4, v1
	v_addc_co_u32_e64 v5, s[0:1], 0, v5, s[0:1]
	global_load_dwordx2 v[4:5], v[4:5], off
	s_waitcnt vmcnt(0)
	ds_write_b64 v2, v[4:5]
.LBB166_3:
	s_or_b64 exec, exec, s[28:29]
	s_add_i32 s0, s10, -1
	s_ashr_i32 s1, s0, 31
	s_lshr_b32 s1, s1, 27
	s_add_i32 s0, s0, s1
	s_ashr_i32 s1, s0, 5
	s_andn2_b32 s0, s0, 31
	s_sub_i32 s0, s10, s0
	s_cmp_ge_i32 s6, s1
	s_cselect_b32 s0, s0, 32
	s_lshl_b32 s6, s6, 5
	v_cmp_gt_i32_e64 s[0:1], s0, v3
	s_ashr_i32 s7, s6, 31
	s_and_b64 s[0:1], vcc, s[0:1]
	s_and_saveexec_b64 s[10:11], s[0:1]
	s_cbranch_execz .LBB166_5
; %bb.4:
	s_lshl_b64 s[12:13], s[22:23], 3
	s_waitcnt lgkmcnt(0)
	s_add_u32 s14, s26, s12
	s_addc_u32 s15, s27, s13
	s_lshl_b64 s[12:13], s[6:7], 3
	s_add_u32 s14, s14, s12
	s_addc_u32 s15, s15, s13
	v_mad_u64_u32 v[4:5], s[12:13], v0, s20, 0
	v_mov_b32_e32 v6, v5
	v_mad_u64_u32 v[6:7], s[12:13], v0, s21, v[6:7]
	v_mov_b32_e32 v5, v6
	v_lshlrev_b64 v[4:5], 3, v[4:5]
	v_mov_b32_e32 v6, s15
	v_add_co_u32_e32 v4, vcc, s14, v4
	v_addc_co_u32_e32 v5, vcc, v6, v5, vcc
	v_add_co_u32_e32 v4, vcc, v4, v1
	v_addc_co_u32_e32 v5, vcc, 0, v5, vcc
	global_load_dwordx2 v[4:5], v[4:5], off
	v_add_u32_e32 v6, 0x2000, v2
	s_waitcnt vmcnt(0)
	ds_write_b64 v6, v[4:5]
.LBB166_5:
	s_or_b64 exec, exec, s[10:11]
	s_cmpk_eq_i32 s9, 0x84
	s_cselect_b64 s[10:11], -1, 0
	v_cmp_eq_u32_e32 vcc, v0, v3
	s_and_b64 s[12:13], vcc, s[10:11]
	s_and_saveexec_b64 s[10:11], s[12:13]
	s_cbranch_execz .LBB166_7
; %bb.6:
	v_mov_b32_e32 v4, 0
	v_mov_b32_e32 v5, 0x3ff00000
	ds_write_b64 v2, v[4:5]
.LBB166_7:
	s_or_b64 exec, exec, s[10:11]
	s_cmpk_lg_i32 s8, 0x79
	s_cbranch_scc0 .LBB166_9
; %bb.8:
	v_cmp_lt_u32_e32 vcc, v3, v0
	s_and_b64 s[8:9], vcc, exec
	s_cbranch_execz .LBB166_10
	s_branch .LBB166_11
.LBB166_9:
	s_mov_b64 s[8:9], 0
.LBB166_10:
	v_cmp_gt_u32_e32 vcc, v3, v0
	s_andn2_b64 s[8:9], s[8:9], exec
	s_and_b64 s[10:11], vcc, exec
	s_or_b64 s[8:9], s[8:9], s[10:11]
.LBB166_11:
	s_and_saveexec_b64 s[10:11], s[8:9]
	s_cbranch_execz .LBB166_13
; %bb.12:
	v_mov_b32_e32 v4, 0
	v_mov_b32_e32 v5, v4
	ds_write_b64 v2, v[4:5]
.LBB166_13:
	s_or_b64 exec, exec, s[10:11]
	s_waitcnt lgkmcnt(0)
	s_barrier
	s_and_saveexec_b64 s[8:9], s[0:1]
	s_cbranch_execz .LBB166_15
; %bb.14:
	v_add_u32_e32 v18, 0x2000, v1
	v_lshlrev_b32_e32 v28, 3, v0
	ds_read2_b64 v[2:5], v18 offset1:32
	ds_read2_b64 v[6:9], v28 offset1:32
	v_add_u32_e32 v29, 0x2800, v1
	v_add_u32_e32 v30, 0x800, v28
	s_load_dwordx2 s[0:1], s[4:5], 0x60
	s_waitcnt lgkmcnt(0)
	v_fma_f64 v[26:27], v[2:3], v[6:7], 0
	v_fmac_f64_e32 v[26:27], v[4:5], v[8:9]
	ds_read2_b64 v[2:5], v18 offset0:64 offset1:96
	ds_read2_b64 v[6:9], v28 offset0:64 offset1:96
	;; [unrolled: 1-line block ×6, first 2 shown]
	s_waitcnt lgkmcnt(4)
	v_fmac_f64_e32 v[26:27], v[2:3], v[6:7]
	v_fmac_f64_e32 v[26:27], v[4:5], v[8:9]
	ds_read2_b64 v[2:5], v29 offset1:32
	s_waitcnt lgkmcnt(3)
	v_fmac_f64_e32 v[26:27], v[10:11], v[14:15]
	v_fmac_f64_e32 v[26:27], v[12:13], v[16:17]
	s_waitcnt lgkmcnt(1)
	v_fmac_f64_e32 v[26:27], v[18:19], v[22:23]
	v_fmac_f64_e32 v[26:27], v[20:21], v[24:25]
	ds_read2_b64 v[6:9], v30 offset1:32
	ds_read2_b64 v[10:13], v29 offset0:64 offset1:96
	ds_read2_b64 v[14:17], v30 offset0:64 offset1:96
	;; [unrolled: 1-line block ×4, first 2 shown]
	s_waitcnt lgkmcnt(4)
	v_fmac_f64_e32 v[26:27], v[2:3], v[6:7]
	v_fmac_f64_e32 v[26:27], v[4:5], v[8:9]
	ds_read2_b64 v[2:5], v29 offset0:192 offset1:224
	ds_read2_b64 v[6:9], v30 offset0:192 offset1:224
	s_waitcnt lgkmcnt(4)
	v_fmac_f64_e32 v[26:27], v[10:11], v[14:15]
	v_add_u32_e32 v29, 0x3000, v1
	v_fmac_f64_e32 v[26:27], v[12:13], v[16:17]
	ds_read2_b64 v[10:13], v29 offset1:32
	s_waitcnt lgkmcnt(3)
	v_fmac_f64_e32 v[26:27], v[18:19], v[22:23]
	v_add_u32_e32 v30, 0x1000, v28
	v_fmac_f64_e32 v[26:27], v[20:21], v[24:25]
	ds_read2_b64 v[14:17], v30 offset1:32
	ds_read2_b64 v[18:21], v29 offset0:64 offset1:96
	ds_read2_b64 v[22:25], v30 offset0:64 offset1:96
	s_waitcnt lgkmcnt(4)
	v_fmac_f64_e32 v[26:27], v[2:3], v[6:7]
	v_fmac_f64_e32 v[26:27], v[4:5], v[8:9]
	s_waitcnt lgkmcnt(2)
	v_fmac_f64_e32 v[26:27], v[10:11], v[14:15]
	v_fmac_f64_e32 v[26:27], v[12:13], v[16:17]
	ds_read2_b64 v[2:5], v29 offset0:128 offset1:160
	ds_read2_b64 v[6:9], v30 offset0:128 offset1:160
	;; [unrolled: 1-line block ×4, first 2 shown]
	s_waitcnt lgkmcnt(4)
	v_fmac_f64_e32 v[26:27], v[18:19], v[22:23]
	v_add_u32_e32 v29, 0x3800, v1
	v_add_u32_e32 v28, 0x1800, v28
	v_fmac_f64_e32 v[26:27], v[20:21], v[24:25]
	ds_read2_b64 v[18:21], v29 offset1:32
	ds_read2_b64 v[22:25], v28 offset1:32
	s_waitcnt lgkmcnt(4)
	v_fmac_f64_e32 v[26:27], v[2:3], v[6:7]
	v_fmac_f64_e32 v[26:27], v[4:5], v[8:9]
	s_waitcnt lgkmcnt(2)
	v_fmac_f64_e32 v[26:27], v[10:11], v[14:15]
	s_lshl_b64 s[0:1], s[0:1], 3
	v_fmac_f64_e32 v[26:27], v[12:13], v[16:17]
	s_add_u32 s4, s18, s0
	s_waitcnt lgkmcnt(0)
	v_fmac_f64_e32 v[26:27], v[18:19], v[22:23]
	s_addc_u32 s5, s19, s1
	s_lshl_b64 s[0:1], s[6:7], 3
	v_fmac_f64_e32 v[26:27], v[20:21], v[24:25]
	ds_read2_b64 v[2:5], v29 offset0:64 offset1:96
	ds_read2_b64 v[6:9], v28 offset0:64 offset1:96
	ds_read2_b64 v[10:13], v29 offset0:128 offset1:160
	ds_read2_b64 v[14:17], v28 offset0:128 offset1:160
	ds_read2_b64 v[18:21], v29 offset0:192 offset1:224
	ds_read2_b64 v[22:25], v28 offset0:192 offset1:224
	s_add_u32 s4, s4, s0
	s_waitcnt lgkmcnt(4)
	v_fmac_f64_e32 v[26:27], v[2:3], v[6:7]
	s_addc_u32 s5, s5, s1
	v_fmac_f64_e32 v[26:27], v[4:5], v[8:9]
	v_mad_u64_u32 v[4:5], s[0:1], v0, s2, 0
	v_mov_b32_e32 v6, v5
	v_mad_u64_u32 v[6:7], s[0:1], v0, s3, v[6:7]
	v_mov_b32_e32 v5, v6
	s_waitcnt lgkmcnt(2)
	v_fmac_f64_e32 v[26:27], v[10:11], v[14:15]
	v_lshlrev_b64 v[4:5], 3, v[4:5]
	v_fmac_f64_e32 v[26:27], v[12:13], v[16:17]
	v_mov_b32_e32 v0, s5
	v_add_co_u32_e32 v4, vcc, s4, v4
	s_waitcnt lgkmcnt(0)
	v_fmac_f64_e32 v[26:27], v[18:19], v[22:23]
	v_addc_co_u32_e32 v5, vcc, v0, v5, vcc
	v_fmac_f64_e32 v[26:27], v[20:21], v[24:25]
	v_add_co_u32_e32 v0, vcc, v4, v1
	v_mul_f64 v[2:3], s[24:25], v[26:27]
	v_addc_co_u32_e32 v1, vcc, 0, v5, vcc
	global_store_dwordx2 v[0:1], v[2:3], off
.LBB166_15:
	s_endpgm
	.section	.rodata,"a",@progbits
	.p2align	6, 0x0
	.amdhsa_kernel _ZL23rocblas_trmm_rTx_kernelILi32ELb1EdPKdKS1_KPdEv13rocblas_fill_17rocblas_diagonal_iiT2_lPT3_llS9_llPT4_lli
		.amdhsa_group_segment_fixed_size 16384
		.amdhsa_private_segment_fixed_size 0
		.amdhsa_kernarg_size 108
		.amdhsa_user_sgpr_count 6
		.amdhsa_user_sgpr_private_segment_buffer 1
		.amdhsa_user_sgpr_dispatch_ptr 0
		.amdhsa_user_sgpr_queue_ptr 0
		.amdhsa_user_sgpr_kernarg_segment_ptr 1
		.amdhsa_user_sgpr_dispatch_id 0
		.amdhsa_user_sgpr_flat_scratch_init 0
		.amdhsa_user_sgpr_kernarg_preload_length 0
		.amdhsa_user_sgpr_kernarg_preload_offset 0
		.amdhsa_user_sgpr_private_segment_size 0
		.amdhsa_uses_dynamic_stack 0
		.amdhsa_system_sgpr_private_segment_wavefront_offset 0
		.amdhsa_system_sgpr_workgroup_id_x 1
		.amdhsa_system_sgpr_workgroup_id_y 0
		.amdhsa_system_sgpr_workgroup_id_z 1
		.amdhsa_system_sgpr_workgroup_info 0
		.amdhsa_system_vgpr_workitem_id 1
		.amdhsa_next_free_vgpr 31
		.amdhsa_next_free_sgpr 32
		.amdhsa_accum_offset 32
		.amdhsa_reserve_vcc 1
		.amdhsa_reserve_flat_scratch 0
		.amdhsa_float_round_mode_32 0
		.amdhsa_float_round_mode_16_64 0
		.amdhsa_float_denorm_mode_32 3
		.amdhsa_float_denorm_mode_16_64 3
		.amdhsa_dx10_clamp 1
		.amdhsa_ieee_mode 1
		.amdhsa_fp16_overflow 0
		.amdhsa_tg_split 0
		.amdhsa_exception_fp_ieee_invalid_op 0
		.amdhsa_exception_fp_denorm_src 0
		.amdhsa_exception_fp_ieee_div_zero 0
		.amdhsa_exception_fp_ieee_overflow 0
		.amdhsa_exception_fp_ieee_underflow 0
		.amdhsa_exception_fp_ieee_inexact 0
		.amdhsa_exception_int_div_zero 0
	.end_amdhsa_kernel
	.section	.text._ZL23rocblas_trmm_rTx_kernelILi32ELb1EdPKdKS1_KPdEv13rocblas_fill_17rocblas_diagonal_iiT2_lPT3_llS9_llPT4_lli,"axG",@progbits,_ZL23rocblas_trmm_rTx_kernelILi32ELb1EdPKdKS1_KPdEv13rocblas_fill_17rocblas_diagonal_iiT2_lPT3_llS9_llPT4_lli,comdat
.Lfunc_end166:
	.size	_ZL23rocblas_trmm_rTx_kernelILi32ELb1EdPKdKS1_KPdEv13rocblas_fill_17rocblas_diagonal_iiT2_lPT3_llS9_llPT4_lli, .Lfunc_end166-_ZL23rocblas_trmm_rTx_kernelILi32ELb1EdPKdKS1_KPdEv13rocblas_fill_17rocblas_diagonal_iiT2_lPT3_llS9_llPT4_lli
                                        ; -- End function
	.section	.AMDGPU.csdata,"",@progbits
; Kernel info:
; codeLenInByte = 1260
; NumSgprs: 36
; NumVgprs: 31
; NumAgprs: 0
; TotalNumVgprs: 31
; ScratchSize: 0
; MemoryBound: 0
; FloatMode: 240
; IeeeMode: 1
; LDSByteSize: 16384 bytes/workgroup (compile time only)
; SGPRBlocks: 4
; VGPRBlocks: 3
; NumSGPRsForWavesPerEU: 36
; NumVGPRsForWavesPerEU: 31
; AccumOffset: 32
; Occupancy: 8
; WaveLimiterHint : 1
; COMPUTE_PGM_RSRC2:SCRATCH_EN: 0
; COMPUTE_PGM_RSRC2:USER_SGPR: 6
; COMPUTE_PGM_RSRC2:TRAP_HANDLER: 0
; COMPUTE_PGM_RSRC2:TGID_X_EN: 1
; COMPUTE_PGM_RSRC2:TGID_Y_EN: 0
; COMPUTE_PGM_RSRC2:TGID_Z_EN: 1
; COMPUTE_PGM_RSRC2:TIDIG_COMP_CNT: 1
; COMPUTE_PGM_RSRC3_GFX90A:ACCUM_OFFSET: 7
; COMPUTE_PGM_RSRC3_GFX90A:TG_SPLIT: 0
	.section	.text._ZL23rocblas_trmm_rTx_kernelILi32ELb1EddKPKdKPdEv13rocblas_fill_17rocblas_diagonal_iiT2_lPT3_llS9_llPT4_lli,"axG",@progbits,_ZL23rocblas_trmm_rTx_kernelILi32ELb1EddKPKdKPdEv13rocblas_fill_17rocblas_diagonal_iiT2_lPT3_llS9_llPT4_lli,comdat
	.globl	_ZL23rocblas_trmm_rTx_kernelILi32ELb1EddKPKdKPdEv13rocblas_fill_17rocblas_diagonal_iiT2_lPT3_llS9_llPT4_lli ; -- Begin function _ZL23rocblas_trmm_rTx_kernelILi32ELb1EddKPKdKPdEv13rocblas_fill_17rocblas_diagonal_iiT2_lPT3_llS9_llPT4_lli
	.p2align	8
	.type	_ZL23rocblas_trmm_rTx_kernelILi32ELb1EddKPKdKPdEv13rocblas_fill_17rocblas_diagonal_iiT2_lPT3_llS9_llPT4_lli,@function
_ZL23rocblas_trmm_rTx_kernelILi32ELb1EddKPKdKPdEv13rocblas_fill_17rocblas_diagonal_iiT2_lPT3_llS9_llPT4_lli: ; @_ZL23rocblas_trmm_rTx_kernelILi32ELb1EddKPKdKPdEv13rocblas_fill_17rocblas_diagonal_iiT2_lPT3_llS9_llPT4_lli
; %bb.0:
	s_load_dwordx2 s[2:3], s[4:5], 0x10
	s_waitcnt lgkmcnt(0)
	v_cmp_eq_f64_e64 s[8:9], s[2:3], 0
	s_and_b64 vcc, exec, s[8:9]
	s_cbranch_vccnz .LBB167_15
; %bb.1:
	s_load_dwordx4 s[24:27], s[4:5], 0x0
	s_load_dwordx16 s[8:23], s[4:5], 0x20
	s_mov_b32 s0, s7
	s_mov_b32 s1, 0
	s_lshl_b64 s[30:31], s[0:1], 3
	v_and_b32_e32 v3, 0x3ff, v0
	s_waitcnt lgkmcnt(0)
	s_add_u32 s14, s14, s30
	s_addc_u32 s15, s15, s31
	s_load_dwordx2 s[28:29], s[14:15], 0x0
	s_add_u32 s14, s20, s30
	s_addc_u32 s15, s21, s31
	s_load_dwordx2 s[14:15], s[14:15], 0x0
	v_bfe_u32 v0, v0, 10, 10
	s_mov_b32 s0, s1
	v_lshlrev_b32_e32 v1, 5, v0
	v_pk_mov_b32 v[4:5], s[0:1], s[0:1] op_sel:[0,1]
	v_cmp_gt_i32_e32 vcc, s27, v0
	v_cmp_gt_i32_e64 s[0:1], s27, v3
	v_add_lshl_u32 v2, v1, v3, 3
	s_and_b64 s[0:1], vcc, s[0:1]
	v_lshlrev_b32_e32 v1, 3, v3
	ds_write2st64_b64 v2, v[4:5], v[4:5] offset1:16
	s_and_saveexec_b64 s[20:21], s[0:1]
	s_cbranch_execz .LBB167_3
; %bb.2:
	s_add_u32 s0, s8, s30
	s_addc_u32 s1, s9, s31
	s_load_dwordx2 s[0:1], s[0:1], 0x0
	v_mad_u64_u32 v[4:5], s[8:9], v0, s10, 0
	s_lshl_b64 s[8:9], s[12:13], 3
	v_mov_b32_e32 v6, v5
	s_waitcnt lgkmcnt(0)
	s_add_u32 s7, s0, s8
	s_addc_u32 s8, s1, s9
	v_mad_u64_u32 v[6:7], s[0:1], v0, s11, v[6:7]
	v_mov_b32_e32 v5, v6
	v_lshlrev_b64 v[4:5], 3, v[4:5]
	v_mov_b32_e32 v6, s8
	v_add_co_u32_e64 v4, s[0:1], s7, v4
	v_addc_co_u32_e64 v5, s[0:1], v6, v5, s[0:1]
	v_add_co_u32_e64 v4, s[0:1], v4, v1
	v_addc_co_u32_e64 v5, s[0:1], 0, v5, s[0:1]
	global_load_dwordx2 v[4:5], v[4:5], off
	s_waitcnt vmcnt(0)
	ds_write_b64 v2, v[4:5]
.LBB167_3:
	s_or_b64 exec, exec, s[20:21]
	s_add_i32 s0, s26, -1
	s_ashr_i32 s1, s0, 31
	s_lshr_b32 s1, s1, 27
	s_add_i32 s0, s0, s1
	s_ashr_i32 s1, s0, 5
	s_andn2_b32 s0, s0, 31
	s_sub_i32 s0, s26, s0
	s_cmp_ge_i32 s6, s1
	s_cselect_b32 s0, s0, 32
	s_lshl_b32 s6, s6, 5
	v_cmp_gt_i32_e64 s[0:1], s0, v3
	s_ashr_i32 s7, s6, 31
	s_and_b64 s[0:1], vcc, s[0:1]
	s_and_saveexec_b64 s[8:9], s[0:1]
	s_cbranch_execz .LBB167_5
; %bb.4:
	s_lshl_b64 s[10:11], s[18:19], 3
	s_waitcnt lgkmcnt(0)
	s_add_u32 s12, s28, s10
	s_addc_u32 s13, s29, s11
	s_lshl_b64 s[10:11], s[6:7], 3
	s_add_u32 s12, s12, s10
	s_addc_u32 s13, s13, s11
	v_mad_u64_u32 v[4:5], s[10:11], v0, s16, 0
	v_mov_b32_e32 v6, v5
	v_mad_u64_u32 v[6:7], s[10:11], v0, s17, v[6:7]
	v_mov_b32_e32 v5, v6
	v_lshlrev_b64 v[4:5], 3, v[4:5]
	v_mov_b32_e32 v6, s13
	v_add_co_u32_e32 v4, vcc, s12, v4
	v_addc_co_u32_e32 v5, vcc, v6, v5, vcc
	v_add_co_u32_e32 v4, vcc, v4, v1
	v_addc_co_u32_e32 v5, vcc, 0, v5, vcc
	global_load_dwordx2 v[4:5], v[4:5], off
	v_add_u32_e32 v6, 0x2000, v2
	s_waitcnt vmcnt(0)
	ds_write_b64 v6, v[4:5]
.LBB167_5:
	s_or_b64 exec, exec, s[8:9]
	s_cmpk_eq_i32 s25, 0x84
	s_cselect_b64 s[8:9], -1, 0
	v_cmp_eq_u32_e32 vcc, v0, v3
	s_and_b64 s[10:11], vcc, s[8:9]
	s_and_saveexec_b64 s[8:9], s[10:11]
	s_cbranch_execz .LBB167_7
; %bb.6:
	v_mov_b32_e32 v4, 0
	v_mov_b32_e32 v5, 0x3ff00000
	ds_write_b64 v2, v[4:5]
.LBB167_7:
	s_or_b64 exec, exec, s[8:9]
	s_cmpk_lg_i32 s24, 0x79
	s_cbranch_scc0 .LBB167_9
; %bb.8:
	v_cmp_lt_u32_e32 vcc, v3, v0
	s_and_b64 s[8:9], vcc, exec
	s_cbranch_execz .LBB167_10
	s_branch .LBB167_11
.LBB167_9:
	s_mov_b64 s[8:9], 0
.LBB167_10:
	v_cmp_gt_u32_e32 vcc, v3, v0
	s_andn2_b64 s[8:9], s[8:9], exec
	s_and_b64 s[10:11], vcc, exec
	s_or_b64 s[8:9], s[8:9], s[10:11]
.LBB167_11:
	s_and_saveexec_b64 s[10:11], s[8:9]
	s_cbranch_execz .LBB167_13
; %bb.12:
	v_mov_b32_e32 v4, 0
	v_mov_b32_e32 v5, v4
	ds_write_b64 v2, v[4:5]
.LBB167_13:
	s_or_b64 exec, exec, s[10:11]
	s_waitcnt lgkmcnt(0)
	s_barrier
	s_and_saveexec_b64 s[8:9], s[0:1]
	s_cbranch_execz .LBB167_15
; %bb.14:
	v_add_u32_e32 v18, 0x2000, v1
	v_lshlrev_b32_e32 v28, 3, v0
	ds_read2_b64 v[2:5], v18 offset1:32
	ds_read2_b64 v[6:9], v28 offset1:32
	v_add_u32_e32 v29, 0x2800, v1
	v_add_u32_e32 v30, 0x800, v28
	s_load_dwordx2 s[0:1], s[4:5], 0x60
	s_waitcnt lgkmcnt(0)
	v_fma_f64 v[26:27], v[2:3], v[6:7], 0
	v_fmac_f64_e32 v[26:27], v[4:5], v[8:9]
	ds_read2_b64 v[2:5], v18 offset0:64 offset1:96
	ds_read2_b64 v[6:9], v28 offset0:64 offset1:96
	;; [unrolled: 1-line block ×6, first 2 shown]
	s_waitcnt lgkmcnt(4)
	v_fmac_f64_e32 v[26:27], v[2:3], v[6:7]
	v_fmac_f64_e32 v[26:27], v[4:5], v[8:9]
	ds_read2_b64 v[2:5], v29 offset1:32
	s_waitcnt lgkmcnt(3)
	v_fmac_f64_e32 v[26:27], v[10:11], v[14:15]
	v_fmac_f64_e32 v[26:27], v[12:13], v[16:17]
	s_waitcnt lgkmcnt(1)
	v_fmac_f64_e32 v[26:27], v[18:19], v[22:23]
	v_fmac_f64_e32 v[26:27], v[20:21], v[24:25]
	ds_read2_b64 v[6:9], v30 offset1:32
	ds_read2_b64 v[10:13], v29 offset0:64 offset1:96
	ds_read2_b64 v[14:17], v30 offset0:64 offset1:96
	;; [unrolled: 1-line block ×4, first 2 shown]
	s_waitcnt lgkmcnt(4)
	v_fmac_f64_e32 v[26:27], v[2:3], v[6:7]
	v_fmac_f64_e32 v[26:27], v[4:5], v[8:9]
	ds_read2_b64 v[2:5], v29 offset0:192 offset1:224
	ds_read2_b64 v[6:9], v30 offset0:192 offset1:224
	s_waitcnt lgkmcnt(4)
	v_fmac_f64_e32 v[26:27], v[10:11], v[14:15]
	v_add_u32_e32 v29, 0x3000, v1
	v_fmac_f64_e32 v[26:27], v[12:13], v[16:17]
	ds_read2_b64 v[10:13], v29 offset1:32
	s_waitcnt lgkmcnt(3)
	v_fmac_f64_e32 v[26:27], v[18:19], v[22:23]
	v_add_u32_e32 v30, 0x1000, v28
	v_fmac_f64_e32 v[26:27], v[20:21], v[24:25]
	ds_read2_b64 v[14:17], v30 offset1:32
	ds_read2_b64 v[18:21], v29 offset0:64 offset1:96
	ds_read2_b64 v[22:25], v30 offset0:64 offset1:96
	s_waitcnt lgkmcnt(4)
	v_fmac_f64_e32 v[26:27], v[2:3], v[6:7]
	v_fmac_f64_e32 v[26:27], v[4:5], v[8:9]
	s_waitcnt lgkmcnt(2)
	v_fmac_f64_e32 v[26:27], v[10:11], v[14:15]
	v_fmac_f64_e32 v[26:27], v[12:13], v[16:17]
	ds_read2_b64 v[2:5], v29 offset0:128 offset1:160
	ds_read2_b64 v[6:9], v30 offset0:128 offset1:160
	;; [unrolled: 1-line block ×4, first 2 shown]
	s_waitcnt lgkmcnt(4)
	v_fmac_f64_e32 v[26:27], v[18:19], v[22:23]
	v_add_u32_e32 v29, 0x3800, v1
	v_add_u32_e32 v28, 0x1800, v28
	v_fmac_f64_e32 v[26:27], v[20:21], v[24:25]
	ds_read2_b64 v[18:21], v29 offset1:32
	ds_read2_b64 v[22:25], v28 offset1:32
	s_waitcnt lgkmcnt(4)
	v_fmac_f64_e32 v[26:27], v[2:3], v[6:7]
	v_fmac_f64_e32 v[26:27], v[4:5], v[8:9]
	s_waitcnt lgkmcnt(2)
	v_fmac_f64_e32 v[26:27], v[10:11], v[14:15]
	s_lshl_b64 s[0:1], s[0:1], 3
	v_fmac_f64_e32 v[26:27], v[12:13], v[16:17]
	s_add_u32 s4, s14, s0
	s_waitcnt lgkmcnt(0)
	v_fmac_f64_e32 v[26:27], v[18:19], v[22:23]
	s_addc_u32 s5, s15, s1
	s_lshl_b64 s[0:1], s[6:7], 3
	v_fmac_f64_e32 v[26:27], v[20:21], v[24:25]
	ds_read2_b64 v[2:5], v29 offset0:64 offset1:96
	ds_read2_b64 v[6:9], v28 offset0:64 offset1:96
	;; [unrolled: 1-line block ×6, first 2 shown]
	s_add_u32 s4, s4, s0
	s_waitcnt lgkmcnt(4)
	v_fmac_f64_e32 v[26:27], v[2:3], v[6:7]
	s_addc_u32 s5, s5, s1
	v_fmac_f64_e32 v[26:27], v[4:5], v[8:9]
	v_mad_u64_u32 v[4:5], s[0:1], v0, s22, 0
	v_mov_b32_e32 v6, v5
	v_mad_u64_u32 v[6:7], s[0:1], v0, s23, v[6:7]
	v_mov_b32_e32 v5, v6
	s_waitcnt lgkmcnt(2)
	v_fmac_f64_e32 v[26:27], v[10:11], v[14:15]
	v_lshlrev_b64 v[4:5], 3, v[4:5]
	v_fmac_f64_e32 v[26:27], v[12:13], v[16:17]
	v_mov_b32_e32 v0, s5
	v_add_co_u32_e32 v4, vcc, s4, v4
	s_waitcnt lgkmcnt(0)
	v_fmac_f64_e32 v[26:27], v[18:19], v[22:23]
	v_addc_co_u32_e32 v5, vcc, v0, v5, vcc
	v_fmac_f64_e32 v[26:27], v[20:21], v[24:25]
	v_add_co_u32_e32 v0, vcc, v4, v1
	v_mul_f64 v[2:3], v[26:27], s[2:3]
	v_addc_co_u32_e32 v1, vcc, 0, v5, vcc
	global_store_dwordx2 v[0:1], v[2:3], off
.LBB167_15:
	s_endpgm
	.section	.rodata,"a",@progbits
	.p2align	6, 0x0
	.amdhsa_kernel _ZL23rocblas_trmm_rTx_kernelILi32ELb1EddKPKdKPdEv13rocblas_fill_17rocblas_diagonal_iiT2_lPT3_llS9_llPT4_lli
		.amdhsa_group_segment_fixed_size 16384
		.amdhsa_private_segment_fixed_size 0
		.amdhsa_kernarg_size 108
		.amdhsa_user_sgpr_count 6
		.amdhsa_user_sgpr_private_segment_buffer 1
		.amdhsa_user_sgpr_dispatch_ptr 0
		.amdhsa_user_sgpr_queue_ptr 0
		.amdhsa_user_sgpr_kernarg_segment_ptr 1
		.amdhsa_user_sgpr_dispatch_id 0
		.amdhsa_user_sgpr_flat_scratch_init 0
		.amdhsa_user_sgpr_kernarg_preload_length 0
		.amdhsa_user_sgpr_kernarg_preload_offset 0
		.amdhsa_user_sgpr_private_segment_size 0
		.amdhsa_uses_dynamic_stack 0
		.amdhsa_system_sgpr_private_segment_wavefront_offset 0
		.amdhsa_system_sgpr_workgroup_id_x 1
		.amdhsa_system_sgpr_workgroup_id_y 0
		.amdhsa_system_sgpr_workgroup_id_z 1
		.amdhsa_system_sgpr_workgroup_info 0
		.amdhsa_system_vgpr_workitem_id 1
		.amdhsa_next_free_vgpr 31
		.amdhsa_next_free_sgpr 32
		.amdhsa_accum_offset 32
		.amdhsa_reserve_vcc 1
		.amdhsa_reserve_flat_scratch 0
		.amdhsa_float_round_mode_32 0
		.amdhsa_float_round_mode_16_64 0
		.amdhsa_float_denorm_mode_32 3
		.amdhsa_float_denorm_mode_16_64 3
		.amdhsa_dx10_clamp 1
		.amdhsa_ieee_mode 1
		.amdhsa_fp16_overflow 0
		.amdhsa_tg_split 0
		.amdhsa_exception_fp_ieee_invalid_op 0
		.amdhsa_exception_fp_denorm_src 0
		.amdhsa_exception_fp_ieee_div_zero 0
		.amdhsa_exception_fp_ieee_overflow 0
		.amdhsa_exception_fp_ieee_underflow 0
		.amdhsa_exception_fp_ieee_inexact 0
		.amdhsa_exception_int_div_zero 0
	.end_amdhsa_kernel
	.section	.text._ZL23rocblas_trmm_rTx_kernelILi32ELb1EddKPKdKPdEv13rocblas_fill_17rocblas_diagonal_iiT2_lPT3_llS9_llPT4_lli,"axG",@progbits,_ZL23rocblas_trmm_rTx_kernelILi32ELb1EddKPKdKPdEv13rocblas_fill_17rocblas_diagonal_iiT2_lPT3_llS9_llPT4_lli,comdat
.Lfunc_end167:
	.size	_ZL23rocblas_trmm_rTx_kernelILi32ELb1EddKPKdKPdEv13rocblas_fill_17rocblas_diagonal_iiT2_lPT3_llS9_llPT4_lli, .Lfunc_end167-_ZL23rocblas_trmm_rTx_kernelILi32ELb1EddKPKdKPdEv13rocblas_fill_17rocblas_diagonal_iiT2_lPT3_llS9_llPT4_lli
                                        ; -- End function
	.section	.AMDGPU.csdata,"",@progbits
; Kernel info:
; codeLenInByte = 1220
; NumSgprs: 36
; NumVgprs: 31
; NumAgprs: 0
; TotalNumVgprs: 31
; ScratchSize: 0
; MemoryBound: 0
; FloatMode: 240
; IeeeMode: 1
; LDSByteSize: 16384 bytes/workgroup (compile time only)
; SGPRBlocks: 4
; VGPRBlocks: 3
; NumSGPRsForWavesPerEU: 36
; NumVGPRsForWavesPerEU: 31
; AccumOffset: 32
; Occupancy: 8
; WaveLimiterHint : 1
; COMPUTE_PGM_RSRC2:SCRATCH_EN: 0
; COMPUTE_PGM_RSRC2:USER_SGPR: 6
; COMPUTE_PGM_RSRC2:TRAP_HANDLER: 0
; COMPUTE_PGM_RSRC2:TGID_X_EN: 1
; COMPUTE_PGM_RSRC2:TGID_Y_EN: 0
; COMPUTE_PGM_RSRC2:TGID_Z_EN: 1
; COMPUTE_PGM_RSRC2:TIDIG_COMP_CNT: 1
; COMPUTE_PGM_RSRC3_GFX90A:ACCUM_OFFSET: 7
; COMPUTE_PGM_RSRC3_GFX90A:TG_SPLIT: 0
	.section	.text._ZL23rocblas_trmm_lNx_kernelILi16E19rocblas_complex_numIfEPKS1_KS3_KPS1_Ev13rocblas_fill_17rocblas_diagonal_iiT1_lPT2_llSB_llPT3_lli,"axG",@progbits,_ZL23rocblas_trmm_lNx_kernelILi16E19rocblas_complex_numIfEPKS1_KS3_KPS1_Ev13rocblas_fill_17rocblas_diagonal_iiT1_lPT2_llSB_llPT3_lli,comdat
	.globl	_ZL23rocblas_trmm_lNx_kernelILi16E19rocblas_complex_numIfEPKS1_KS3_KPS1_Ev13rocblas_fill_17rocblas_diagonal_iiT1_lPT2_llSB_llPT3_lli ; -- Begin function _ZL23rocblas_trmm_lNx_kernelILi16E19rocblas_complex_numIfEPKS1_KS3_KPS1_Ev13rocblas_fill_17rocblas_diagonal_iiT1_lPT2_llSB_llPT3_lli
	.p2align	8
	.type	_ZL23rocblas_trmm_lNx_kernelILi16E19rocblas_complex_numIfEPKS1_KS3_KPS1_Ev13rocblas_fill_17rocblas_diagonal_iiT1_lPT2_llSB_llPT3_lli,@function
_ZL23rocblas_trmm_lNx_kernelILi16E19rocblas_complex_numIfEPKS1_KS3_KPS1_Ev13rocblas_fill_17rocblas_diagonal_iiT1_lPT2_llSB_llPT3_lli: ; @_ZL23rocblas_trmm_lNx_kernelILi16E19rocblas_complex_numIfEPKS1_KS3_KPS1_Ev13rocblas_fill_17rocblas_diagonal_iiT1_lPT2_llSB_llPT3_lli
; %bb.0:
	s_load_dwordx16 s[8:23], s[4:5], 0x10
	s_mov_b32 s29, 0
	s_waitcnt lgkmcnt(0)
	s_mul_i32 s0, s7, s11
	s_mul_hi_u32 s1, s7, s10
	s_add_i32 s1, s1, s0
	s_mul_i32 s0, s7, s10
	s_lshl_b64 s[0:1], s[0:1], 3
	s_add_u32 s0, s8, s0
	s_addc_u32 s1, s9, s1
	s_load_dwordx2 s[24:25], s[0:1], 0x0
	s_waitcnt lgkmcnt(0)
	v_cmp_neq_f32_e64 s[0:1], s24, 0
	v_cmp_neq_f32_e64 s[2:3], s25, 0
	s_or_b64 s[0:1], s[0:1], s[2:3]
	s_andn2_b64 vcc, exec, s[0:1]
	s_cbranch_vccnz .LBB168_15
; %bb.1:
	s_load_dwordx4 s[8:11], s[4:5], 0x0
	s_load_dwordx4 s[0:3], s[4:5], 0x50
	s_mov_b32 s28, s7
	s_lshl_b64 s[30:31], s[28:29], 3
	s_add_u32 s18, s18, s30
	s_addc_u32 s19, s19, s31
	s_waitcnt lgkmcnt(0)
	s_add_u32 s0, s0, s30
	s_addc_u32 s1, s1, s31
	s_load_dwordx2 s[26:27], s[18:19], 0x0
	v_and_b32_e32 v4, 0x3ff, v0
	s_load_dwordx2 s[18:19], s[0:1], 0x0
	v_bfe_u32 v0, v0, 10, 10
	v_lshlrev_b32_e32 v2, 4, v0
	s_mov_b32 s28, s29
	v_cmp_gt_i32_e64 s[0:1], s10, v0
	v_cmp_gt_i32_e32 vcc, s10, v4
	v_add_lshl_u32 v3, v2, v4, 3
	v_pk_mov_b32 v[6:7], s[28:29], s[28:29] op_sel:[0,1]
	s_and_b64 s[0:1], s[0:1], vcc
	v_lshlrev_b32_e32 v1, 3, v4
	ds_write2st64_b64 v3, v[6:7], v[6:7] offset1:4
	s_and_saveexec_b64 s[28:29], s[0:1]
	s_cbranch_execz .LBB168_3
; %bb.2:
	s_add_u32 s0, s12, s30
	s_addc_u32 s1, s13, s31
	s_load_dwordx2 s[0:1], s[0:1], 0x0
	v_mad_u64_u32 v[6:7], s[12:13], v0, s14, 0
	s_lshl_b64 s[12:13], s[16:17], 3
	v_mov_b32_e32 v8, v7
	s_waitcnt lgkmcnt(0)
	s_add_u32 s7, s0, s12
	s_addc_u32 s10, s1, s13
	v_mad_u64_u32 v[8:9], s[0:1], v0, s15, v[8:9]
	v_mov_b32_e32 v7, v8
	v_lshlrev_b64 v[6:7], 3, v[6:7]
	v_mov_b32_e32 v5, s10
	v_add_co_u32_e64 v6, s[0:1], s7, v6
	v_addc_co_u32_e64 v5, s[0:1], v5, v7, s[0:1]
	v_add_co_u32_e64 v6, s[0:1], v6, v1
	v_addc_co_u32_e64 v7, s[0:1], 0, v5, s[0:1]
	global_load_dwordx2 v[6:7], v[6:7], off
	s_waitcnt vmcnt(0)
	ds_write_b64 v3, v[6:7]
.LBB168_3:
	s_or_b64 exec, exec, s[28:29]
	s_add_i32 s0, s11, -1
	s_ashr_i32 s1, s0, 31
	s_lshr_b32 s1, s1, 28
	s_add_i32 s0, s0, s1
	s_ashr_i32 s1, s0, 4
	s_and_b32 s0, s0, -16
	s_sub_i32 s0, s11, s0
	s_cmp_ge_i32 s6, s1
	s_cselect_b32 s0, s0, 16
	s_lshl_b32 s10, s6, 4
	v_cmp_gt_i32_e64 s[0:1], s0, v0
	s_ashr_i32 s11, s10, 31
	s_and_b64 s[0:1], vcc, s[0:1]
	s_and_saveexec_b64 s[6:7], s[0:1]
	s_cbranch_execz .LBB168_5
; %bb.4:
	s_lshl_b64 s[12:13], s[22:23], 3
	s_waitcnt lgkmcnt(0)
	s_add_u32 s14, s26, s12
	s_addc_u32 s15, s27, s13
	s_mul_i32 s12, s10, s21
	s_mul_hi_u32 s13, s10, s20
	s_add_i32 s12, s13, s12
	s_mul_i32 s13, s11, s20
	s_add_i32 s13, s12, s13
	s_mul_i32 s12, s10, s20
	s_lshl_b64 s[12:13], s[12:13], 3
	s_add_u32 s14, s14, s12
	s_addc_u32 s15, s15, s13
	v_mad_u64_u32 v[6:7], s[12:13], v0, s20, 0
	v_mov_b32_e32 v8, v7
	v_mad_u64_u32 v[8:9], s[12:13], v0, s21, v[8:9]
	v_mov_b32_e32 v7, v8
	v_lshlrev_b64 v[6:7], 3, v[6:7]
	v_mov_b32_e32 v5, s15
	v_add_co_u32_e32 v6, vcc, s14, v6
	v_addc_co_u32_e32 v5, vcc, v5, v7, vcc
	v_add_co_u32_e32 v6, vcc, v6, v1
	v_addc_co_u32_e32 v7, vcc, 0, v5, vcc
	global_load_dwordx2 v[6:7], v[6:7], off
	v_add_u32_e32 v5, 0x800, v3
	s_waitcnt vmcnt(0)
	ds_write_b64 v5, v[6:7]
.LBB168_5:
	s_or_b64 exec, exec, s[6:7]
	s_cmpk_eq_i32 s9, 0x84
	s_cselect_b64 s[6:7], -1, 0
	v_cmp_eq_u32_e32 vcc, v0, v4
	s_and_b64 s[12:13], vcc, s[6:7]
	s_and_saveexec_b64 s[6:7], s[12:13]
	s_cbranch_execz .LBB168_7
; %bb.6:
	v_mov_b32_e32 v6, 1.0
	v_mov_b32_e32 v7, 0
	ds_write_b64 v3, v[6:7]
.LBB168_7:
	s_or_b64 exec, exec, s[6:7]
	s_cmpk_lg_i32 s8, 0x79
	s_cbranch_scc0 .LBB168_9
; %bb.8:
	v_cmp_lt_u32_e32 vcc, v4, v0
	s_and_b64 s[6:7], vcc, exec
	s_cbranch_execz .LBB168_10
	s_branch .LBB168_11
.LBB168_9:
	s_mov_b64 s[6:7], 0
.LBB168_10:
	v_cmp_gt_u32_e32 vcc, v4, v0
	s_andn2_b64 s[6:7], s[6:7], exec
	s_and_b64 s[8:9], vcc, exec
	s_or_b64 s[6:7], s[6:7], s[8:9]
.LBB168_11:
	s_and_saveexec_b64 s[8:9], s[6:7]
	s_cbranch_execz .LBB168_13
; %bb.12:
	v_mov_b32_e32 v4, 0
	v_mov_b32_e32 v5, v4
	ds_write_b64 v3, v[4:5]
.LBB168_13:
	s_or_b64 exec, exec, s[8:9]
	s_waitcnt lgkmcnt(0)
	s_barrier
	s_and_saveexec_b64 s[6:7], s[0:1]
	s_cbranch_execz .LBB168_15
; %bb.14:
	v_lshlrev_b32_e32 v54, 3, v2
	ds_read2_b64 v[2:5], v1 offset1:16
	ds_read_b128 v[6:9], v54 offset:2048
	ds_read_b128 v[10:13], v54 offset:2064
	;; [unrolled: 1-line block ×4, first 2 shown]
	ds_read2_b64 v[22:25], v1 offset0:32 offset1:48
	s_load_dwordx2 s[0:1], s[4:5], 0x60
	s_mul_i32 s4, s10, s3
	s_waitcnt lgkmcnt(0)
	v_mul_f32_e32 v26, v6, v3
	v_fmac_f32_e32 v26, v7, v2
	v_mul_f32_e32 v27, v8, v5
	v_add_f32_e32 v26, 0, v26
	v_fmac_f32_e32 v27, v9, v4
	v_add_f32_e32 v30, v26, v27
	v_mul_f32_e32 v31, v10, v23
	ds_read2_b64 v[26:29], v1 offset0:64 offset1:80
	v_fmac_f32_e32 v31, v11, v22
	v_add_f32_e32 v30, v30, v31
	v_mul_f32_e32 v31, v12, v25
	v_fmac_f32_e32 v31, v13, v24
	v_add_f32_e32 v34, v30, v31
	ds_read2_b64 v[30:33], v1 offset0:96 offset1:112
	s_waitcnt lgkmcnt(1)
	v_mul_f32_e32 v35, v14, v27
	v_fmac_f32_e32 v35, v15, v26
	v_add_f32_e32 v34, v34, v35
	v_mul_f32_e32 v35, v16, v29
	v_fmac_f32_e32 v35, v17, v28
	v_add_f32_e32 v34, v34, v35
	s_waitcnt lgkmcnt(0)
	v_mul_f32_e32 v35, v18, v31
	v_fmac_f32_e32 v35, v19, v30
	v_add_f32_e32 v42, v34, v35
	ds_read2_b64 v[34:37], v1 offset0:128 offset1:144
	ds_read_b128 v[38:41], v54 offset:2112
	v_mul_f32_e32 v43, v20, v33
	v_fmac_f32_e32 v43, v21, v32
	v_add_f32_e32 v50, v42, v43
	ds_read_b128 v[42:45], v54 offset:2128
	ds_read2_b64 v[46:49], v1 offset0:160 offset1:176
	s_waitcnt lgkmcnt(2)
	v_mul_f32_e32 v51, v38, v35
	v_fmac_f32_e32 v51, v39, v34
	v_add_f32_e32 v50, v50, v51
	v_mul_f32_e32 v51, v40, v37
	v_mul_f32_e32 v3, v7, v3
	v_fmac_f32_e32 v51, v41, v36
	v_fma_f32 v56, v6, v2, -v3
	v_mul_f32_e32 v2, v9, v5
	v_add_f32_e32 v50, v50, v51
	v_fma_f32 v57, v8, v4, -v2
	ds_read_b128 v[2:5], v54 offset:2144
	s_waitcnt lgkmcnt(1)
	v_mul_f32_e32 v51, v42, v47
	v_fmac_f32_e32 v51, v43, v46
	v_add_f32_e32 v55, v50, v51
	ds_read2_b64 v[50:53], v1 offset0:192 offset1:208
	v_mul_f32_e32 v6, v44, v49
	v_mul_f32_e32 v11, v11, v23
	v_fmac_f32_e32 v6, v45, v48
	v_fma_f32 v22, v10, v22, -v11
	v_mul_f32_e32 v10, v13, v25
	v_add_f32_e32 v55, v55, v6
	ds_read_b128 v[6:9], v54 offset:2160
	v_fma_f32 v23, v12, v24, -v10
	ds_read2_b64 v[10:13], v1 offset0:224 offset1:240
	s_waitcnt lgkmcnt(2)
	v_mul_f32_e32 v54, v2, v51
	v_fmac_f32_e32 v54, v3, v50
	v_mul_f32_e32 v25, v4, v53
	v_add_f32_e32 v24, v55, v54
	v_fmac_f32_e32 v25, v5, v52
	v_add_f32_e32 v24, v24, v25
	s_waitcnt lgkmcnt(0)
	v_mul_f32_e32 v25, v6, v11
	v_fmac_f32_e32 v25, v7, v10
	v_add_f32_e32 v24, v24, v25
	v_mul_f32_e32 v25, v8, v13
	v_fmac_f32_e32 v25, v9, v12
	v_add_f32_e32 v24, v24, v25
	v_add_f32_e32 v25, 0, v56
	;; [unrolled: 1-line block ×4, first 2 shown]
	v_mul_f32_e32 v15, v15, v27
	v_add_f32_e32 v22, v22, v23
	v_fma_f32 v14, v14, v26, -v15
	v_mul_f32_e32 v15, v17, v29
	v_add_f32_e32 v14, v22, v14
	v_fma_f32 v15, v16, v28, -v15
	v_add_f32_e32 v14, v14, v15
	v_mul_f32_e32 v15, v19, v31
	v_fma_f32 v15, v18, v30, -v15
	v_add_f32_e32 v14, v14, v15
	v_mul_f32_e32 v15, v21, v33
	;; [unrolled: 3-line block ×6, first 2 shown]
	v_fma_f32 v15, v44, v48, -v15
	v_mul_f32_e32 v3, v3, v51
	v_add_f32_e32 v14, v14, v15
	v_fma_f32 v2, v2, v50, -v3
	v_mul_f32_e32 v3, v5, v53
	v_add_f32_e32 v2, v14, v2
	v_fma_f32 v3, v4, v52, -v3
	v_add_f32_e32 v2, v2, v3
	v_mul_f32_e32 v3, v7, v11
	v_fma_f32 v3, v6, v10, -v3
	v_add_f32_e32 v2, v2, v3
	v_mul_f32_e32 v3, v9, v13
	s_lshl_b64 s[0:1], s[0:1], 3
	v_fma_f32 v3, v8, v12, -v3
	s_mul_hi_u32 s5, s10, s2
	s_add_u32 s6, s18, s0
	v_add_f32_e32 v2, v2, v3
	v_mul_f32_e32 v3, s24, v24
	v_mul_f32_e32 v4, s25, v24
	s_mul_i32 s11, s11, s2
	s_addc_u32 s7, s19, s1
	s_add_i32 s0, s5, s4
	v_fmac_f32_e32 v3, s25, v2
	v_fma_f32 v2, s24, v2, -v4
	v_mad_u64_u32 v[4:5], s[4:5], v0, s2, 0
	s_add_i32 s1, s0, s11
	s_mul_i32 s0, s10, s2
	v_mov_b32_e32 v6, v5
	s_lshl_b64 s[0:1], s[0:1], 3
	v_mad_u64_u32 v[6:7], s[2:3], v0, s3, v[6:7]
	s_add_u32 s0, s6, s0
	v_mov_b32_e32 v5, v6
	s_addc_u32 s1, s7, s1
	v_lshlrev_b64 v[4:5], 3, v[4:5]
	v_mov_b32_e32 v0, s1
	v_add_co_u32_e32 v4, vcc, s0, v4
	v_addc_co_u32_e32 v5, vcc, v0, v5, vcc
	v_add_co_u32_e32 v0, vcc, v4, v1
	v_addc_co_u32_e32 v1, vcc, 0, v5, vcc
	global_store_dwordx2 v[0:1], v[2:3], off
.LBB168_15:
	s_endpgm
	.section	.rodata,"a",@progbits
	.p2align	6, 0x0
	.amdhsa_kernel _ZL23rocblas_trmm_lNx_kernelILi16E19rocblas_complex_numIfEPKS1_KS3_KPS1_Ev13rocblas_fill_17rocblas_diagonal_iiT1_lPT2_llSB_llPT3_lli
		.amdhsa_group_segment_fixed_size 4096
		.amdhsa_private_segment_fixed_size 0
		.amdhsa_kernarg_size 108
		.amdhsa_user_sgpr_count 6
		.amdhsa_user_sgpr_private_segment_buffer 1
		.amdhsa_user_sgpr_dispatch_ptr 0
		.amdhsa_user_sgpr_queue_ptr 0
		.amdhsa_user_sgpr_kernarg_segment_ptr 1
		.amdhsa_user_sgpr_dispatch_id 0
		.amdhsa_user_sgpr_flat_scratch_init 0
		.amdhsa_user_sgpr_kernarg_preload_length 0
		.amdhsa_user_sgpr_kernarg_preload_offset 0
		.amdhsa_user_sgpr_private_segment_size 0
		.amdhsa_uses_dynamic_stack 0
		.amdhsa_system_sgpr_private_segment_wavefront_offset 0
		.amdhsa_system_sgpr_workgroup_id_x 1
		.amdhsa_system_sgpr_workgroup_id_y 0
		.amdhsa_system_sgpr_workgroup_id_z 1
		.amdhsa_system_sgpr_workgroup_info 0
		.amdhsa_system_vgpr_workitem_id 1
		.amdhsa_next_free_vgpr 58
		.amdhsa_next_free_sgpr 32
		.amdhsa_accum_offset 60
		.amdhsa_reserve_vcc 1
		.amdhsa_reserve_flat_scratch 0
		.amdhsa_float_round_mode_32 0
		.amdhsa_float_round_mode_16_64 0
		.amdhsa_float_denorm_mode_32 3
		.amdhsa_float_denorm_mode_16_64 3
		.amdhsa_dx10_clamp 1
		.amdhsa_ieee_mode 1
		.amdhsa_fp16_overflow 0
		.amdhsa_tg_split 0
		.amdhsa_exception_fp_ieee_invalid_op 0
		.amdhsa_exception_fp_denorm_src 0
		.amdhsa_exception_fp_ieee_div_zero 0
		.amdhsa_exception_fp_ieee_overflow 0
		.amdhsa_exception_fp_ieee_underflow 0
		.amdhsa_exception_fp_ieee_inexact 0
		.amdhsa_exception_int_div_zero 0
	.end_amdhsa_kernel
	.section	.text._ZL23rocblas_trmm_lNx_kernelILi16E19rocblas_complex_numIfEPKS1_KS3_KPS1_Ev13rocblas_fill_17rocblas_diagonal_iiT1_lPT2_llSB_llPT3_lli,"axG",@progbits,_ZL23rocblas_trmm_lNx_kernelILi16E19rocblas_complex_numIfEPKS1_KS3_KPS1_Ev13rocblas_fill_17rocblas_diagonal_iiT1_lPT2_llSB_llPT3_lli,comdat
.Lfunc_end168:
	.size	_ZL23rocblas_trmm_lNx_kernelILi16E19rocblas_complex_numIfEPKS1_KS3_KPS1_Ev13rocblas_fill_17rocblas_diagonal_iiT1_lPT2_llSB_llPT3_lli, .Lfunc_end168-_ZL23rocblas_trmm_lNx_kernelILi16E19rocblas_complex_numIfEPKS1_KS3_KPS1_Ev13rocblas_fill_17rocblas_diagonal_iiT1_lPT2_llSB_llPT3_lli
                                        ; -- End function
	.section	.AMDGPU.csdata,"",@progbits
; Kernel info:
; codeLenInByte = 1424
; NumSgprs: 36
; NumVgprs: 58
; NumAgprs: 0
; TotalNumVgprs: 58
; ScratchSize: 0
; MemoryBound: 0
; FloatMode: 240
; IeeeMode: 1
; LDSByteSize: 4096 bytes/workgroup (compile time only)
; SGPRBlocks: 4
; VGPRBlocks: 7
; NumSGPRsForWavesPerEU: 36
; NumVGPRsForWavesPerEU: 58
; AccumOffset: 60
; Occupancy: 8
; WaveLimiterHint : 1
; COMPUTE_PGM_RSRC2:SCRATCH_EN: 0
; COMPUTE_PGM_RSRC2:USER_SGPR: 6
; COMPUTE_PGM_RSRC2:TRAP_HANDLER: 0
; COMPUTE_PGM_RSRC2:TGID_X_EN: 1
; COMPUTE_PGM_RSRC2:TGID_Y_EN: 0
; COMPUTE_PGM_RSRC2:TGID_Z_EN: 1
; COMPUTE_PGM_RSRC2:TIDIG_COMP_CNT: 1
; COMPUTE_PGM_RSRC3_GFX90A:ACCUM_OFFSET: 14
; COMPUTE_PGM_RSRC3_GFX90A:TG_SPLIT: 0
	.section	.text._ZL23rocblas_trmm_lNx_kernelILi16E19rocblas_complex_numIfES1_KPKS1_KPS1_Ev13rocblas_fill_17rocblas_diagonal_iiT1_lPT2_llSB_llPT3_lli,"axG",@progbits,_ZL23rocblas_trmm_lNx_kernelILi16E19rocblas_complex_numIfES1_KPKS1_KPS1_Ev13rocblas_fill_17rocblas_diagonal_iiT1_lPT2_llSB_llPT3_lli,comdat
	.globl	_ZL23rocblas_trmm_lNx_kernelILi16E19rocblas_complex_numIfES1_KPKS1_KPS1_Ev13rocblas_fill_17rocblas_diagonal_iiT1_lPT2_llSB_llPT3_lli ; -- Begin function _ZL23rocblas_trmm_lNx_kernelILi16E19rocblas_complex_numIfES1_KPKS1_KPS1_Ev13rocblas_fill_17rocblas_diagonal_iiT1_lPT2_llSB_llPT3_lli
	.p2align	8
	.type	_ZL23rocblas_trmm_lNx_kernelILi16E19rocblas_complex_numIfES1_KPKS1_KPS1_Ev13rocblas_fill_17rocblas_diagonal_iiT1_lPT2_llSB_llPT3_lli,@function
_ZL23rocblas_trmm_lNx_kernelILi16E19rocblas_complex_numIfES1_KPKS1_KPS1_Ev13rocblas_fill_17rocblas_diagonal_iiT1_lPT2_llSB_llPT3_lli: ; @_ZL23rocblas_trmm_lNx_kernelILi16E19rocblas_complex_numIfES1_KPKS1_KPS1_Ev13rocblas_fill_17rocblas_diagonal_iiT1_lPT2_llSB_llPT3_lli
; %bb.0:
	s_load_dwordx2 s[2:3], s[4:5], 0x10
	s_mov_b32 s1, 0
	s_waitcnt lgkmcnt(0)
	v_cmp_neq_f32_e64 s[8:9], s2, 0
	v_cmp_neq_f32_e64 s[10:11], s3, 0
	s_or_b64 s[8:9], s[8:9], s[10:11]
	s_andn2_b64 vcc, exec, s[8:9]
	s_cbranch_vccnz .LBB169_15
; %bb.1:
	s_load_dwordx16 s[8:23], s[4:5], 0x20
	s_load_dwordx4 s[24:27], s[4:5], 0x0
	s_mov_b32 s0, s7
	s_lshl_b64 s[30:31], s[0:1], 3
	v_and_b32_e32 v4, 0x3ff, v0
	s_waitcnt lgkmcnt(0)
	s_add_u32 s14, s14, s30
	s_addc_u32 s15, s15, s31
	s_load_dwordx2 s[28:29], s[14:15], 0x0
	s_add_u32 s14, s20, s30
	s_addc_u32 s15, s21, s31
	s_load_dwordx2 s[14:15], s[14:15], 0x0
	v_bfe_u32 v0, v0, 10, 10
	s_mov_b32 s0, s1
	v_lshlrev_b32_e32 v2, 4, v0
	v_pk_mov_b32 v[6:7], s[0:1], s[0:1] op_sel:[0,1]
	v_cmp_gt_i32_e64 s[0:1], s26, v0
	v_cmp_gt_i32_e32 vcc, s26, v4
	v_add_lshl_u32 v3, v2, v4, 3
	s_and_b64 s[0:1], s[0:1], vcc
	v_lshlrev_b32_e32 v1, 3, v4
	ds_write2st64_b64 v3, v[6:7], v[6:7] offset1:4
	s_and_saveexec_b64 s[20:21], s[0:1]
	s_cbranch_execz .LBB169_3
; %bb.2:
	s_add_u32 s0, s8, s30
	s_addc_u32 s1, s9, s31
	s_load_dwordx2 s[0:1], s[0:1], 0x0
	v_mad_u64_u32 v[6:7], s[8:9], v0, s10, 0
	s_lshl_b64 s[8:9], s[12:13], 3
	v_mov_b32_e32 v8, v7
	s_waitcnt lgkmcnt(0)
	s_add_u32 s7, s0, s8
	s_addc_u32 s8, s1, s9
	v_mad_u64_u32 v[8:9], s[0:1], v0, s11, v[8:9]
	v_mov_b32_e32 v7, v8
	v_lshlrev_b64 v[6:7], 3, v[6:7]
	v_mov_b32_e32 v5, s8
	v_add_co_u32_e64 v6, s[0:1], s7, v6
	v_addc_co_u32_e64 v5, s[0:1], v5, v7, s[0:1]
	v_add_co_u32_e64 v6, s[0:1], v6, v1
	v_addc_co_u32_e64 v7, s[0:1], 0, v5, s[0:1]
	global_load_dwordx2 v[6:7], v[6:7], off
	s_waitcnt vmcnt(0)
	ds_write_b64 v3, v[6:7]
.LBB169_3:
	s_or_b64 exec, exec, s[20:21]
	s_add_i32 s0, s27, -1
	s_ashr_i32 s1, s0, 31
	s_lshr_b32 s1, s1, 28
	s_add_i32 s0, s0, s1
	s_ashr_i32 s1, s0, 4
	s_and_b32 s0, s0, -16
	s_sub_i32 s0, s27, s0
	s_cmp_ge_i32 s6, s1
	s_cselect_b32 s0, s0, 16
	s_lshl_b32 s10, s6, 4
	v_cmp_gt_i32_e64 s[0:1], s0, v0
	s_ashr_i32 s11, s10, 31
	s_and_b64 s[0:1], vcc, s[0:1]
	s_and_saveexec_b64 s[6:7], s[0:1]
	s_cbranch_execz .LBB169_5
; %bb.4:
	s_lshl_b64 s[8:9], s[18:19], 3
	s_waitcnt lgkmcnt(0)
	s_add_u32 s12, s28, s8
	s_addc_u32 s13, s29, s9
	s_mul_i32 s8, s10, s17
	s_mul_hi_u32 s9, s10, s16
	s_add_i32 s8, s9, s8
	s_mul_i32 s9, s11, s16
	s_add_i32 s9, s8, s9
	s_mul_i32 s8, s10, s16
	s_lshl_b64 s[8:9], s[8:9], 3
	s_add_u32 s12, s12, s8
	s_addc_u32 s13, s13, s9
	v_mad_u64_u32 v[6:7], s[8:9], v0, s16, 0
	v_mov_b32_e32 v8, v7
	v_mad_u64_u32 v[8:9], s[8:9], v0, s17, v[8:9]
	v_mov_b32_e32 v7, v8
	v_lshlrev_b64 v[6:7], 3, v[6:7]
	v_mov_b32_e32 v5, s13
	v_add_co_u32_e32 v6, vcc, s12, v6
	v_addc_co_u32_e32 v5, vcc, v5, v7, vcc
	v_add_co_u32_e32 v6, vcc, v6, v1
	v_addc_co_u32_e32 v7, vcc, 0, v5, vcc
	global_load_dwordx2 v[6:7], v[6:7], off
	v_add_u32_e32 v5, 0x800, v3
	s_waitcnt vmcnt(0)
	ds_write_b64 v5, v[6:7]
.LBB169_5:
	s_or_b64 exec, exec, s[6:7]
	s_cmpk_eq_i32 s25, 0x84
	s_cselect_b64 s[6:7], -1, 0
	v_cmp_eq_u32_e32 vcc, v0, v4
	s_and_b64 s[8:9], vcc, s[6:7]
	s_and_saveexec_b64 s[6:7], s[8:9]
	s_cbranch_execz .LBB169_7
; %bb.6:
	v_mov_b32_e32 v6, 1.0
	v_mov_b32_e32 v7, 0
	ds_write_b64 v3, v[6:7]
.LBB169_7:
	s_or_b64 exec, exec, s[6:7]
	s_cmpk_lg_i32 s24, 0x79
	s_cbranch_scc0 .LBB169_9
; %bb.8:
	v_cmp_lt_u32_e32 vcc, v4, v0
	s_and_b64 s[6:7], vcc, exec
	s_cbranch_execz .LBB169_10
	s_branch .LBB169_11
.LBB169_9:
	s_mov_b64 s[6:7], 0
.LBB169_10:
	v_cmp_gt_u32_e32 vcc, v4, v0
	s_andn2_b64 s[6:7], s[6:7], exec
	s_and_b64 s[8:9], vcc, exec
	s_or_b64 s[6:7], s[6:7], s[8:9]
.LBB169_11:
	s_and_saveexec_b64 s[8:9], s[6:7]
	s_cbranch_execz .LBB169_13
; %bb.12:
	v_mov_b32_e32 v4, 0
	v_mov_b32_e32 v5, v4
	ds_write_b64 v3, v[4:5]
.LBB169_13:
	s_or_b64 exec, exec, s[8:9]
	s_waitcnt lgkmcnt(0)
	s_barrier
	s_and_saveexec_b64 s[6:7], s[0:1]
	s_cbranch_execz .LBB169_15
; %bb.14:
	v_lshlrev_b32_e32 v54, 3, v2
	ds_read2_b64 v[2:5], v1 offset1:16
	ds_read_b128 v[6:9], v54 offset:2048
	ds_read_b128 v[10:13], v54 offset:2064
	;; [unrolled: 1-line block ×4, first 2 shown]
	ds_read2_b64 v[22:25], v1 offset0:32 offset1:48
	s_load_dwordx2 s[0:1], s[4:5], 0x60
	s_mul_i32 s4, s10, s23
	s_waitcnt lgkmcnt(0)
	v_mul_f32_e32 v26, v6, v3
	v_fmac_f32_e32 v26, v7, v2
	v_mul_f32_e32 v27, v8, v5
	v_add_f32_e32 v26, 0, v26
	v_fmac_f32_e32 v27, v9, v4
	v_add_f32_e32 v30, v26, v27
	v_mul_f32_e32 v31, v10, v23
	ds_read2_b64 v[26:29], v1 offset0:64 offset1:80
	v_fmac_f32_e32 v31, v11, v22
	v_add_f32_e32 v30, v30, v31
	v_mul_f32_e32 v31, v12, v25
	v_fmac_f32_e32 v31, v13, v24
	v_add_f32_e32 v34, v30, v31
	ds_read2_b64 v[30:33], v1 offset0:96 offset1:112
	s_waitcnt lgkmcnt(1)
	v_mul_f32_e32 v35, v14, v27
	v_fmac_f32_e32 v35, v15, v26
	v_add_f32_e32 v34, v34, v35
	v_mul_f32_e32 v35, v16, v29
	v_fmac_f32_e32 v35, v17, v28
	v_add_f32_e32 v34, v34, v35
	s_waitcnt lgkmcnt(0)
	v_mul_f32_e32 v35, v18, v31
	v_fmac_f32_e32 v35, v19, v30
	v_add_f32_e32 v42, v34, v35
	ds_read2_b64 v[34:37], v1 offset0:128 offset1:144
	ds_read_b128 v[38:41], v54 offset:2112
	v_mul_f32_e32 v43, v20, v33
	v_fmac_f32_e32 v43, v21, v32
	v_add_f32_e32 v50, v42, v43
	ds_read_b128 v[42:45], v54 offset:2128
	ds_read2_b64 v[46:49], v1 offset0:160 offset1:176
	s_waitcnt lgkmcnt(2)
	v_mul_f32_e32 v51, v38, v35
	v_fmac_f32_e32 v51, v39, v34
	v_add_f32_e32 v50, v50, v51
	v_mul_f32_e32 v51, v40, v37
	v_mul_f32_e32 v3, v7, v3
	v_fmac_f32_e32 v51, v41, v36
	v_fma_f32 v56, v6, v2, -v3
	v_mul_f32_e32 v2, v9, v5
	v_add_f32_e32 v50, v50, v51
	v_fma_f32 v57, v8, v4, -v2
	ds_read_b128 v[2:5], v54 offset:2144
	s_waitcnt lgkmcnt(1)
	v_mul_f32_e32 v51, v42, v47
	v_fmac_f32_e32 v51, v43, v46
	v_add_f32_e32 v55, v50, v51
	ds_read2_b64 v[50:53], v1 offset0:192 offset1:208
	v_mul_f32_e32 v6, v44, v49
	v_mul_f32_e32 v11, v11, v23
	v_fmac_f32_e32 v6, v45, v48
	v_fma_f32 v22, v10, v22, -v11
	v_mul_f32_e32 v10, v13, v25
	v_add_f32_e32 v55, v55, v6
	ds_read_b128 v[6:9], v54 offset:2160
	v_fma_f32 v23, v12, v24, -v10
	ds_read2_b64 v[10:13], v1 offset0:224 offset1:240
	s_waitcnt lgkmcnt(2)
	v_mul_f32_e32 v54, v2, v51
	v_fmac_f32_e32 v54, v3, v50
	v_mul_f32_e32 v25, v4, v53
	v_add_f32_e32 v24, v55, v54
	v_fmac_f32_e32 v25, v5, v52
	v_add_f32_e32 v24, v24, v25
	s_waitcnt lgkmcnt(0)
	v_mul_f32_e32 v25, v6, v11
	v_fmac_f32_e32 v25, v7, v10
	v_add_f32_e32 v24, v24, v25
	v_mul_f32_e32 v25, v8, v13
	v_fmac_f32_e32 v25, v9, v12
	v_add_f32_e32 v24, v24, v25
	v_add_f32_e32 v25, 0, v56
	;; [unrolled: 1-line block ×4, first 2 shown]
	v_mul_f32_e32 v15, v15, v27
	v_add_f32_e32 v22, v22, v23
	v_fma_f32 v14, v14, v26, -v15
	v_mul_f32_e32 v15, v17, v29
	v_add_f32_e32 v14, v22, v14
	v_fma_f32 v15, v16, v28, -v15
	v_add_f32_e32 v14, v14, v15
	v_mul_f32_e32 v15, v19, v31
	v_fma_f32 v15, v18, v30, -v15
	v_add_f32_e32 v14, v14, v15
	v_mul_f32_e32 v15, v21, v33
	;; [unrolled: 3-line block ×6, first 2 shown]
	v_fma_f32 v15, v44, v48, -v15
	v_mul_f32_e32 v3, v3, v51
	v_add_f32_e32 v14, v14, v15
	v_fma_f32 v2, v2, v50, -v3
	v_mul_f32_e32 v3, v5, v53
	v_add_f32_e32 v2, v14, v2
	v_fma_f32 v3, v4, v52, -v3
	v_add_f32_e32 v2, v2, v3
	v_mul_f32_e32 v3, v7, v11
	v_fma_f32 v3, v6, v10, -v3
	v_add_f32_e32 v2, v2, v3
	v_mul_f32_e32 v3, v9, v13
	s_lshl_b64 s[0:1], s[0:1], 3
	v_fma_f32 v3, v8, v12, -v3
	s_mul_hi_u32 s5, s10, s22
	s_add_u32 s6, s14, s0
	v_add_f32_e32 v2, v2, v3
	v_mul_f32_e32 v3, s2, v24
	v_mul_f32_e32 v4, s3, v24
	s_mul_i32 s11, s11, s22
	s_addc_u32 s7, s15, s1
	s_add_i32 s0, s5, s4
	v_fmac_f32_e32 v3, s3, v2
	v_fma_f32 v2, s2, v2, -v4
	v_mad_u64_u32 v[4:5], s[2:3], v0, s22, 0
	s_add_i32 s1, s0, s11
	s_mul_i32 s0, s10, s22
	v_mov_b32_e32 v6, v5
	s_lshl_b64 s[0:1], s[0:1], 3
	v_mad_u64_u32 v[6:7], s[2:3], v0, s23, v[6:7]
	s_add_u32 s0, s6, s0
	v_mov_b32_e32 v5, v6
	s_addc_u32 s1, s7, s1
	v_lshlrev_b64 v[4:5], 3, v[4:5]
	v_mov_b32_e32 v0, s1
	v_add_co_u32_e32 v4, vcc, s0, v4
	v_addc_co_u32_e32 v5, vcc, v0, v5, vcc
	v_add_co_u32_e32 v0, vcc, v4, v1
	v_addc_co_u32_e32 v1, vcc, 0, v5, vcc
	global_store_dwordx2 v[0:1], v[2:3], off
.LBB169_15:
	s_endpgm
	.section	.rodata,"a",@progbits
	.p2align	6, 0x0
	.amdhsa_kernel _ZL23rocblas_trmm_lNx_kernelILi16E19rocblas_complex_numIfES1_KPKS1_KPS1_Ev13rocblas_fill_17rocblas_diagonal_iiT1_lPT2_llSB_llPT3_lli
		.amdhsa_group_segment_fixed_size 4096
		.amdhsa_private_segment_fixed_size 0
		.amdhsa_kernarg_size 108
		.amdhsa_user_sgpr_count 6
		.amdhsa_user_sgpr_private_segment_buffer 1
		.amdhsa_user_sgpr_dispatch_ptr 0
		.amdhsa_user_sgpr_queue_ptr 0
		.amdhsa_user_sgpr_kernarg_segment_ptr 1
		.amdhsa_user_sgpr_dispatch_id 0
		.amdhsa_user_sgpr_flat_scratch_init 0
		.amdhsa_user_sgpr_kernarg_preload_length 0
		.amdhsa_user_sgpr_kernarg_preload_offset 0
		.amdhsa_user_sgpr_private_segment_size 0
		.amdhsa_uses_dynamic_stack 0
		.amdhsa_system_sgpr_private_segment_wavefront_offset 0
		.amdhsa_system_sgpr_workgroup_id_x 1
		.amdhsa_system_sgpr_workgroup_id_y 0
		.amdhsa_system_sgpr_workgroup_id_z 1
		.amdhsa_system_sgpr_workgroup_info 0
		.amdhsa_system_vgpr_workitem_id 1
		.amdhsa_next_free_vgpr 58
		.amdhsa_next_free_sgpr 32
		.amdhsa_accum_offset 60
		.amdhsa_reserve_vcc 1
		.amdhsa_reserve_flat_scratch 0
		.amdhsa_float_round_mode_32 0
		.amdhsa_float_round_mode_16_64 0
		.amdhsa_float_denorm_mode_32 3
		.amdhsa_float_denorm_mode_16_64 3
		.amdhsa_dx10_clamp 1
		.amdhsa_ieee_mode 1
		.amdhsa_fp16_overflow 0
		.amdhsa_tg_split 0
		.amdhsa_exception_fp_ieee_invalid_op 0
		.amdhsa_exception_fp_denorm_src 0
		.amdhsa_exception_fp_ieee_div_zero 0
		.amdhsa_exception_fp_ieee_overflow 0
		.amdhsa_exception_fp_ieee_underflow 0
		.amdhsa_exception_fp_ieee_inexact 0
		.amdhsa_exception_int_div_zero 0
	.end_amdhsa_kernel
	.section	.text._ZL23rocblas_trmm_lNx_kernelILi16E19rocblas_complex_numIfES1_KPKS1_KPS1_Ev13rocblas_fill_17rocblas_diagonal_iiT1_lPT2_llSB_llPT3_lli,"axG",@progbits,_ZL23rocblas_trmm_lNx_kernelILi16E19rocblas_complex_numIfES1_KPKS1_KPS1_Ev13rocblas_fill_17rocblas_diagonal_iiT1_lPT2_llSB_llPT3_lli,comdat
.Lfunc_end169:
	.size	_ZL23rocblas_trmm_lNx_kernelILi16E19rocblas_complex_numIfES1_KPKS1_KPS1_Ev13rocblas_fill_17rocblas_diagonal_iiT1_lPT2_llSB_llPT3_lli, .Lfunc_end169-_ZL23rocblas_trmm_lNx_kernelILi16E19rocblas_complex_numIfES1_KPKS1_KPS1_Ev13rocblas_fill_17rocblas_diagonal_iiT1_lPT2_llSB_llPT3_lli
                                        ; -- End function
	.section	.AMDGPU.csdata,"",@progbits
; Kernel info:
; codeLenInByte = 1384
; NumSgprs: 36
; NumVgprs: 58
; NumAgprs: 0
; TotalNumVgprs: 58
; ScratchSize: 0
; MemoryBound: 0
; FloatMode: 240
; IeeeMode: 1
; LDSByteSize: 4096 bytes/workgroup (compile time only)
; SGPRBlocks: 4
; VGPRBlocks: 7
; NumSGPRsForWavesPerEU: 36
; NumVGPRsForWavesPerEU: 58
; AccumOffset: 60
; Occupancy: 8
; WaveLimiterHint : 1
; COMPUTE_PGM_RSRC2:SCRATCH_EN: 0
; COMPUTE_PGM_RSRC2:USER_SGPR: 6
; COMPUTE_PGM_RSRC2:TRAP_HANDLER: 0
; COMPUTE_PGM_RSRC2:TGID_X_EN: 1
; COMPUTE_PGM_RSRC2:TGID_Y_EN: 0
; COMPUTE_PGM_RSRC2:TGID_Z_EN: 1
; COMPUTE_PGM_RSRC2:TIDIG_COMP_CNT: 1
; COMPUTE_PGM_RSRC3_GFX90A:ACCUM_OFFSET: 14
; COMPUTE_PGM_RSRC3_GFX90A:TG_SPLIT: 0
	.section	.text._ZL23rocblas_trmm_lTx_kernelILi16ELb0E19rocblas_complex_numIfEPKS1_KS3_KPS1_Ev13rocblas_fill_17rocblas_diagonal_iiT2_lPT3_llSB_llPT4_lli,"axG",@progbits,_ZL23rocblas_trmm_lTx_kernelILi16ELb0E19rocblas_complex_numIfEPKS1_KS3_KPS1_Ev13rocblas_fill_17rocblas_diagonal_iiT2_lPT3_llSB_llPT4_lli,comdat
	.globl	_ZL23rocblas_trmm_lTx_kernelILi16ELb0E19rocblas_complex_numIfEPKS1_KS3_KPS1_Ev13rocblas_fill_17rocblas_diagonal_iiT2_lPT3_llSB_llPT4_lli ; -- Begin function _ZL23rocblas_trmm_lTx_kernelILi16ELb0E19rocblas_complex_numIfEPKS1_KS3_KPS1_Ev13rocblas_fill_17rocblas_diagonal_iiT2_lPT3_llSB_llPT4_lli
	.p2align	8
	.type	_ZL23rocblas_trmm_lTx_kernelILi16ELb0E19rocblas_complex_numIfEPKS1_KS3_KPS1_Ev13rocblas_fill_17rocblas_diagonal_iiT2_lPT3_llSB_llPT4_lli,@function
_ZL23rocblas_trmm_lTx_kernelILi16ELb0E19rocblas_complex_numIfEPKS1_KS3_KPS1_Ev13rocblas_fill_17rocblas_diagonal_iiT2_lPT3_llSB_llPT4_lli: ; @_ZL23rocblas_trmm_lTx_kernelILi16ELb0E19rocblas_complex_numIfEPKS1_KS3_KPS1_Ev13rocblas_fill_17rocblas_diagonal_iiT2_lPT3_llSB_llPT4_lli
; %bb.0:
	s_load_dwordx16 s[8:23], s[4:5], 0x10
	s_mov_b32 s27, 0
	s_waitcnt lgkmcnt(0)
	s_mul_i32 s0, s7, s11
	s_mul_hi_u32 s1, s7, s10
	s_add_i32 s1, s1, s0
	s_mul_i32 s0, s7, s10
	s_lshl_b64 s[0:1], s[0:1], 3
	s_add_u32 s0, s8, s0
	s_addc_u32 s1, s9, s1
	s_load_dwordx2 s[24:25], s[0:1], 0x0
	s_waitcnt lgkmcnt(0)
	v_cmp_neq_f32_e64 s[0:1], s24, 0
	v_cmp_neq_f32_e64 s[2:3], s25, 0
	s_or_b64 s[0:1], s[0:1], s[2:3]
	s_andn2_b64 vcc, exec, s[0:1]
	s_cbranch_vccnz .LBB170_15
; %bb.1:
	s_mov_b32 s26, s7
	s_load_dwordx4 s[8:11], s[4:5], 0x0
	s_load_dwordx4 s[0:3], s[4:5], 0x50
	s_lshl_b64 s[30:31], s[26:27], 3
	s_add_u32 s12, s12, s30
	s_addc_u32 s13, s13, s31
	s_load_dwordx2 s[28:29], s[12:13], 0x0
	s_add_u32 s12, s18, s30
	s_addc_u32 s13, s19, s31
	s_waitcnt lgkmcnt(0)
	s_add_u32 s0, s0, s30
	s_addc_u32 s1, s1, s31
	s_load_dwordx2 s[18:19], s[12:13], 0x0
	v_and_b32_e32 v4, 0x3ff, v0
	s_load_dwordx2 s[12:13], s[0:1], 0x0
	v_bfe_u32 v0, v0, 10, 10
	v_lshlrev_b32_e32 v2, 4, v0
	s_mov_b32 s26, s27
	v_cmp_gt_i32_e64 s[0:1], s10, v0
	v_cmp_gt_i32_e32 vcc, s10, v4
	v_add_lshl_u32 v3, v2, v4, 3
	v_pk_mov_b32 v[6:7], s[26:27], s[26:27] op_sel:[0,1]
	s_and_b64 s[0:1], s[0:1], vcc
	v_lshlrev_b32_e32 v1, 3, v4
	ds_write2st64_b64 v3, v[6:7], v[6:7] offset1:4
	s_waitcnt lgkmcnt(0)
	s_barrier
	s_and_saveexec_b64 s[26:27], s[0:1]
	s_cbranch_execz .LBB170_3
; %bb.2:
	s_lshl_b64 s[0:1], s[16:17], 3
	s_add_u32 s7, s28, s0
	s_addc_u32 s10, s29, s1
	v_mad_u64_u32 v[6:7], s[0:1], v0, s14, 0
	v_mov_b32_e32 v8, v7
	v_mad_u64_u32 v[8:9], s[0:1], v0, s15, v[8:9]
	v_mov_b32_e32 v7, v8
	v_lshlrev_b64 v[6:7], 3, v[6:7]
	v_mov_b32_e32 v5, s10
	v_add_co_u32_e64 v6, s[0:1], s7, v6
	v_addc_co_u32_e64 v5, s[0:1], v5, v7, s[0:1]
	v_add_co_u32_e64 v6, s[0:1], v6, v1
	v_addc_co_u32_e64 v7, s[0:1], 0, v5, s[0:1]
	global_load_dwordx2 v[6:7], v[6:7], off
	v_lshlrev_b32_e32 v5, 4, v4
	v_add_lshl_u32 v5, v5, v0, 3
	s_waitcnt vmcnt(0)
	ds_write_b64 v5, v[6:7]
.LBB170_3:
	s_or_b64 exec, exec, s[26:27]
	s_add_i32 s0, s11, -1
	s_ashr_i32 s1, s0, 31
	s_lshr_b32 s1, s1, 28
	s_add_i32 s0, s0, s1
	s_ashr_i32 s1, s0, 4
	s_and_b32 s0, s0, -16
	s_sub_i32 s0, s11, s0
	s_cmp_ge_i32 s6, s1
	s_cselect_b32 s0, s0, 16
	s_lshl_b32 s10, s6, 4
	v_cmp_gt_i32_e64 s[0:1], s0, v0
	s_ashr_i32 s11, s10, 31
	s_and_b64 s[0:1], vcc, s[0:1]
	s_and_saveexec_b64 s[6:7], s[0:1]
	s_cbranch_execz .LBB170_5
; %bb.4:
	s_lshl_b64 s[14:15], s[22:23], 3
	s_add_u32 s16, s18, s14
	s_addc_u32 s17, s19, s15
	s_mul_i32 s14, s10, s21
	s_mul_hi_u32 s15, s10, s20
	s_add_i32 s14, s15, s14
	s_mul_i32 s15, s11, s20
	s_add_i32 s15, s14, s15
	s_mul_i32 s14, s10, s20
	s_lshl_b64 s[14:15], s[14:15], 3
	s_add_u32 s16, s16, s14
	s_addc_u32 s17, s17, s15
	v_mad_u64_u32 v[6:7], s[14:15], v0, s20, 0
	v_mov_b32_e32 v8, v7
	v_mad_u64_u32 v[8:9], s[14:15], v0, s21, v[8:9]
	v_mov_b32_e32 v7, v8
	v_lshlrev_b64 v[6:7], 3, v[6:7]
	v_mov_b32_e32 v5, s17
	v_add_co_u32_e32 v6, vcc, s16, v6
	v_addc_co_u32_e32 v5, vcc, v5, v7, vcc
	v_add_co_u32_e32 v6, vcc, v6, v1
	v_addc_co_u32_e32 v7, vcc, 0, v5, vcc
	global_load_dwordx2 v[6:7], v[6:7], off
	v_add_u32_e32 v5, 0x800, v3
	s_waitcnt vmcnt(0)
	ds_write_b64 v5, v[6:7]
.LBB170_5:
	s_or_b64 exec, exec, s[6:7]
	s_cmpk_eq_i32 s9, 0x84
	s_cselect_b64 s[6:7], -1, 0
	v_cmp_eq_u32_e32 vcc, v0, v4
	s_and_b64 s[14:15], vcc, s[6:7]
	s_and_saveexec_b64 s[6:7], s[14:15]
	s_cbranch_execz .LBB170_7
; %bb.6:
	v_mov_b32_e32 v6, 1.0
	v_mov_b32_e32 v7, 0
	ds_write_b64 v3, v[6:7]
.LBB170_7:
	s_or_b64 exec, exec, s[6:7]
	s_cmpk_lg_i32 s8, 0x7a
	s_waitcnt lgkmcnt(0)
	s_barrier
	s_cbranch_scc0 .LBB170_9
; %bb.8:
	v_cmp_lt_u32_e32 vcc, v4, v0
	s_and_b64 s[6:7], vcc, exec
	s_cbranch_execz .LBB170_10
	s_branch .LBB170_11
.LBB170_9:
	s_mov_b64 s[6:7], 0
.LBB170_10:
	v_cmp_gt_u32_e32 vcc, v4, v0
	s_andn2_b64 s[6:7], s[6:7], exec
	s_and_b64 s[8:9], vcc, exec
	s_or_b64 s[6:7], s[6:7], s[8:9]
.LBB170_11:
	s_and_saveexec_b64 s[8:9], s[6:7]
	s_cbranch_execz .LBB170_13
; %bb.12:
	v_mov_b32_e32 v4, 0
	v_mov_b32_e32 v5, v4
	ds_write_b64 v3, v[4:5]
.LBB170_13:
	s_or_b64 exec, exec, s[8:9]
	s_waitcnt lgkmcnt(0)
	s_barrier
	s_and_saveexec_b64 s[6:7], s[0:1]
	s_cbranch_execz .LBB170_15
; %bb.14:
	v_lshlrev_b32_e32 v54, 3, v2
	ds_read2_b64 v[2:5], v1 offset1:16
	ds_read_b128 v[6:9], v54 offset:2048
	ds_read_b128 v[10:13], v54 offset:2064
	;; [unrolled: 1-line block ×4, first 2 shown]
	ds_read2_b64 v[22:25], v1 offset0:32 offset1:48
	s_load_dwordx2 s[0:1], s[4:5], 0x60
	s_mul_i32 s4, s10, s3
	s_waitcnt lgkmcnt(0)
	v_mul_f32_e32 v26, v6, v3
	v_fmac_f32_e32 v26, v7, v2
	v_mul_f32_e32 v27, v8, v5
	v_add_f32_e32 v26, 0, v26
	v_fmac_f32_e32 v27, v9, v4
	v_add_f32_e32 v30, v26, v27
	v_mul_f32_e32 v31, v10, v23
	ds_read2_b64 v[26:29], v1 offset0:64 offset1:80
	v_fmac_f32_e32 v31, v11, v22
	v_add_f32_e32 v30, v30, v31
	v_mul_f32_e32 v31, v12, v25
	v_fmac_f32_e32 v31, v13, v24
	v_add_f32_e32 v34, v30, v31
	ds_read2_b64 v[30:33], v1 offset0:96 offset1:112
	s_waitcnt lgkmcnt(1)
	v_mul_f32_e32 v35, v14, v27
	v_fmac_f32_e32 v35, v15, v26
	v_add_f32_e32 v34, v34, v35
	v_mul_f32_e32 v35, v16, v29
	v_fmac_f32_e32 v35, v17, v28
	v_add_f32_e32 v34, v34, v35
	s_waitcnt lgkmcnt(0)
	v_mul_f32_e32 v35, v18, v31
	v_fmac_f32_e32 v35, v19, v30
	v_add_f32_e32 v42, v34, v35
	ds_read2_b64 v[34:37], v1 offset0:128 offset1:144
	ds_read_b128 v[38:41], v54 offset:2112
	v_mul_f32_e32 v43, v20, v33
	v_fmac_f32_e32 v43, v21, v32
	v_add_f32_e32 v50, v42, v43
	ds_read_b128 v[42:45], v54 offset:2128
	ds_read2_b64 v[46:49], v1 offset0:160 offset1:176
	s_waitcnt lgkmcnt(2)
	v_mul_f32_e32 v51, v38, v35
	v_fmac_f32_e32 v51, v39, v34
	v_add_f32_e32 v50, v50, v51
	v_mul_f32_e32 v51, v40, v37
	v_mul_f32_e32 v3, v7, v3
	v_fmac_f32_e32 v51, v41, v36
	v_fma_f32 v56, v6, v2, -v3
	v_mul_f32_e32 v2, v9, v5
	v_add_f32_e32 v50, v50, v51
	v_fma_f32 v57, v8, v4, -v2
	ds_read_b128 v[2:5], v54 offset:2144
	s_waitcnt lgkmcnt(1)
	v_mul_f32_e32 v51, v42, v47
	v_fmac_f32_e32 v51, v43, v46
	v_add_f32_e32 v55, v50, v51
	ds_read2_b64 v[50:53], v1 offset0:192 offset1:208
	v_mul_f32_e32 v6, v44, v49
	v_mul_f32_e32 v11, v11, v23
	v_fmac_f32_e32 v6, v45, v48
	v_fma_f32 v22, v10, v22, -v11
	v_mul_f32_e32 v10, v13, v25
	v_add_f32_e32 v55, v55, v6
	ds_read_b128 v[6:9], v54 offset:2160
	v_fma_f32 v23, v12, v24, -v10
	ds_read2_b64 v[10:13], v1 offset0:224 offset1:240
	s_waitcnt lgkmcnt(2)
	v_mul_f32_e32 v54, v2, v51
	v_fmac_f32_e32 v54, v3, v50
	v_mul_f32_e32 v25, v4, v53
	v_add_f32_e32 v24, v55, v54
	v_fmac_f32_e32 v25, v5, v52
	v_add_f32_e32 v24, v24, v25
	s_waitcnt lgkmcnt(0)
	v_mul_f32_e32 v25, v6, v11
	v_fmac_f32_e32 v25, v7, v10
	v_add_f32_e32 v24, v24, v25
	v_mul_f32_e32 v25, v8, v13
	v_fmac_f32_e32 v25, v9, v12
	v_add_f32_e32 v24, v24, v25
	v_add_f32_e32 v25, 0, v56
	;; [unrolled: 1-line block ×4, first 2 shown]
	v_mul_f32_e32 v15, v15, v27
	v_add_f32_e32 v22, v22, v23
	v_fma_f32 v14, v14, v26, -v15
	v_mul_f32_e32 v15, v17, v29
	v_add_f32_e32 v14, v22, v14
	v_fma_f32 v15, v16, v28, -v15
	v_add_f32_e32 v14, v14, v15
	v_mul_f32_e32 v15, v19, v31
	v_fma_f32 v15, v18, v30, -v15
	v_add_f32_e32 v14, v14, v15
	v_mul_f32_e32 v15, v21, v33
	;; [unrolled: 3-line block ×6, first 2 shown]
	v_fma_f32 v15, v44, v48, -v15
	v_mul_f32_e32 v3, v3, v51
	v_add_f32_e32 v14, v14, v15
	v_fma_f32 v2, v2, v50, -v3
	v_mul_f32_e32 v3, v5, v53
	v_add_f32_e32 v2, v14, v2
	v_fma_f32 v3, v4, v52, -v3
	v_add_f32_e32 v2, v2, v3
	v_mul_f32_e32 v3, v7, v11
	v_fma_f32 v3, v6, v10, -v3
	v_add_f32_e32 v2, v2, v3
	v_mul_f32_e32 v3, v9, v13
	s_lshl_b64 s[0:1], s[0:1], 3
	v_fma_f32 v3, v8, v12, -v3
	s_mul_hi_u32 s5, s10, s2
	s_add_u32 s6, s12, s0
	v_add_f32_e32 v2, v2, v3
	v_mul_f32_e32 v3, s24, v24
	v_mul_f32_e32 v4, s25, v24
	s_mul_i32 s11, s11, s2
	s_addc_u32 s7, s13, s1
	s_add_i32 s0, s5, s4
	v_fmac_f32_e32 v3, s25, v2
	v_fma_f32 v2, s24, v2, -v4
	v_mad_u64_u32 v[4:5], s[4:5], v0, s2, 0
	s_add_i32 s1, s0, s11
	s_mul_i32 s0, s10, s2
	v_mov_b32_e32 v6, v5
	s_lshl_b64 s[0:1], s[0:1], 3
	v_mad_u64_u32 v[6:7], s[2:3], v0, s3, v[6:7]
	s_add_u32 s0, s6, s0
	v_mov_b32_e32 v5, v6
	s_addc_u32 s1, s7, s1
	v_lshlrev_b64 v[4:5], 3, v[4:5]
	v_mov_b32_e32 v0, s1
	v_add_co_u32_e32 v4, vcc, s0, v4
	v_addc_co_u32_e32 v5, vcc, v0, v5, vcc
	v_add_co_u32_e32 v0, vcc, v4, v1
	v_addc_co_u32_e32 v1, vcc, 0, v5, vcc
	global_store_dwordx2 v[0:1], v[2:3], off
.LBB170_15:
	s_endpgm
	.section	.rodata,"a",@progbits
	.p2align	6, 0x0
	.amdhsa_kernel _ZL23rocblas_trmm_lTx_kernelILi16ELb0E19rocblas_complex_numIfEPKS1_KS3_KPS1_Ev13rocblas_fill_17rocblas_diagonal_iiT2_lPT3_llSB_llPT4_lli
		.amdhsa_group_segment_fixed_size 4096
		.amdhsa_private_segment_fixed_size 0
		.amdhsa_kernarg_size 108
		.amdhsa_user_sgpr_count 6
		.amdhsa_user_sgpr_private_segment_buffer 1
		.amdhsa_user_sgpr_dispatch_ptr 0
		.amdhsa_user_sgpr_queue_ptr 0
		.amdhsa_user_sgpr_kernarg_segment_ptr 1
		.amdhsa_user_sgpr_dispatch_id 0
		.amdhsa_user_sgpr_flat_scratch_init 0
		.amdhsa_user_sgpr_kernarg_preload_length 0
		.amdhsa_user_sgpr_kernarg_preload_offset 0
		.amdhsa_user_sgpr_private_segment_size 0
		.amdhsa_uses_dynamic_stack 0
		.amdhsa_system_sgpr_private_segment_wavefront_offset 0
		.amdhsa_system_sgpr_workgroup_id_x 1
		.amdhsa_system_sgpr_workgroup_id_y 0
		.amdhsa_system_sgpr_workgroup_id_z 1
		.amdhsa_system_sgpr_workgroup_info 0
		.amdhsa_system_vgpr_workitem_id 1
		.amdhsa_next_free_vgpr 58
		.amdhsa_next_free_sgpr 32
		.amdhsa_accum_offset 60
		.amdhsa_reserve_vcc 1
		.amdhsa_reserve_flat_scratch 0
		.amdhsa_float_round_mode_32 0
		.amdhsa_float_round_mode_16_64 0
		.amdhsa_float_denorm_mode_32 3
		.amdhsa_float_denorm_mode_16_64 3
		.amdhsa_dx10_clamp 1
		.amdhsa_ieee_mode 1
		.amdhsa_fp16_overflow 0
		.amdhsa_tg_split 0
		.amdhsa_exception_fp_ieee_invalid_op 0
		.amdhsa_exception_fp_denorm_src 0
		.amdhsa_exception_fp_ieee_div_zero 0
		.amdhsa_exception_fp_ieee_overflow 0
		.amdhsa_exception_fp_ieee_underflow 0
		.amdhsa_exception_fp_ieee_inexact 0
		.amdhsa_exception_int_div_zero 0
	.end_amdhsa_kernel
	.section	.text._ZL23rocblas_trmm_lTx_kernelILi16ELb0E19rocblas_complex_numIfEPKS1_KS3_KPS1_Ev13rocblas_fill_17rocblas_diagonal_iiT2_lPT3_llSB_llPT4_lli,"axG",@progbits,_ZL23rocblas_trmm_lTx_kernelILi16ELb0E19rocblas_complex_numIfEPKS1_KS3_KPS1_Ev13rocblas_fill_17rocblas_diagonal_iiT2_lPT3_llSB_llPT4_lli,comdat
.Lfunc_end170:
	.size	_ZL23rocblas_trmm_lTx_kernelILi16ELb0E19rocblas_complex_numIfEPKS1_KS3_KPS1_Ev13rocblas_fill_17rocblas_diagonal_iiT2_lPT3_llSB_llPT4_lli, .Lfunc_end170-_ZL23rocblas_trmm_lTx_kernelILi16ELb0E19rocblas_complex_numIfEPKS1_KS3_KPS1_Ev13rocblas_fill_17rocblas_diagonal_iiT2_lPT3_llSB_llPT4_lli
                                        ; -- End function
	.section	.AMDGPU.csdata,"",@progbits
; Kernel info:
; codeLenInByte = 1444
; NumSgprs: 36
; NumVgprs: 58
; NumAgprs: 0
; TotalNumVgprs: 58
; ScratchSize: 0
; MemoryBound: 0
; FloatMode: 240
; IeeeMode: 1
; LDSByteSize: 4096 bytes/workgroup (compile time only)
; SGPRBlocks: 4
; VGPRBlocks: 7
; NumSGPRsForWavesPerEU: 36
; NumVGPRsForWavesPerEU: 58
; AccumOffset: 60
; Occupancy: 8
; WaveLimiterHint : 1
; COMPUTE_PGM_RSRC2:SCRATCH_EN: 0
; COMPUTE_PGM_RSRC2:USER_SGPR: 6
; COMPUTE_PGM_RSRC2:TRAP_HANDLER: 0
; COMPUTE_PGM_RSRC2:TGID_X_EN: 1
; COMPUTE_PGM_RSRC2:TGID_Y_EN: 0
; COMPUTE_PGM_RSRC2:TGID_Z_EN: 1
; COMPUTE_PGM_RSRC2:TIDIG_COMP_CNT: 1
; COMPUTE_PGM_RSRC3_GFX90A:ACCUM_OFFSET: 14
; COMPUTE_PGM_RSRC3_GFX90A:TG_SPLIT: 0
	.section	.text._ZL23rocblas_trmm_lTx_kernelILi16ELb0E19rocblas_complex_numIfES1_KPKS1_KPS1_Ev13rocblas_fill_17rocblas_diagonal_iiT2_lPT3_llSB_llPT4_lli,"axG",@progbits,_ZL23rocblas_trmm_lTx_kernelILi16ELb0E19rocblas_complex_numIfES1_KPKS1_KPS1_Ev13rocblas_fill_17rocblas_diagonal_iiT2_lPT3_llSB_llPT4_lli,comdat
	.globl	_ZL23rocblas_trmm_lTx_kernelILi16ELb0E19rocblas_complex_numIfES1_KPKS1_KPS1_Ev13rocblas_fill_17rocblas_diagonal_iiT2_lPT3_llSB_llPT4_lli ; -- Begin function _ZL23rocblas_trmm_lTx_kernelILi16ELb0E19rocblas_complex_numIfES1_KPKS1_KPS1_Ev13rocblas_fill_17rocblas_diagonal_iiT2_lPT3_llSB_llPT4_lli
	.p2align	8
	.type	_ZL23rocblas_trmm_lTx_kernelILi16ELb0E19rocblas_complex_numIfES1_KPKS1_KPS1_Ev13rocblas_fill_17rocblas_diagonal_iiT2_lPT3_llSB_llPT4_lli,@function
_ZL23rocblas_trmm_lTx_kernelILi16ELb0E19rocblas_complex_numIfES1_KPKS1_KPS1_Ev13rocblas_fill_17rocblas_diagonal_iiT2_lPT3_llSB_llPT4_lli: ; @_ZL23rocblas_trmm_lTx_kernelILi16ELb0E19rocblas_complex_numIfES1_KPKS1_KPS1_Ev13rocblas_fill_17rocblas_diagonal_iiT2_lPT3_llSB_llPT4_lli
; %bb.0:
	s_load_dwordx2 s[2:3], s[4:5], 0x10
	s_mov_b32 s1, 0
	s_waitcnt lgkmcnt(0)
	v_cmp_neq_f32_e64 s[8:9], s2, 0
	v_cmp_neq_f32_e64 s[10:11], s3, 0
	s_or_b64 s[8:9], s[8:9], s[10:11]
	s_andn2_b64 vcc, exec, s[8:9]
	s_cbranch_vccnz .LBB171_15
; %bb.1:
	s_load_dwordx16 s[8:23], s[4:5], 0x20
	s_load_dwordx4 s[24:27], s[4:5], 0x0
	s_mov_b32 s0, s7
	s_lshl_b64 s[30:31], s[0:1], 3
	v_and_b32_e32 v3, 0x3ff, v0
	s_waitcnt lgkmcnt(0)
	s_add_u32 s8, s8, s30
	s_addc_u32 s9, s9, s31
	s_load_dwordx2 s[28:29], s[8:9], 0x0
	s_add_u32 s8, s14, s30
	s_addc_u32 s9, s15, s31
	s_load_dwordx2 s[14:15], s[8:9], 0x0
	;; [unrolled: 3-line block ×3, first 2 shown]
	v_bfe_u32 v0, v0, 10, 10
	s_mov_b32 s0, s1
	v_lshlrev_b32_e32 v2, 4, v0
	v_pk_mov_b32 v[6:7], s[0:1], s[0:1] op_sel:[0,1]
	v_cmp_gt_i32_e64 s[0:1], s26, v0
	v_cmp_gt_i32_e32 vcc, s26, v3
	v_add_lshl_u32 v4, v2, v3, 3
	s_and_b64 s[0:1], s[0:1], vcc
	v_lshlrev_b32_e32 v1, 3, v3
	ds_write2st64_b64 v4, v[6:7], v[6:7] offset1:4
	s_waitcnt lgkmcnt(0)
	s_barrier
	s_and_saveexec_b64 s[20:21], s[0:1]
	s_cbranch_execz .LBB171_3
; %bb.2:
	s_lshl_b64 s[0:1], s[12:13], 3
	s_add_u32 s7, s28, s0
	s_addc_u32 s12, s29, s1
	v_mad_u64_u32 v[6:7], s[0:1], v0, s10, 0
	v_mov_b32_e32 v8, v7
	v_mad_u64_u32 v[8:9], s[0:1], v0, s11, v[8:9]
	v_mov_b32_e32 v7, v8
	v_lshlrev_b64 v[6:7], 3, v[6:7]
	v_mov_b32_e32 v5, s12
	v_add_co_u32_e64 v6, s[0:1], s7, v6
	v_addc_co_u32_e64 v5, s[0:1], v5, v7, s[0:1]
	v_add_co_u32_e64 v6, s[0:1], v6, v1
	v_addc_co_u32_e64 v7, s[0:1], 0, v5, s[0:1]
	global_load_dwordx2 v[6:7], v[6:7], off
	v_lshlrev_b32_e32 v5, 4, v3
	v_add_lshl_u32 v5, v5, v0, 3
	s_waitcnt vmcnt(0)
	ds_write_b64 v5, v[6:7]
.LBB171_3:
	s_or_b64 exec, exec, s[20:21]
	s_add_i32 s0, s27, -1
	s_ashr_i32 s1, s0, 31
	s_lshr_b32 s1, s1, 28
	s_add_i32 s0, s0, s1
	s_ashr_i32 s1, s0, 4
	s_and_b32 s0, s0, -16
	s_sub_i32 s0, s27, s0
	s_cmp_ge_i32 s6, s1
	s_cselect_b32 s0, s0, 16
	s_lshl_b32 s12, s6, 4
	v_cmp_gt_i32_e64 s[0:1], s0, v0
	s_ashr_i32 s13, s12, 31
	s_and_b64 s[0:1], vcc, s[0:1]
	s_and_saveexec_b64 s[6:7], s[0:1]
	s_cbranch_execz .LBB171_5
; %bb.4:
	s_lshl_b64 s[10:11], s[18:19], 3
	s_add_u32 s14, s14, s10
	s_addc_u32 s15, s15, s11
	s_mul_i32 s10, s12, s17
	s_mul_hi_u32 s11, s12, s16
	s_add_i32 s10, s11, s10
	s_mul_i32 s11, s13, s16
	s_add_i32 s11, s10, s11
	s_mul_i32 s10, s12, s16
	s_lshl_b64 s[10:11], s[10:11], 3
	s_add_u32 s14, s14, s10
	s_addc_u32 s15, s15, s11
	v_mad_u64_u32 v[6:7], s[10:11], v0, s16, 0
	v_mov_b32_e32 v8, v7
	v_mad_u64_u32 v[8:9], s[10:11], v0, s17, v[8:9]
	v_mov_b32_e32 v7, v8
	v_lshlrev_b64 v[6:7], 3, v[6:7]
	v_mov_b32_e32 v5, s15
	v_add_co_u32_e32 v6, vcc, s14, v6
	v_addc_co_u32_e32 v5, vcc, v5, v7, vcc
	v_add_co_u32_e32 v6, vcc, v6, v1
	v_addc_co_u32_e32 v7, vcc, 0, v5, vcc
	global_load_dwordx2 v[6:7], v[6:7], off
	v_add_u32_e32 v5, 0x800, v4
	s_waitcnt vmcnt(0)
	ds_write_b64 v5, v[6:7]
.LBB171_5:
	s_or_b64 exec, exec, s[6:7]
	s_cmpk_eq_i32 s25, 0x84
	s_cselect_b64 s[6:7], -1, 0
	v_cmp_eq_u32_e32 vcc, v0, v3
	s_and_b64 s[10:11], vcc, s[6:7]
	s_and_saveexec_b64 s[6:7], s[10:11]
	s_cbranch_execz .LBB171_7
; %bb.6:
	v_mov_b32_e32 v6, 1.0
	v_mov_b32_e32 v7, 0
	ds_write_b64 v4, v[6:7]
.LBB171_7:
	s_or_b64 exec, exec, s[6:7]
	s_cmpk_lg_i32 s24, 0x7a
	s_waitcnt lgkmcnt(0)
	s_barrier
	s_cbranch_scc0 .LBB171_9
; %bb.8:
	v_cmp_lt_u32_e32 vcc, v3, v0
	s_and_b64 s[6:7], vcc, exec
	s_cbranch_execz .LBB171_10
	s_branch .LBB171_11
.LBB171_9:
	s_mov_b64 s[6:7], 0
.LBB171_10:
	v_cmp_gt_u32_e32 vcc, v3, v0
	s_andn2_b64 s[6:7], s[6:7], exec
	s_and_b64 s[10:11], vcc, exec
	s_or_b64 s[6:7], s[6:7], s[10:11]
.LBB171_11:
	s_and_saveexec_b64 s[10:11], s[6:7]
	s_cbranch_execz .LBB171_13
; %bb.12:
	v_mov_b32_e32 v6, 0
	v_mov_b32_e32 v7, v6
	ds_write_b64 v4, v[6:7]
.LBB171_13:
	s_or_b64 exec, exec, s[10:11]
	s_waitcnt lgkmcnt(0)
	s_barrier
	s_and_saveexec_b64 s[6:7], s[0:1]
	s_cbranch_execz .LBB171_15
; %bb.14:
	v_lshlrev_b32_e32 v54, 3, v2
	ds_read2_b64 v[2:5], v1 offset1:16
	ds_read_b128 v[6:9], v54 offset:2048
	ds_read_b128 v[10:13], v54 offset:2064
	;; [unrolled: 1-line block ×4, first 2 shown]
	ds_read2_b64 v[22:25], v1 offset0:32 offset1:48
	s_load_dwordx2 s[0:1], s[4:5], 0x60
	s_mul_i32 s4, s12, s23
	s_waitcnt lgkmcnt(0)
	v_mul_f32_e32 v26, v6, v3
	v_fmac_f32_e32 v26, v7, v2
	v_mul_f32_e32 v27, v8, v5
	v_add_f32_e32 v26, 0, v26
	v_fmac_f32_e32 v27, v9, v4
	v_add_f32_e32 v30, v26, v27
	v_mul_f32_e32 v31, v10, v23
	ds_read2_b64 v[26:29], v1 offset0:64 offset1:80
	v_fmac_f32_e32 v31, v11, v22
	v_add_f32_e32 v30, v30, v31
	v_mul_f32_e32 v31, v12, v25
	v_fmac_f32_e32 v31, v13, v24
	v_add_f32_e32 v34, v30, v31
	ds_read2_b64 v[30:33], v1 offset0:96 offset1:112
	s_waitcnt lgkmcnt(1)
	v_mul_f32_e32 v35, v14, v27
	v_fmac_f32_e32 v35, v15, v26
	v_add_f32_e32 v34, v34, v35
	v_mul_f32_e32 v35, v16, v29
	v_fmac_f32_e32 v35, v17, v28
	v_add_f32_e32 v34, v34, v35
	s_waitcnt lgkmcnt(0)
	v_mul_f32_e32 v35, v18, v31
	v_fmac_f32_e32 v35, v19, v30
	v_add_f32_e32 v42, v34, v35
	ds_read2_b64 v[34:37], v1 offset0:128 offset1:144
	ds_read_b128 v[38:41], v54 offset:2112
	v_mul_f32_e32 v43, v20, v33
	v_fmac_f32_e32 v43, v21, v32
	v_add_f32_e32 v50, v42, v43
	ds_read_b128 v[42:45], v54 offset:2128
	ds_read2_b64 v[46:49], v1 offset0:160 offset1:176
	s_waitcnt lgkmcnt(2)
	v_mul_f32_e32 v51, v38, v35
	v_fmac_f32_e32 v51, v39, v34
	v_add_f32_e32 v50, v50, v51
	v_mul_f32_e32 v51, v40, v37
	v_mul_f32_e32 v3, v7, v3
	v_fmac_f32_e32 v51, v41, v36
	v_fma_f32 v56, v6, v2, -v3
	v_mul_f32_e32 v2, v9, v5
	v_add_f32_e32 v50, v50, v51
	v_fma_f32 v57, v8, v4, -v2
	ds_read_b128 v[2:5], v54 offset:2144
	s_waitcnt lgkmcnt(1)
	v_mul_f32_e32 v51, v42, v47
	v_fmac_f32_e32 v51, v43, v46
	v_add_f32_e32 v55, v50, v51
	ds_read2_b64 v[50:53], v1 offset0:192 offset1:208
	v_mul_f32_e32 v6, v44, v49
	v_mul_f32_e32 v11, v11, v23
	v_fmac_f32_e32 v6, v45, v48
	v_fma_f32 v22, v10, v22, -v11
	v_mul_f32_e32 v10, v13, v25
	v_add_f32_e32 v55, v55, v6
	ds_read_b128 v[6:9], v54 offset:2160
	v_fma_f32 v23, v12, v24, -v10
	ds_read2_b64 v[10:13], v1 offset0:224 offset1:240
	s_waitcnt lgkmcnt(2)
	v_mul_f32_e32 v54, v2, v51
	v_fmac_f32_e32 v54, v3, v50
	v_mul_f32_e32 v25, v4, v53
	v_add_f32_e32 v24, v55, v54
	v_fmac_f32_e32 v25, v5, v52
	v_add_f32_e32 v24, v24, v25
	s_waitcnt lgkmcnt(0)
	v_mul_f32_e32 v25, v6, v11
	v_fmac_f32_e32 v25, v7, v10
	v_add_f32_e32 v24, v24, v25
	v_mul_f32_e32 v25, v8, v13
	v_fmac_f32_e32 v25, v9, v12
	v_add_f32_e32 v24, v24, v25
	v_add_f32_e32 v25, 0, v56
	;; [unrolled: 1-line block ×4, first 2 shown]
	v_mul_f32_e32 v15, v15, v27
	v_add_f32_e32 v22, v22, v23
	v_fma_f32 v14, v14, v26, -v15
	v_mul_f32_e32 v15, v17, v29
	v_add_f32_e32 v14, v22, v14
	v_fma_f32 v15, v16, v28, -v15
	v_add_f32_e32 v14, v14, v15
	v_mul_f32_e32 v15, v19, v31
	v_fma_f32 v15, v18, v30, -v15
	v_add_f32_e32 v14, v14, v15
	v_mul_f32_e32 v15, v21, v33
	;; [unrolled: 3-line block ×6, first 2 shown]
	v_fma_f32 v15, v44, v48, -v15
	v_mul_f32_e32 v3, v3, v51
	v_add_f32_e32 v14, v14, v15
	v_fma_f32 v2, v2, v50, -v3
	v_mul_f32_e32 v3, v5, v53
	v_add_f32_e32 v2, v14, v2
	v_fma_f32 v3, v4, v52, -v3
	v_add_f32_e32 v2, v2, v3
	v_mul_f32_e32 v3, v7, v11
	v_fma_f32 v3, v6, v10, -v3
	v_add_f32_e32 v2, v2, v3
	v_mul_f32_e32 v3, v9, v13
	s_lshl_b64 s[0:1], s[0:1], 3
	v_fma_f32 v3, v8, v12, -v3
	s_mul_hi_u32 s5, s12, s22
	s_add_u32 s6, s8, s0
	v_add_f32_e32 v2, v2, v3
	v_mul_f32_e32 v3, s2, v24
	v_mul_f32_e32 v4, s3, v24
	s_mul_i32 s13, s13, s22
	s_addc_u32 s7, s9, s1
	s_add_i32 s0, s5, s4
	v_fmac_f32_e32 v3, s3, v2
	v_fma_f32 v2, s2, v2, -v4
	v_mad_u64_u32 v[4:5], s[2:3], v0, s22, 0
	s_add_i32 s1, s0, s13
	s_mul_i32 s0, s12, s22
	v_mov_b32_e32 v6, v5
	s_lshl_b64 s[0:1], s[0:1], 3
	v_mad_u64_u32 v[6:7], s[2:3], v0, s23, v[6:7]
	s_add_u32 s0, s6, s0
	v_mov_b32_e32 v5, v6
	s_addc_u32 s1, s7, s1
	v_lshlrev_b64 v[4:5], 3, v[4:5]
	v_mov_b32_e32 v0, s1
	v_add_co_u32_e32 v4, vcc, s0, v4
	v_addc_co_u32_e32 v5, vcc, v0, v5, vcc
	v_add_co_u32_e32 v0, vcc, v4, v1
	v_addc_co_u32_e32 v1, vcc, 0, v5, vcc
	global_store_dwordx2 v[0:1], v[2:3], off
.LBB171_15:
	s_endpgm
	.section	.rodata,"a",@progbits
	.p2align	6, 0x0
	.amdhsa_kernel _ZL23rocblas_trmm_lTx_kernelILi16ELb0E19rocblas_complex_numIfES1_KPKS1_KPS1_Ev13rocblas_fill_17rocblas_diagonal_iiT2_lPT3_llSB_llPT4_lli
		.amdhsa_group_segment_fixed_size 4096
		.amdhsa_private_segment_fixed_size 0
		.amdhsa_kernarg_size 108
		.amdhsa_user_sgpr_count 6
		.amdhsa_user_sgpr_private_segment_buffer 1
		.amdhsa_user_sgpr_dispatch_ptr 0
		.amdhsa_user_sgpr_queue_ptr 0
		.amdhsa_user_sgpr_kernarg_segment_ptr 1
		.amdhsa_user_sgpr_dispatch_id 0
		.amdhsa_user_sgpr_flat_scratch_init 0
		.amdhsa_user_sgpr_kernarg_preload_length 0
		.amdhsa_user_sgpr_kernarg_preload_offset 0
		.amdhsa_user_sgpr_private_segment_size 0
		.amdhsa_uses_dynamic_stack 0
		.amdhsa_system_sgpr_private_segment_wavefront_offset 0
		.amdhsa_system_sgpr_workgroup_id_x 1
		.amdhsa_system_sgpr_workgroup_id_y 0
		.amdhsa_system_sgpr_workgroup_id_z 1
		.amdhsa_system_sgpr_workgroup_info 0
		.amdhsa_system_vgpr_workitem_id 1
		.amdhsa_next_free_vgpr 58
		.amdhsa_next_free_sgpr 32
		.amdhsa_accum_offset 60
		.amdhsa_reserve_vcc 1
		.amdhsa_reserve_flat_scratch 0
		.amdhsa_float_round_mode_32 0
		.amdhsa_float_round_mode_16_64 0
		.amdhsa_float_denorm_mode_32 3
		.amdhsa_float_denorm_mode_16_64 3
		.amdhsa_dx10_clamp 1
		.amdhsa_ieee_mode 1
		.amdhsa_fp16_overflow 0
		.amdhsa_tg_split 0
		.amdhsa_exception_fp_ieee_invalid_op 0
		.amdhsa_exception_fp_denorm_src 0
		.amdhsa_exception_fp_ieee_div_zero 0
		.amdhsa_exception_fp_ieee_overflow 0
		.amdhsa_exception_fp_ieee_underflow 0
		.amdhsa_exception_fp_ieee_inexact 0
		.amdhsa_exception_int_div_zero 0
	.end_amdhsa_kernel
	.section	.text._ZL23rocblas_trmm_lTx_kernelILi16ELb0E19rocblas_complex_numIfES1_KPKS1_KPS1_Ev13rocblas_fill_17rocblas_diagonal_iiT2_lPT3_llSB_llPT4_lli,"axG",@progbits,_ZL23rocblas_trmm_lTx_kernelILi16ELb0E19rocblas_complex_numIfES1_KPKS1_KPS1_Ev13rocblas_fill_17rocblas_diagonal_iiT2_lPT3_llSB_llPT4_lli,comdat
.Lfunc_end171:
	.size	_ZL23rocblas_trmm_lTx_kernelILi16ELb0E19rocblas_complex_numIfES1_KPKS1_KPS1_Ev13rocblas_fill_17rocblas_diagonal_iiT2_lPT3_llSB_llPT4_lli, .Lfunc_end171-_ZL23rocblas_trmm_lTx_kernelILi16ELb0E19rocblas_complex_numIfES1_KPKS1_KPS1_Ev13rocblas_fill_17rocblas_diagonal_iiT2_lPT3_llSB_llPT4_lli
                                        ; -- End function
	.section	.AMDGPU.csdata,"",@progbits
; Kernel info:
; codeLenInByte = 1404
; NumSgprs: 36
; NumVgprs: 58
; NumAgprs: 0
; TotalNumVgprs: 58
; ScratchSize: 0
; MemoryBound: 0
; FloatMode: 240
; IeeeMode: 1
; LDSByteSize: 4096 bytes/workgroup (compile time only)
; SGPRBlocks: 4
; VGPRBlocks: 7
; NumSGPRsForWavesPerEU: 36
; NumVGPRsForWavesPerEU: 58
; AccumOffset: 60
; Occupancy: 8
; WaveLimiterHint : 1
; COMPUTE_PGM_RSRC2:SCRATCH_EN: 0
; COMPUTE_PGM_RSRC2:USER_SGPR: 6
; COMPUTE_PGM_RSRC2:TRAP_HANDLER: 0
; COMPUTE_PGM_RSRC2:TGID_X_EN: 1
; COMPUTE_PGM_RSRC2:TGID_Y_EN: 0
; COMPUTE_PGM_RSRC2:TGID_Z_EN: 1
; COMPUTE_PGM_RSRC2:TIDIG_COMP_CNT: 1
; COMPUTE_PGM_RSRC3_GFX90A:ACCUM_OFFSET: 14
; COMPUTE_PGM_RSRC3_GFX90A:TG_SPLIT: 0
	.section	.text._ZL23rocblas_trmm_lTx_kernelILi16ELb1E19rocblas_complex_numIfEPKS1_KS3_KPS1_Ev13rocblas_fill_17rocblas_diagonal_iiT2_lPT3_llSB_llPT4_lli,"axG",@progbits,_ZL23rocblas_trmm_lTx_kernelILi16ELb1E19rocblas_complex_numIfEPKS1_KS3_KPS1_Ev13rocblas_fill_17rocblas_diagonal_iiT2_lPT3_llSB_llPT4_lli,comdat
	.globl	_ZL23rocblas_trmm_lTx_kernelILi16ELb1E19rocblas_complex_numIfEPKS1_KS3_KPS1_Ev13rocblas_fill_17rocblas_diagonal_iiT2_lPT3_llSB_llPT4_lli ; -- Begin function _ZL23rocblas_trmm_lTx_kernelILi16ELb1E19rocblas_complex_numIfEPKS1_KS3_KPS1_Ev13rocblas_fill_17rocblas_diagonal_iiT2_lPT3_llSB_llPT4_lli
	.p2align	8
	.type	_ZL23rocblas_trmm_lTx_kernelILi16ELb1E19rocblas_complex_numIfEPKS1_KS3_KPS1_Ev13rocblas_fill_17rocblas_diagonal_iiT2_lPT3_llSB_llPT4_lli,@function
_ZL23rocblas_trmm_lTx_kernelILi16ELb1E19rocblas_complex_numIfEPKS1_KS3_KPS1_Ev13rocblas_fill_17rocblas_diagonal_iiT2_lPT3_llSB_llPT4_lli: ; @_ZL23rocblas_trmm_lTx_kernelILi16ELb1E19rocblas_complex_numIfEPKS1_KS3_KPS1_Ev13rocblas_fill_17rocblas_diagonal_iiT2_lPT3_llSB_llPT4_lli
; %bb.0:
	s_load_dwordx16 s[8:23], s[4:5], 0x10
	s_mov_b32 s27, 0
	s_waitcnt lgkmcnt(0)
	s_mul_i32 s0, s7, s11
	s_mul_hi_u32 s1, s7, s10
	s_add_i32 s1, s1, s0
	s_mul_i32 s0, s7, s10
	s_lshl_b64 s[0:1], s[0:1], 3
	s_add_u32 s0, s8, s0
	s_addc_u32 s1, s9, s1
	s_load_dwordx2 s[24:25], s[0:1], 0x0
	s_waitcnt lgkmcnt(0)
	v_cmp_neq_f32_e64 s[0:1], s24, 0
	v_cmp_neq_f32_e64 s[2:3], s25, 0
	s_or_b64 s[0:1], s[0:1], s[2:3]
	s_andn2_b64 vcc, exec, s[0:1]
	s_cbranch_vccnz .LBB172_15
; %bb.1:
	s_mov_b32 s26, s7
	s_load_dwordx4 s[8:11], s[4:5], 0x0
	s_load_dwordx4 s[0:3], s[4:5], 0x50
	s_lshl_b64 s[30:31], s[26:27], 3
	s_add_u32 s12, s12, s30
	s_addc_u32 s13, s13, s31
	s_load_dwordx2 s[28:29], s[12:13], 0x0
	s_add_u32 s12, s18, s30
	s_addc_u32 s13, s19, s31
	s_waitcnt lgkmcnt(0)
	s_add_u32 s0, s0, s30
	s_addc_u32 s1, s1, s31
	s_load_dwordx2 s[18:19], s[12:13], 0x0
	v_and_b32_e32 v4, 0x3ff, v0
	s_load_dwordx2 s[12:13], s[0:1], 0x0
	v_bfe_u32 v0, v0, 10, 10
	v_lshlrev_b32_e32 v2, 4, v0
	s_mov_b32 s26, s27
	v_cmp_gt_i32_e64 s[0:1], s10, v0
	v_cmp_gt_i32_e32 vcc, s10, v4
	v_add_lshl_u32 v3, v2, v4, 3
	v_pk_mov_b32 v[6:7], s[26:27], s[26:27] op_sel:[0,1]
	s_and_b64 s[0:1], s[0:1], vcc
	v_lshlrev_b32_e32 v1, 3, v4
	ds_write2st64_b64 v3, v[6:7], v[6:7] offset1:4
	s_waitcnt lgkmcnt(0)
	s_barrier
	s_and_saveexec_b64 s[26:27], s[0:1]
	s_cbranch_execz .LBB172_3
; %bb.2:
	s_lshl_b64 s[0:1], s[16:17], 3
	s_add_u32 s7, s28, s0
	s_addc_u32 s10, s29, s1
	v_mad_u64_u32 v[6:7], s[0:1], v0, s14, 0
	v_mov_b32_e32 v8, v7
	v_mad_u64_u32 v[8:9], s[0:1], v0, s15, v[8:9]
	v_mov_b32_e32 v7, v8
	v_lshlrev_b64 v[6:7], 3, v[6:7]
	v_mov_b32_e32 v5, s10
	v_add_co_u32_e64 v6, s[0:1], s7, v6
	v_addc_co_u32_e64 v5, s[0:1], v5, v7, s[0:1]
	v_add_co_u32_e64 v6, s[0:1], v6, v1
	v_addc_co_u32_e64 v7, s[0:1], 0, v5, s[0:1]
	global_load_dwordx2 v[6:7], v[6:7], off
	v_lshlrev_b32_e32 v5, 4, v4
	v_add_lshl_u32 v5, v5, v0, 3
	s_waitcnt vmcnt(0)
	v_xor_b32_e32 v7, 0x80000000, v7
	ds_write_b64 v5, v[6:7]
.LBB172_3:
	s_or_b64 exec, exec, s[26:27]
	s_add_i32 s0, s11, -1
	s_ashr_i32 s1, s0, 31
	s_lshr_b32 s1, s1, 28
	s_add_i32 s0, s0, s1
	s_ashr_i32 s1, s0, 4
	s_and_b32 s0, s0, -16
	s_sub_i32 s0, s11, s0
	s_cmp_ge_i32 s6, s1
	s_cselect_b32 s0, s0, 16
	s_lshl_b32 s10, s6, 4
	v_cmp_gt_i32_e64 s[0:1], s0, v0
	s_ashr_i32 s11, s10, 31
	s_and_b64 s[0:1], vcc, s[0:1]
	s_and_saveexec_b64 s[6:7], s[0:1]
	s_cbranch_execz .LBB172_5
; %bb.4:
	s_lshl_b64 s[14:15], s[22:23], 3
	s_add_u32 s16, s18, s14
	s_addc_u32 s17, s19, s15
	s_mul_i32 s14, s10, s21
	s_mul_hi_u32 s15, s10, s20
	s_add_i32 s14, s15, s14
	s_mul_i32 s15, s11, s20
	s_add_i32 s15, s14, s15
	s_mul_i32 s14, s10, s20
	s_lshl_b64 s[14:15], s[14:15], 3
	s_add_u32 s16, s16, s14
	s_addc_u32 s17, s17, s15
	v_mad_u64_u32 v[6:7], s[14:15], v0, s20, 0
	v_mov_b32_e32 v8, v7
	v_mad_u64_u32 v[8:9], s[14:15], v0, s21, v[8:9]
	v_mov_b32_e32 v7, v8
	v_lshlrev_b64 v[6:7], 3, v[6:7]
	v_mov_b32_e32 v5, s17
	v_add_co_u32_e32 v6, vcc, s16, v6
	v_addc_co_u32_e32 v5, vcc, v5, v7, vcc
	v_add_co_u32_e32 v6, vcc, v6, v1
	v_addc_co_u32_e32 v7, vcc, 0, v5, vcc
	global_load_dwordx2 v[6:7], v[6:7], off
	v_add_u32_e32 v5, 0x800, v3
	s_waitcnt vmcnt(0)
	ds_write_b64 v5, v[6:7]
.LBB172_5:
	s_or_b64 exec, exec, s[6:7]
	s_cmpk_eq_i32 s9, 0x84
	s_cselect_b64 s[6:7], -1, 0
	v_cmp_eq_u32_e32 vcc, v0, v4
	s_and_b64 s[14:15], vcc, s[6:7]
	s_and_saveexec_b64 s[6:7], s[14:15]
	s_cbranch_execz .LBB172_7
; %bb.6:
	v_mov_b32_e32 v6, 1.0
	v_mov_b32_e32 v7, 0
	ds_write_b64 v3, v[6:7]
.LBB172_7:
	s_or_b64 exec, exec, s[6:7]
	s_cmpk_lg_i32 s8, 0x7a
	s_waitcnt lgkmcnt(0)
	s_barrier
	s_cbranch_scc0 .LBB172_9
; %bb.8:
	v_cmp_lt_u32_e32 vcc, v4, v0
	s_and_b64 s[6:7], vcc, exec
	s_cbranch_execz .LBB172_10
	s_branch .LBB172_11
.LBB172_9:
	s_mov_b64 s[6:7], 0
.LBB172_10:
	v_cmp_gt_u32_e32 vcc, v4, v0
	s_andn2_b64 s[6:7], s[6:7], exec
	s_and_b64 s[8:9], vcc, exec
	s_or_b64 s[6:7], s[6:7], s[8:9]
.LBB172_11:
	s_and_saveexec_b64 s[8:9], s[6:7]
	s_cbranch_execz .LBB172_13
; %bb.12:
	v_mov_b32_e32 v4, 0
	v_mov_b32_e32 v5, v4
	ds_write_b64 v3, v[4:5]
.LBB172_13:
	s_or_b64 exec, exec, s[8:9]
	s_waitcnt lgkmcnt(0)
	s_barrier
	s_and_saveexec_b64 s[6:7], s[0:1]
	s_cbranch_execz .LBB172_15
; %bb.14:
	v_lshlrev_b32_e32 v54, 3, v2
	ds_read2_b64 v[2:5], v1 offset1:16
	ds_read_b128 v[6:9], v54 offset:2048
	ds_read_b128 v[10:13], v54 offset:2064
	;; [unrolled: 1-line block ×4, first 2 shown]
	ds_read2_b64 v[22:25], v1 offset0:32 offset1:48
	s_load_dwordx2 s[0:1], s[4:5], 0x60
	s_mul_i32 s4, s10, s3
	s_waitcnt lgkmcnt(0)
	v_mul_f32_e32 v26, v6, v3
	v_fmac_f32_e32 v26, v7, v2
	v_mul_f32_e32 v27, v8, v5
	v_add_f32_e32 v26, 0, v26
	v_fmac_f32_e32 v27, v9, v4
	v_add_f32_e32 v30, v26, v27
	v_mul_f32_e32 v31, v10, v23
	ds_read2_b64 v[26:29], v1 offset0:64 offset1:80
	v_fmac_f32_e32 v31, v11, v22
	v_add_f32_e32 v30, v30, v31
	v_mul_f32_e32 v31, v12, v25
	v_fmac_f32_e32 v31, v13, v24
	v_add_f32_e32 v34, v30, v31
	ds_read2_b64 v[30:33], v1 offset0:96 offset1:112
	s_waitcnt lgkmcnt(1)
	v_mul_f32_e32 v35, v14, v27
	v_fmac_f32_e32 v35, v15, v26
	v_add_f32_e32 v34, v34, v35
	v_mul_f32_e32 v35, v16, v29
	v_fmac_f32_e32 v35, v17, v28
	v_add_f32_e32 v34, v34, v35
	s_waitcnt lgkmcnt(0)
	v_mul_f32_e32 v35, v18, v31
	v_fmac_f32_e32 v35, v19, v30
	v_add_f32_e32 v42, v34, v35
	ds_read2_b64 v[34:37], v1 offset0:128 offset1:144
	ds_read_b128 v[38:41], v54 offset:2112
	v_mul_f32_e32 v43, v20, v33
	v_fmac_f32_e32 v43, v21, v32
	v_add_f32_e32 v50, v42, v43
	ds_read_b128 v[42:45], v54 offset:2128
	ds_read2_b64 v[46:49], v1 offset0:160 offset1:176
	s_waitcnt lgkmcnt(2)
	v_mul_f32_e32 v51, v38, v35
	v_fmac_f32_e32 v51, v39, v34
	v_add_f32_e32 v50, v50, v51
	v_mul_f32_e32 v51, v40, v37
	v_mul_f32_e32 v3, v7, v3
	v_fmac_f32_e32 v51, v41, v36
	v_fma_f32 v56, v6, v2, -v3
	v_mul_f32_e32 v2, v9, v5
	v_add_f32_e32 v50, v50, v51
	v_fma_f32 v57, v8, v4, -v2
	ds_read_b128 v[2:5], v54 offset:2144
	s_waitcnt lgkmcnt(1)
	v_mul_f32_e32 v51, v42, v47
	v_fmac_f32_e32 v51, v43, v46
	v_add_f32_e32 v55, v50, v51
	ds_read2_b64 v[50:53], v1 offset0:192 offset1:208
	v_mul_f32_e32 v6, v44, v49
	v_mul_f32_e32 v11, v11, v23
	v_fmac_f32_e32 v6, v45, v48
	v_fma_f32 v22, v10, v22, -v11
	v_mul_f32_e32 v10, v13, v25
	v_add_f32_e32 v55, v55, v6
	ds_read_b128 v[6:9], v54 offset:2160
	v_fma_f32 v23, v12, v24, -v10
	ds_read2_b64 v[10:13], v1 offset0:224 offset1:240
	s_waitcnt lgkmcnt(2)
	v_mul_f32_e32 v54, v2, v51
	v_fmac_f32_e32 v54, v3, v50
	v_mul_f32_e32 v25, v4, v53
	v_add_f32_e32 v24, v55, v54
	v_fmac_f32_e32 v25, v5, v52
	v_add_f32_e32 v24, v24, v25
	s_waitcnt lgkmcnt(0)
	v_mul_f32_e32 v25, v6, v11
	v_fmac_f32_e32 v25, v7, v10
	v_add_f32_e32 v24, v24, v25
	v_mul_f32_e32 v25, v8, v13
	v_fmac_f32_e32 v25, v9, v12
	v_add_f32_e32 v24, v24, v25
	v_add_f32_e32 v25, 0, v56
	;; [unrolled: 1-line block ×4, first 2 shown]
	v_mul_f32_e32 v15, v15, v27
	v_add_f32_e32 v22, v22, v23
	v_fma_f32 v14, v14, v26, -v15
	v_mul_f32_e32 v15, v17, v29
	v_add_f32_e32 v14, v22, v14
	v_fma_f32 v15, v16, v28, -v15
	v_add_f32_e32 v14, v14, v15
	v_mul_f32_e32 v15, v19, v31
	v_fma_f32 v15, v18, v30, -v15
	v_add_f32_e32 v14, v14, v15
	v_mul_f32_e32 v15, v21, v33
	;; [unrolled: 3-line block ×6, first 2 shown]
	v_fma_f32 v15, v44, v48, -v15
	v_mul_f32_e32 v3, v3, v51
	v_add_f32_e32 v14, v14, v15
	v_fma_f32 v2, v2, v50, -v3
	v_mul_f32_e32 v3, v5, v53
	v_add_f32_e32 v2, v14, v2
	v_fma_f32 v3, v4, v52, -v3
	v_add_f32_e32 v2, v2, v3
	v_mul_f32_e32 v3, v7, v11
	v_fma_f32 v3, v6, v10, -v3
	v_add_f32_e32 v2, v2, v3
	v_mul_f32_e32 v3, v9, v13
	s_lshl_b64 s[0:1], s[0:1], 3
	v_fma_f32 v3, v8, v12, -v3
	s_mul_hi_u32 s5, s10, s2
	s_add_u32 s6, s12, s0
	v_add_f32_e32 v2, v2, v3
	v_mul_f32_e32 v3, s24, v24
	v_mul_f32_e32 v4, s25, v24
	s_mul_i32 s11, s11, s2
	s_addc_u32 s7, s13, s1
	s_add_i32 s0, s5, s4
	v_fmac_f32_e32 v3, s25, v2
	v_fma_f32 v2, s24, v2, -v4
	v_mad_u64_u32 v[4:5], s[4:5], v0, s2, 0
	s_add_i32 s1, s0, s11
	s_mul_i32 s0, s10, s2
	v_mov_b32_e32 v6, v5
	s_lshl_b64 s[0:1], s[0:1], 3
	v_mad_u64_u32 v[6:7], s[2:3], v0, s3, v[6:7]
	s_add_u32 s0, s6, s0
	v_mov_b32_e32 v5, v6
	s_addc_u32 s1, s7, s1
	v_lshlrev_b64 v[4:5], 3, v[4:5]
	v_mov_b32_e32 v0, s1
	v_add_co_u32_e32 v4, vcc, s0, v4
	v_addc_co_u32_e32 v5, vcc, v0, v5, vcc
	v_add_co_u32_e32 v0, vcc, v4, v1
	v_addc_co_u32_e32 v1, vcc, 0, v5, vcc
	global_store_dwordx2 v[0:1], v[2:3], off
.LBB172_15:
	s_endpgm
	.section	.rodata,"a",@progbits
	.p2align	6, 0x0
	.amdhsa_kernel _ZL23rocblas_trmm_lTx_kernelILi16ELb1E19rocblas_complex_numIfEPKS1_KS3_KPS1_Ev13rocblas_fill_17rocblas_diagonal_iiT2_lPT3_llSB_llPT4_lli
		.amdhsa_group_segment_fixed_size 4096
		.amdhsa_private_segment_fixed_size 0
		.amdhsa_kernarg_size 108
		.amdhsa_user_sgpr_count 6
		.amdhsa_user_sgpr_private_segment_buffer 1
		.amdhsa_user_sgpr_dispatch_ptr 0
		.amdhsa_user_sgpr_queue_ptr 0
		.amdhsa_user_sgpr_kernarg_segment_ptr 1
		.amdhsa_user_sgpr_dispatch_id 0
		.amdhsa_user_sgpr_flat_scratch_init 0
		.amdhsa_user_sgpr_kernarg_preload_length 0
		.amdhsa_user_sgpr_kernarg_preload_offset 0
		.amdhsa_user_sgpr_private_segment_size 0
		.amdhsa_uses_dynamic_stack 0
		.amdhsa_system_sgpr_private_segment_wavefront_offset 0
		.amdhsa_system_sgpr_workgroup_id_x 1
		.amdhsa_system_sgpr_workgroup_id_y 0
		.amdhsa_system_sgpr_workgroup_id_z 1
		.amdhsa_system_sgpr_workgroup_info 0
		.amdhsa_system_vgpr_workitem_id 1
		.amdhsa_next_free_vgpr 58
		.amdhsa_next_free_sgpr 32
		.amdhsa_accum_offset 60
		.amdhsa_reserve_vcc 1
		.amdhsa_reserve_flat_scratch 0
		.amdhsa_float_round_mode_32 0
		.amdhsa_float_round_mode_16_64 0
		.amdhsa_float_denorm_mode_32 3
		.amdhsa_float_denorm_mode_16_64 3
		.amdhsa_dx10_clamp 1
		.amdhsa_ieee_mode 1
		.amdhsa_fp16_overflow 0
		.amdhsa_tg_split 0
		.amdhsa_exception_fp_ieee_invalid_op 0
		.amdhsa_exception_fp_denorm_src 0
		.amdhsa_exception_fp_ieee_div_zero 0
		.amdhsa_exception_fp_ieee_overflow 0
		.amdhsa_exception_fp_ieee_underflow 0
		.amdhsa_exception_fp_ieee_inexact 0
		.amdhsa_exception_int_div_zero 0
	.end_amdhsa_kernel
	.section	.text._ZL23rocblas_trmm_lTx_kernelILi16ELb1E19rocblas_complex_numIfEPKS1_KS3_KPS1_Ev13rocblas_fill_17rocblas_diagonal_iiT2_lPT3_llSB_llPT4_lli,"axG",@progbits,_ZL23rocblas_trmm_lTx_kernelILi16ELb1E19rocblas_complex_numIfEPKS1_KS3_KPS1_Ev13rocblas_fill_17rocblas_diagonal_iiT2_lPT3_llSB_llPT4_lli,comdat
.Lfunc_end172:
	.size	_ZL23rocblas_trmm_lTx_kernelILi16ELb1E19rocblas_complex_numIfEPKS1_KS3_KPS1_Ev13rocblas_fill_17rocblas_diagonal_iiT2_lPT3_llSB_llPT4_lli, .Lfunc_end172-_ZL23rocblas_trmm_lTx_kernelILi16ELb1E19rocblas_complex_numIfEPKS1_KS3_KPS1_Ev13rocblas_fill_17rocblas_diagonal_iiT2_lPT3_llSB_llPT4_lli
                                        ; -- End function
	.section	.AMDGPU.csdata,"",@progbits
; Kernel info:
; codeLenInByte = 1452
; NumSgprs: 36
; NumVgprs: 58
; NumAgprs: 0
; TotalNumVgprs: 58
; ScratchSize: 0
; MemoryBound: 0
; FloatMode: 240
; IeeeMode: 1
; LDSByteSize: 4096 bytes/workgroup (compile time only)
; SGPRBlocks: 4
; VGPRBlocks: 7
; NumSGPRsForWavesPerEU: 36
; NumVGPRsForWavesPerEU: 58
; AccumOffset: 60
; Occupancy: 8
; WaveLimiterHint : 1
; COMPUTE_PGM_RSRC2:SCRATCH_EN: 0
; COMPUTE_PGM_RSRC2:USER_SGPR: 6
; COMPUTE_PGM_RSRC2:TRAP_HANDLER: 0
; COMPUTE_PGM_RSRC2:TGID_X_EN: 1
; COMPUTE_PGM_RSRC2:TGID_Y_EN: 0
; COMPUTE_PGM_RSRC2:TGID_Z_EN: 1
; COMPUTE_PGM_RSRC2:TIDIG_COMP_CNT: 1
; COMPUTE_PGM_RSRC3_GFX90A:ACCUM_OFFSET: 14
; COMPUTE_PGM_RSRC3_GFX90A:TG_SPLIT: 0
	.section	.text._ZL23rocblas_trmm_lTx_kernelILi16ELb1E19rocblas_complex_numIfES1_KPKS1_KPS1_Ev13rocblas_fill_17rocblas_diagonal_iiT2_lPT3_llSB_llPT4_lli,"axG",@progbits,_ZL23rocblas_trmm_lTx_kernelILi16ELb1E19rocblas_complex_numIfES1_KPKS1_KPS1_Ev13rocblas_fill_17rocblas_diagonal_iiT2_lPT3_llSB_llPT4_lli,comdat
	.globl	_ZL23rocblas_trmm_lTx_kernelILi16ELb1E19rocblas_complex_numIfES1_KPKS1_KPS1_Ev13rocblas_fill_17rocblas_diagonal_iiT2_lPT3_llSB_llPT4_lli ; -- Begin function _ZL23rocblas_trmm_lTx_kernelILi16ELb1E19rocblas_complex_numIfES1_KPKS1_KPS1_Ev13rocblas_fill_17rocblas_diagonal_iiT2_lPT3_llSB_llPT4_lli
	.p2align	8
	.type	_ZL23rocblas_trmm_lTx_kernelILi16ELb1E19rocblas_complex_numIfES1_KPKS1_KPS1_Ev13rocblas_fill_17rocblas_diagonal_iiT2_lPT3_llSB_llPT4_lli,@function
_ZL23rocblas_trmm_lTx_kernelILi16ELb1E19rocblas_complex_numIfES1_KPKS1_KPS1_Ev13rocblas_fill_17rocblas_diagonal_iiT2_lPT3_llSB_llPT4_lli: ; @_ZL23rocblas_trmm_lTx_kernelILi16ELb1E19rocblas_complex_numIfES1_KPKS1_KPS1_Ev13rocblas_fill_17rocblas_diagonal_iiT2_lPT3_llSB_llPT4_lli
; %bb.0:
	s_load_dwordx2 s[2:3], s[4:5], 0x10
	s_mov_b32 s1, 0
	s_waitcnt lgkmcnt(0)
	v_cmp_neq_f32_e64 s[8:9], s2, 0
	v_cmp_neq_f32_e64 s[10:11], s3, 0
	s_or_b64 s[8:9], s[8:9], s[10:11]
	s_andn2_b64 vcc, exec, s[8:9]
	s_cbranch_vccnz .LBB173_15
; %bb.1:
	s_load_dwordx16 s[8:23], s[4:5], 0x20
	s_load_dwordx4 s[24:27], s[4:5], 0x0
	s_mov_b32 s0, s7
	s_lshl_b64 s[30:31], s[0:1], 3
	v_and_b32_e32 v3, 0x3ff, v0
	s_waitcnt lgkmcnt(0)
	s_add_u32 s8, s8, s30
	s_addc_u32 s9, s9, s31
	s_load_dwordx2 s[28:29], s[8:9], 0x0
	s_add_u32 s8, s14, s30
	s_addc_u32 s9, s15, s31
	s_load_dwordx2 s[14:15], s[8:9], 0x0
	;; [unrolled: 3-line block ×3, first 2 shown]
	v_bfe_u32 v0, v0, 10, 10
	s_mov_b32 s0, s1
	v_lshlrev_b32_e32 v2, 4, v0
	v_pk_mov_b32 v[6:7], s[0:1], s[0:1] op_sel:[0,1]
	v_cmp_gt_i32_e64 s[0:1], s26, v0
	v_cmp_gt_i32_e32 vcc, s26, v3
	v_add_lshl_u32 v4, v2, v3, 3
	s_and_b64 s[0:1], s[0:1], vcc
	v_lshlrev_b32_e32 v1, 3, v3
	ds_write2st64_b64 v4, v[6:7], v[6:7] offset1:4
	s_waitcnt lgkmcnt(0)
	s_barrier
	s_and_saveexec_b64 s[20:21], s[0:1]
	s_cbranch_execz .LBB173_3
; %bb.2:
	s_lshl_b64 s[0:1], s[12:13], 3
	s_add_u32 s7, s28, s0
	s_addc_u32 s12, s29, s1
	v_mad_u64_u32 v[6:7], s[0:1], v0, s10, 0
	v_mov_b32_e32 v8, v7
	v_mad_u64_u32 v[8:9], s[0:1], v0, s11, v[8:9]
	v_mov_b32_e32 v7, v8
	v_lshlrev_b64 v[6:7], 3, v[6:7]
	v_mov_b32_e32 v5, s12
	v_add_co_u32_e64 v6, s[0:1], s7, v6
	v_addc_co_u32_e64 v5, s[0:1], v5, v7, s[0:1]
	v_add_co_u32_e64 v6, s[0:1], v6, v1
	v_addc_co_u32_e64 v7, s[0:1], 0, v5, s[0:1]
	global_load_dwordx2 v[6:7], v[6:7], off
	v_lshlrev_b32_e32 v5, 4, v3
	v_add_lshl_u32 v5, v5, v0, 3
	s_waitcnt vmcnt(0)
	v_xor_b32_e32 v7, 0x80000000, v7
	ds_write_b64 v5, v[6:7]
.LBB173_3:
	s_or_b64 exec, exec, s[20:21]
	s_add_i32 s0, s27, -1
	s_ashr_i32 s1, s0, 31
	s_lshr_b32 s1, s1, 28
	s_add_i32 s0, s0, s1
	s_ashr_i32 s1, s0, 4
	s_and_b32 s0, s0, -16
	s_sub_i32 s0, s27, s0
	s_cmp_ge_i32 s6, s1
	s_cselect_b32 s0, s0, 16
	s_lshl_b32 s12, s6, 4
	v_cmp_gt_i32_e64 s[0:1], s0, v0
	s_ashr_i32 s13, s12, 31
	s_and_b64 s[0:1], vcc, s[0:1]
	s_and_saveexec_b64 s[6:7], s[0:1]
	s_cbranch_execz .LBB173_5
; %bb.4:
	s_lshl_b64 s[10:11], s[18:19], 3
	s_add_u32 s14, s14, s10
	s_addc_u32 s15, s15, s11
	s_mul_i32 s10, s12, s17
	s_mul_hi_u32 s11, s12, s16
	s_add_i32 s10, s11, s10
	s_mul_i32 s11, s13, s16
	s_add_i32 s11, s10, s11
	s_mul_i32 s10, s12, s16
	s_lshl_b64 s[10:11], s[10:11], 3
	s_add_u32 s14, s14, s10
	s_addc_u32 s15, s15, s11
	v_mad_u64_u32 v[6:7], s[10:11], v0, s16, 0
	v_mov_b32_e32 v8, v7
	v_mad_u64_u32 v[8:9], s[10:11], v0, s17, v[8:9]
	v_mov_b32_e32 v7, v8
	v_lshlrev_b64 v[6:7], 3, v[6:7]
	v_mov_b32_e32 v5, s15
	v_add_co_u32_e32 v6, vcc, s14, v6
	v_addc_co_u32_e32 v5, vcc, v5, v7, vcc
	v_add_co_u32_e32 v6, vcc, v6, v1
	v_addc_co_u32_e32 v7, vcc, 0, v5, vcc
	global_load_dwordx2 v[6:7], v[6:7], off
	v_add_u32_e32 v5, 0x800, v4
	s_waitcnt vmcnt(0)
	ds_write_b64 v5, v[6:7]
.LBB173_5:
	s_or_b64 exec, exec, s[6:7]
	s_cmpk_eq_i32 s25, 0x84
	s_cselect_b64 s[6:7], -1, 0
	v_cmp_eq_u32_e32 vcc, v0, v3
	s_and_b64 s[10:11], vcc, s[6:7]
	s_and_saveexec_b64 s[6:7], s[10:11]
	s_cbranch_execz .LBB173_7
; %bb.6:
	v_mov_b32_e32 v6, 1.0
	v_mov_b32_e32 v7, 0
	ds_write_b64 v4, v[6:7]
.LBB173_7:
	s_or_b64 exec, exec, s[6:7]
	s_cmpk_lg_i32 s24, 0x7a
	s_waitcnt lgkmcnt(0)
	s_barrier
	s_cbranch_scc0 .LBB173_9
; %bb.8:
	v_cmp_lt_u32_e32 vcc, v3, v0
	s_and_b64 s[6:7], vcc, exec
	s_cbranch_execz .LBB173_10
	s_branch .LBB173_11
.LBB173_9:
	s_mov_b64 s[6:7], 0
.LBB173_10:
	v_cmp_gt_u32_e32 vcc, v3, v0
	s_andn2_b64 s[6:7], s[6:7], exec
	s_and_b64 s[10:11], vcc, exec
	s_or_b64 s[6:7], s[6:7], s[10:11]
.LBB173_11:
	s_and_saveexec_b64 s[10:11], s[6:7]
	s_cbranch_execz .LBB173_13
; %bb.12:
	v_mov_b32_e32 v6, 0
	v_mov_b32_e32 v7, v6
	ds_write_b64 v4, v[6:7]
.LBB173_13:
	s_or_b64 exec, exec, s[10:11]
	s_waitcnt lgkmcnt(0)
	s_barrier
	s_and_saveexec_b64 s[6:7], s[0:1]
	s_cbranch_execz .LBB173_15
; %bb.14:
	v_lshlrev_b32_e32 v54, 3, v2
	ds_read2_b64 v[2:5], v1 offset1:16
	ds_read_b128 v[6:9], v54 offset:2048
	ds_read_b128 v[10:13], v54 offset:2064
	;; [unrolled: 1-line block ×4, first 2 shown]
	ds_read2_b64 v[22:25], v1 offset0:32 offset1:48
	s_load_dwordx2 s[0:1], s[4:5], 0x60
	s_mul_i32 s4, s12, s23
	s_waitcnt lgkmcnt(0)
	v_mul_f32_e32 v26, v6, v3
	v_fmac_f32_e32 v26, v7, v2
	v_mul_f32_e32 v27, v8, v5
	v_add_f32_e32 v26, 0, v26
	v_fmac_f32_e32 v27, v9, v4
	v_add_f32_e32 v30, v26, v27
	v_mul_f32_e32 v31, v10, v23
	ds_read2_b64 v[26:29], v1 offset0:64 offset1:80
	v_fmac_f32_e32 v31, v11, v22
	v_add_f32_e32 v30, v30, v31
	v_mul_f32_e32 v31, v12, v25
	v_fmac_f32_e32 v31, v13, v24
	v_add_f32_e32 v34, v30, v31
	ds_read2_b64 v[30:33], v1 offset0:96 offset1:112
	s_waitcnt lgkmcnt(1)
	v_mul_f32_e32 v35, v14, v27
	v_fmac_f32_e32 v35, v15, v26
	v_add_f32_e32 v34, v34, v35
	v_mul_f32_e32 v35, v16, v29
	v_fmac_f32_e32 v35, v17, v28
	v_add_f32_e32 v34, v34, v35
	s_waitcnt lgkmcnt(0)
	v_mul_f32_e32 v35, v18, v31
	v_fmac_f32_e32 v35, v19, v30
	v_add_f32_e32 v42, v34, v35
	ds_read2_b64 v[34:37], v1 offset0:128 offset1:144
	ds_read_b128 v[38:41], v54 offset:2112
	v_mul_f32_e32 v43, v20, v33
	v_fmac_f32_e32 v43, v21, v32
	v_add_f32_e32 v50, v42, v43
	ds_read_b128 v[42:45], v54 offset:2128
	ds_read2_b64 v[46:49], v1 offset0:160 offset1:176
	s_waitcnt lgkmcnt(2)
	v_mul_f32_e32 v51, v38, v35
	v_fmac_f32_e32 v51, v39, v34
	v_add_f32_e32 v50, v50, v51
	v_mul_f32_e32 v51, v40, v37
	v_mul_f32_e32 v3, v7, v3
	v_fmac_f32_e32 v51, v41, v36
	v_fma_f32 v56, v6, v2, -v3
	v_mul_f32_e32 v2, v9, v5
	v_add_f32_e32 v50, v50, v51
	v_fma_f32 v57, v8, v4, -v2
	ds_read_b128 v[2:5], v54 offset:2144
	s_waitcnt lgkmcnt(1)
	v_mul_f32_e32 v51, v42, v47
	v_fmac_f32_e32 v51, v43, v46
	v_add_f32_e32 v55, v50, v51
	ds_read2_b64 v[50:53], v1 offset0:192 offset1:208
	v_mul_f32_e32 v6, v44, v49
	v_mul_f32_e32 v11, v11, v23
	v_fmac_f32_e32 v6, v45, v48
	v_fma_f32 v22, v10, v22, -v11
	v_mul_f32_e32 v10, v13, v25
	v_add_f32_e32 v55, v55, v6
	ds_read_b128 v[6:9], v54 offset:2160
	v_fma_f32 v23, v12, v24, -v10
	ds_read2_b64 v[10:13], v1 offset0:224 offset1:240
	s_waitcnt lgkmcnt(2)
	v_mul_f32_e32 v54, v2, v51
	v_fmac_f32_e32 v54, v3, v50
	v_mul_f32_e32 v25, v4, v53
	v_add_f32_e32 v24, v55, v54
	v_fmac_f32_e32 v25, v5, v52
	v_add_f32_e32 v24, v24, v25
	s_waitcnt lgkmcnt(0)
	v_mul_f32_e32 v25, v6, v11
	v_fmac_f32_e32 v25, v7, v10
	v_add_f32_e32 v24, v24, v25
	v_mul_f32_e32 v25, v8, v13
	v_fmac_f32_e32 v25, v9, v12
	v_add_f32_e32 v24, v24, v25
	v_add_f32_e32 v25, 0, v56
	;; [unrolled: 1-line block ×4, first 2 shown]
	v_mul_f32_e32 v15, v15, v27
	v_add_f32_e32 v22, v22, v23
	v_fma_f32 v14, v14, v26, -v15
	v_mul_f32_e32 v15, v17, v29
	v_add_f32_e32 v14, v22, v14
	v_fma_f32 v15, v16, v28, -v15
	v_add_f32_e32 v14, v14, v15
	v_mul_f32_e32 v15, v19, v31
	v_fma_f32 v15, v18, v30, -v15
	v_add_f32_e32 v14, v14, v15
	v_mul_f32_e32 v15, v21, v33
	v_fma_f32 v15, v20, v32, -v15
	v_add_f32_e32 v14, v14, v15
	v_mul_f32_e32 v15, v39, v35
	v_fma_f32 v15, v38, v34, -v15
	v_add_f32_e32 v14, v14, v15
	v_mul_f32_e32 v15, v41, v37
	v_fma_f32 v15, v40, v36, -v15
	v_add_f32_e32 v14, v14, v15
	v_mul_f32_e32 v15, v43, v47
	v_fma_f32 v15, v42, v46, -v15
	v_add_f32_e32 v14, v14, v15
	v_mul_f32_e32 v15, v45, v49
	v_fma_f32 v15, v44, v48, -v15
	v_mul_f32_e32 v3, v3, v51
	v_add_f32_e32 v14, v14, v15
	v_fma_f32 v2, v2, v50, -v3
	v_mul_f32_e32 v3, v5, v53
	v_add_f32_e32 v2, v14, v2
	v_fma_f32 v3, v4, v52, -v3
	v_add_f32_e32 v2, v2, v3
	v_mul_f32_e32 v3, v7, v11
	v_fma_f32 v3, v6, v10, -v3
	v_add_f32_e32 v2, v2, v3
	v_mul_f32_e32 v3, v9, v13
	s_lshl_b64 s[0:1], s[0:1], 3
	v_fma_f32 v3, v8, v12, -v3
	s_mul_hi_u32 s5, s12, s22
	s_add_u32 s6, s8, s0
	v_add_f32_e32 v2, v2, v3
	v_mul_f32_e32 v3, s2, v24
	v_mul_f32_e32 v4, s3, v24
	s_mul_i32 s13, s13, s22
	s_addc_u32 s7, s9, s1
	s_add_i32 s0, s5, s4
	v_fmac_f32_e32 v3, s3, v2
	v_fma_f32 v2, s2, v2, -v4
	v_mad_u64_u32 v[4:5], s[2:3], v0, s22, 0
	s_add_i32 s1, s0, s13
	s_mul_i32 s0, s12, s22
	v_mov_b32_e32 v6, v5
	s_lshl_b64 s[0:1], s[0:1], 3
	v_mad_u64_u32 v[6:7], s[2:3], v0, s23, v[6:7]
	s_add_u32 s0, s6, s0
	v_mov_b32_e32 v5, v6
	s_addc_u32 s1, s7, s1
	v_lshlrev_b64 v[4:5], 3, v[4:5]
	v_mov_b32_e32 v0, s1
	v_add_co_u32_e32 v4, vcc, s0, v4
	v_addc_co_u32_e32 v5, vcc, v0, v5, vcc
	v_add_co_u32_e32 v0, vcc, v4, v1
	v_addc_co_u32_e32 v1, vcc, 0, v5, vcc
	global_store_dwordx2 v[0:1], v[2:3], off
.LBB173_15:
	s_endpgm
	.section	.rodata,"a",@progbits
	.p2align	6, 0x0
	.amdhsa_kernel _ZL23rocblas_trmm_lTx_kernelILi16ELb1E19rocblas_complex_numIfES1_KPKS1_KPS1_Ev13rocblas_fill_17rocblas_diagonal_iiT2_lPT3_llSB_llPT4_lli
		.amdhsa_group_segment_fixed_size 4096
		.amdhsa_private_segment_fixed_size 0
		.amdhsa_kernarg_size 108
		.amdhsa_user_sgpr_count 6
		.amdhsa_user_sgpr_private_segment_buffer 1
		.amdhsa_user_sgpr_dispatch_ptr 0
		.amdhsa_user_sgpr_queue_ptr 0
		.amdhsa_user_sgpr_kernarg_segment_ptr 1
		.amdhsa_user_sgpr_dispatch_id 0
		.amdhsa_user_sgpr_flat_scratch_init 0
		.amdhsa_user_sgpr_kernarg_preload_length 0
		.amdhsa_user_sgpr_kernarg_preload_offset 0
		.amdhsa_user_sgpr_private_segment_size 0
		.amdhsa_uses_dynamic_stack 0
		.amdhsa_system_sgpr_private_segment_wavefront_offset 0
		.amdhsa_system_sgpr_workgroup_id_x 1
		.amdhsa_system_sgpr_workgroup_id_y 0
		.amdhsa_system_sgpr_workgroup_id_z 1
		.amdhsa_system_sgpr_workgroup_info 0
		.amdhsa_system_vgpr_workitem_id 1
		.amdhsa_next_free_vgpr 58
		.amdhsa_next_free_sgpr 32
		.amdhsa_accum_offset 60
		.amdhsa_reserve_vcc 1
		.amdhsa_reserve_flat_scratch 0
		.amdhsa_float_round_mode_32 0
		.amdhsa_float_round_mode_16_64 0
		.amdhsa_float_denorm_mode_32 3
		.amdhsa_float_denorm_mode_16_64 3
		.amdhsa_dx10_clamp 1
		.amdhsa_ieee_mode 1
		.amdhsa_fp16_overflow 0
		.amdhsa_tg_split 0
		.amdhsa_exception_fp_ieee_invalid_op 0
		.amdhsa_exception_fp_denorm_src 0
		.amdhsa_exception_fp_ieee_div_zero 0
		.amdhsa_exception_fp_ieee_overflow 0
		.amdhsa_exception_fp_ieee_underflow 0
		.amdhsa_exception_fp_ieee_inexact 0
		.amdhsa_exception_int_div_zero 0
	.end_amdhsa_kernel
	.section	.text._ZL23rocblas_trmm_lTx_kernelILi16ELb1E19rocblas_complex_numIfES1_KPKS1_KPS1_Ev13rocblas_fill_17rocblas_diagonal_iiT2_lPT3_llSB_llPT4_lli,"axG",@progbits,_ZL23rocblas_trmm_lTx_kernelILi16ELb1E19rocblas_complex_numIfES1_KPKS1_KPS1_Ev13rocblas_fill_17rocblas_diagonal_iiT2_lPT3_llSB_llPT4_lli,comdat
.Lfunc_end173:
	.size	_ZL23rocblas_trmm_lTx_kernelILi16ELb1E19rocblas_complex_numIfES1_KPKS1_KPS1_Ev13rocblas_fill_17rocblas_diagonal_iiT2_lPT3_llSB_llPT4_lli, .Lfunc_end173-_ZL23rocblas_trmm_lTx_kernelILi16ELb1E19rocblas_complex_numIfES1_KPKS1_KPS1_Ev13rocblas_fill_17rocblas_diagonal_iiT2_lPT3_llSB_llPT4_lli
                                        ; -- End function
	.section	.AMDGPU.csdata,"",@progbits
; Kernel info:
; codeLenInByte = 1412
; NumSgprs: 36
; NumVgprs: 58
; NumAgprs: 0
; TotalNumVgprs: 58
; ScratchSize: 0
; MemoryBound: 0
; FloatMode: 240
; IeeeMode: 1
; LDSByteSize: 4096 bytes/workgroup (compile time only)
; SGPRBlocks: 4
; VGPRBlocks: 7
; NumSGPRsForWavesPerEU: 36
; NumVGPRsForWavesPerEU: 58
; AccumOffset: 60
; Occupancy: 8
; WaveLimiterHint : 1
; COMPUTE_PGM_RSRC2:SCRATCH_EN: 0
; COMPUTE_PGM_RSRC2:USER_SGPR: 6
; COMPUTE_PGM_RSRC2:TRAP_HANDLER: 0
; COMPUTE_PGM_RSRC2:TGID_X_EN: 1
; COMPUTE_PGM_RSRC2:TGID_Y_EN: 0
; COMPUTE_PGM_RSRC2:TGID_Z_EN: 1
; COMPUTE_PGM_RSRC2:TIDIG_COMP_CNT: 1
; COMPUTE_PGM_RSRC3_GFX90A:ACCUM_OFFSET: 14
; COMPUTE_PGM_RSRC3_GFX90A:TG_SPLIT: 0
	.section	.text._ZL23rocblas_trmm_rNx_kernelILi16E19rocblas_complex_numIfEPKS1_KS3_KPS1_Ev13rocblas_fill_17rocblas_diagonal_iiT1_lPT2_llSB_llPT3_lli,"axG",@progbits,_ZL23rocblas_trmm_rNx_kernelILi16E19rocblas_complex_numIfEPKS1_KS3_KPS1_Ev13rocblas_fill_17rocblas_diagonal_iiT1_lPT2_llSB_llPT3_lli,comdat
	.globl	_ZL23rocblas_trmm_rNx_kernelILi16E19rocblas_complex_numIfEPKS1_KS3_KPS1_Ev13rocblas_fill_17rocblas_diagonal_iiT1_lPT2_llSB_llPT3_lli ; -- Begin function _ZL23rocblas_trmm_rNx_kernelILi16E19rocblas_complex_numIfEPKS1_KS3_KPS1_Ev13rocblas_fill_17rocblas_diagonal_iiT1_lPT2_llSB_llPT3_lli
	.p2align	8
	.type	_ZL23rocblas_trmm_rNx_kernelILi16E19rocblas_complex_numIfEPKS1_KS3_KPS1_Ev13rocblas_fill_17rocblas_diagonal_iiT1_lPT2_llSB_llPT3_lli,@function
_ZL23rocblas_trmm_rNx_kernelILi16E19rocblas_complex_numIfEPKS1_KS3_KPS1_Ev13rocblas_fill_17rocblas_diagonal_iiT1_lPT2_llSB_llPT3_lli: ; @_ZL23rocblas_trmm_rNx_kernelILi16E19rocblas_complex_numIfEPKS1_KS3_KPS1_Ev13rocblas_fill_17rocblas_diagonal_iiT1_lPT2_llSB_llPT3_lli
; %bb.0:
	s_load_dwordx16 s[8:23], s[4:5], 0x10
	s_mov_b32 s29, 0
	s_waitcnt lgkmcnt(0)
	s_mul_i32 s0, s7, s11
	s_mul_hi_u32 s1, s7, s10
	s_add_i32 s1, s1, s0
	s_mul_i32 s0, s7, s10
	s_lshl_b64 s[0:1], s[0:1], 3
	s_add_u32 s0, s8, s0
	s_addc_u32 s1, s9, s1
	s_load_dwordx2 s[24:25], s[0:1], 0x0
	s_waitcnt lgkmcnt(0)
	v_cmp_neq_f32_e64 s[0:1], s24, 0
	v_cmp_neq_f32_e64 s[2:3], s25, 0
	s_or_b64 s[0:1], s[0:1], s[2:3]
	s_andn2_b64 vcc, exec, s[0:1]
	s_cbranch_vccnz .LBB174_15
; %bb.1:
	s_load_dwordx4 s[8:11], s[4:5], 0x0
	s_load_dwordx4 s[0:3], s[4:5], 0x50
	s_mov_b32 s28, s7
	s_lshl_b64 s[30:31], s[28:29], 3
	s_add_u32 s18, s18, s30
	s_addc_u32 s19, s19, s31
	s_waitcnt lgkmcnt(0)
	s_add_u32 s0, s0, s30
	s_addc_u32 s1, s1, s31
	s_load_dwordx2 s[26:27], s[18:19], 0x0
	v_and_b32_e32 v4, 0x3ff, v0
	s_load_dwordx2 s[18:19], s[0:1], 0x0
	v_bfe_u32 v0, v0, 10, 10
	v_lshlrev_b32_e32 v2, 4, v0
	s_mov_b32 s28, s29
	v_cmp_gt_i32_e32 vcc, s11, v0
	v_cmp_gt_i32_e64 s[0:1], s11, v4
	v_add_lshl_u32 v3, v2, v4, 3
	v_pk_mov_b32 v[6:7], s[28:29], s[28:29] op_sel:[0,1]
	s_and_b64 s[0:1], vcc, s[0:1]
	v_lshlrev_b32_e32 v1, 3, v4
	ds_write2st64_b64 v3, v[6:7], v[6:7] offset1:4
	s_and_saveexec_b64 s[28:29], s[0:1]
	s_cbranch_execz .LBB174_3
; %bb.2:
	s_add_u32 s0, s12, s30
	s_addc_u32 s1, s13, s31
	s_load_dwordx2 s[0:1], s[0:1], 0x0
	v_mad_u64_u32 v[6:7], s[12:13], v0, s14, 0
	s_lshl_b64 s[12:13], s[16:17], 3
	v_mov_b32_e32 v8, v7
	s_waitcnt lgkmcnt(0)
	s_add_u32 s7, s0, s12
	s_addc_u32 s11, s1, s13
	v_mad_u64_u32 v[8:9], s[0:1], v0, s15, v[8:9]
	v_mov_b32_e32 v7, v8
	v_lshlrev_b64 v[6:7], 3, v[6:7]
	v_mov_b32_e32 v5, s11
	v_add_co_u32_e64 v6, s[0:1], s7, v6
	v_addc_co_u32_e64 v5, s[0:1], v5, v7, s[0:1]
	v_add_co_u32_e64 v6, s[0:1], v6, v1
	v_addc_co_u32_e64 v7, s[0:1], 0, v5, s[0:1]
	global_load_dwordx2 v[6:7], v[6:7], off
	s_waitcnt vmcnt(0)
	ds_write_b64 v3, v[6:7]
.LBB174_3:
	s_or_b64 exec, exec, s[28:29]
	s_add_i32 s0, s10, -1
	s_ashr_i32 s1, s0, 31
	s_lshr_b32 s1, s1, 28
	s_add_i32 s0, s0, s1
	s_ashr_i32 s1, s0, 4
	s_and_b32 s0, s0, -16
	s_sub_i32 s0, s10, s0
	s_cmp_ge_i32 s6, s1
	s_cselect_b32 s0, s0, 16
	s_lshl_b32 s6, s6, 4
	v_cmp_gt_i32_e64 s[0:1], s0, v4
	s_ashr_i32 s7, s6, 31
	s_and_b64 s[0:1], vcc, s[0:1]
	s_and_saveexec_b64 s[10:11], s[0:1]
	s_cbranch_execz .LBB174_5
; %bb.4:
	s_lshl_b64 s[12:13], s[22:23], 3
	s_waitcnt lgkmcnt(0)
	s_add_u32 s14, s26, s12
	s_addc_u32 s15, s27, s13
	s_lshl_b64 s[12:13], s[6:7], 3
	s_add_u32 s14, s14, s12
	s_addc_u32 s15, s15, s13
	v_mad_u64_u32 v[6:7], s[12:13], v0, s20, 0
	v_mov_b32_e32 v8, v7
	v_mad_u64_u32 v[8:9], s[12:13], v0, s21, v[8:9]
	v_mov_b32_e32 v7, v8
	v_lshlrev_b64 v[6:7], 3, v[6:7]
	v_mov_b32_e32 v5, s15
	v_add_co_u32_e32 v6, vcc, s14, v6
	v_addc_co_u32_e32 v5, vcc, v5, v7, vcc
	v_add_co_u32_e32 v6, vcc, v6, v1
	v_addc_co_u32_e32 v7, vcc, 0, v5, vcc
	global_load_dwordx2 v[6:7], v[6:7], off
	v_add_u32_e32 v5, 0x800, v3
	s_waitcnt vmcnt(0)
	ds_write_b64 v5, v[6:7]
.LBB174_5:
	s_or_b64 exec, exec, s[10:11]
	s_cmpk_eq_i32 s9, 0x84
	s_cselect_b64 s[10:11], -1, 0
	v_cmp_eq_u32_e32 vcc, v0, v4
	s_and_b64 s[12:13], vcc, s[10:11]
	s_and_saveexec_b64 s[10:11], s[12:13]
	s_cbranch_execz .LBB174_7
; %bb.6:
	v_mov_b32_e32 v6, 1.0
	v_mov_b32_e32 v7, 0
	ds_write_b64 v3, v[6:7]
.LBB174_7:
	s_or_b64 exec, exec, s[10:11]
	s_cmpk_lg_i32 s8, 0x79
	s_cbranch_scc0 .LBB174_9
; %bb.8:
	v_cmp_lt_u32_e32 vcc, v4, v0
	s_and_b64 s[8:9], vcc, exec
	s_cbranch_execz .LBB174_10
	s_branch .LBB174_11
.LBB174_9:
	s_mov_b64 s[8:9], 0
.LBB174_10:
	v_cmp_gt_u32_e32 vcc, v4, v0
	s_andn2_b64 s[8:9], s[8:9], exec
	s_and_b64 s[10:11], vcc, exec
	s_or_b64 s[8:9], s[8:9], s[10:11]
.LBB174_11:
	s_and_saveexec_b64 s[10:11], s[8:9]
	s_cbranch_execz .LBB174_13
; %bb.12:
	v_mov_b32_e32 v4, 0
	v_mov_b32_e32 v5, v4
	ds_write_b64 v3, v[4:5]
.LBB174_13:
	s_or_b64 exec, exec, s[10:11]
	s_waitcnt lgkmcnt(0)
	s_barrier
	s_and_saveexec_b64 s[8:9], s[0:1]
	s_cbranch_execz .LBB174_15
; %bb.14:
	v_lshlrev_b32_e32 v54, 3, v2
	v_add_u32_e32 v55, 0x800, v1
	ds_read2_b64 v[2:5], v55 offset1:16
	ds_read_b128 v[6:9], v54
	ds_read_b128 v[10:13], v54 offset:16
	ds_read_b128 v[14:17], v54 offset:32
	;; [unrolled: 1-line block ×3, first 2 shown]
	ds_read2_b64 v[22:25], v55 offset0:32 offset1:48
	s_load_dwordx2 s[0:1], s[4:5], 0x60
	s_waitcnt lgkmcnt(0)
	v_mul_f32_e32 v26, v6, v3
	v_fmac_f32_e32 v26, v7, v2
	v_mul_f32_e32 v27, v8, v5
	v_add_f32_e32 v26, 0, v26
	v_fmac_f32_e32 v27, v9, v4
	v_add_f32_e32 v30, v26, v27
	v_mul_f32_e32 v31, v10, v23
	ds_read2_b64 v[26:29], v55 offset0:64 offset1:80
	v_fmac_f32_e32 v31, v11, v22
	v_add_f32_e32 v30, v30, v31
	v_mul_f32_e32 v31, v12, v25
	v_fmac_f32_e32 v31, v13, v24
	v_add_f32_e32 v34, v30, v31
	ds_read2_b64 v[30:33], v55 offset0:96 offset1:112
	s_waitcnt lgkmcnt(1)
	v_mul_f32_e32 v35, v14, v27
	v_fmac_f32_e32 v35, v15, v26
	v_add_f32_e32 v34, v34, v35
	v_mul_f32_e32 v35, v16, v29
	v_fmac_f32_e32 v35, v17, v28
	v_add_f32_e32 v34, v34, v35
	s_waitcnt lgkmcnt(0)
	v_mul_f32_e32 v35, v18, v31
	v_fmac_f32_e32 v35, v19, v30
	v_add_f32_e32 v42, v34, v35
	ds_read2_b64 v[34:37], v55 offset0:128 offset1:144
	ds_read_b128 v[38:41], v54 offset:64
	v_mul_f32_e32 v43, v20, v33
	v_fmac_f32_e32 v43, v21, v32
	v_add_f32_e32 v50, v42, v43
	ds_read_b128 v[42:45], v54 offset:80
	ds_read2_b64 v[46:49], v55 offset0:160 offset1:176
	s_waitcnt lgkmcnt(2)
	v_mul_f32_e32 v51, v38, v35
	v_fmac_f32_e32 v51, v39, v34
	v_add_f32_e32 v50, v50, v51
	v_mul_f32_e32 v51, v40, v37
	v_fmac_f32_e32 v51, v41, v36
	v_add_f32_e32 v50, v50, v51
	s_waitcnt lgkmcnt(0)
	v_mul_f32_e32 v51, v42, v47
	v_fmac_f32_e32 v51, v43, v46
	v_add_f32_e32 v50, v50, v51
	v_mul_f32_e32 v51, v44, v49
	v_fmac_f32_e32 v51, v45, v48
	v_mul_f32_e32 v3, v7, v3
	v_add_f32_e32 v56, v50, v51
	ds_read2_b64 v[50:53], v55 offset0:192 offset1:208
	v_fma_f32 v57, v6, v2, -v3
	v_mul_f32_e32 v2, v9, v5
	v_fma_f32 v58, v8, v4, -v2
	ds_read_b128 v[2:5], v54 offset:96
	ds_read_b128 v[6:9], v54 offset:112
	v_mul_f32_e32 v11, v11, v23
	v_fma_f32 v22, v10, v22, -v11
	v_mul_f32_e32 v10, v13, v25
	v_fma_f32 v23, v12, v24, -v10
	ds_read2_b64 v[10:13], v55 offset0:224 offset1:240
	s_waitcnt lgkmcnt(2)
	v_mul_f32_e32 v24, v2, v51
	v_fmac_f32_e32 v24, v3, v50
	v_mul_f32_e32 v25, v4, v53
	v_add_f32_e32 v24, v56, v24
	v_fmac_f32_e32 v25, v5, v52
	v_add_f32_e32 v24, v24, v25
	s_waitcnt lgkmcnt(0)
	v_mul_f32_e32 v25, v6, v11
	v_fmac_f32_e32 v25, v7, v10
	v_add_f32_e32 v24, v24, v25
	v_mul_f32_e32 v25, v8, v13
	v_fmac_f32_e32 v25, v9, v12
	v_add_f32_e32 v24, v24, v25
	v_add_f32_e32 v25, 0, v57
	;; [unrolled: 1-line block ×4, first 2 shown]
	v_mul_f32_e32 v15, v15, v27
	v_add_f32_e32 v22, v22, v23
	v_fma_f32 v14, v14, v26, -v15
	v_mul_f32_e32 v15, v17, v29
	v_add_f32_e32 v14, v22, v14
	v_fma_f32 v15, v16, v28, -v15
	v_add_f32_e32 v14, v14, v15
	v_mul_f32_e32 v15, v19, v31
	v_fma_f32 v15, v18, v30, -v15
	v_add_f32_e32 v14, v14, v15
	v_mul_f32_e32 v15, v21, v33
	;; [unrolled: 3-line block ×6, first 2 shown]
	v_fma_f32 v15, v44, v48, -v15
	v_mul_f32_e32 v3, v3, v51
	v_add_f32_e32 v14, v14, v15
	v_fma_f32 v2, v2, v50, -v3
	v_mul_f32_e32 v3, v5, v53
	v_add_f32_e32 v2, v14, v2
	v_fma_f32 v3, v4, v52, -v3
	v_add_f32_e32 v2, v2, v3
	v_mul_f32_e32 v3, v7, v11
	s_lshl_b64 s[0:1], s[0:1], 3
	v_fma_f32 v3, v6, v10, -v3
	s_add_u32 s4, s18, s0
	v_add_f32_e32 v2, v2, v3
	v_mul_f32_e32 v3, v9, v13
	s_addc_u32 s5, s19, s1
	s_lshl_b64 s[0:1], s[6:7], 3
	v_fma_f32 v3, v8, v12, -v3
	s_add_u32 s0, s4, s0
	v_add_f32_e32 v2, v2, v3
	v_mul_f32_e32 v3, s24, v24
	v_mul_f32_e32 v4, s25, v24
	s_addc_u32 s1, s5, s1
	v_fmac_f32_e32 v3, s25, v2
	v_fma_f32 v2, s24, v2, -v4
	v_mad_u64_u32 v[4:5], s[4:5], v0, s2, 0
	v_mov_b32_e32 v6, v5
	v_mad_u64_u32 v[6:7], s[2:3], v0, s3, v[6:7]
	v_mov_b32_e32 v5, v6
	v_lshlrev_b64 v[4:5], 3, v[4:5]
	v_mov_b32_e32 v0, s1
	v_add_co_u32_e32 v4, vcc, s0, v4
	v_addc_co_u32_e32 v5, vcc, v0, v5, vcc
	v_add_co_u32_e32 v0, vcc, v4, v1
	v_addc_co_u32_e32 v1, vcc, 0, v5, vcc
	global_store_dwordx2 v[0:1], v[2:3], off
.LBB174_15:
	s_endpgm
	.section	.rodata,"a",@progbits
	.p2align	6, 0x0
	.amdhsa_kernel _ZL23rocblas_trmm_rNx_kernelILi16E19rocblas_complex_numIfEPKS1_KS3_KPS1_Ev13rocblas_fill_17rocblas_diagonal_iiT1_lPT2_llSB_llPT3_lli
		.amdhsa_group_segment_fixed_size 4096
		.amdhsa_private_segment_fixed_size 0
		.amdhsa_kernarg_size 108
		.amdhsa_user_sgpr_count 6
		.amdhsa_user_sgpr_private_segment_buffer 1
		.amdhsa_user_sgpr_dispatch_ptr 0
		.amdhsa_user_sgpr_queue_ptr 0
		.amdhsa_user_sgpr_kernarg_segment_ptr 1
		.amdhsa_user_sgpr_dispatch_id 0
		.amdhsa_user_sgpr_flat_scratch_init 0
		.amdhsa_user_sgpr_kernarg_preload_length 0
		.amdhsa_user_sgpr_kernarg_preload_offset 0
		.amdhsa_user_sgpr_private_segment_size 0
		.amdhsa_uses_dynamic_stack 0
		.amdhsa_system_sgpr_private_segment_wavefront_offset 0
		.amdhsa_system_sgpr_workgroup_id_x 1
		.amdhsa_system_sgpr_workgroup_id_y 0
		.amdhsa_system_sgpr_workgroup_id_z 1
		.amdhsa_system_sgpr_workgroup_info 0
		.amdhsa_system_vgpr_workitem_id 1
		.amdhsa_next_free_vgpr 59
		.amdhsa_next_free_sgpr 32
		.amdhsa_accum_offset 60
		.amdhsa_reserve_vcc 1
		.amdhsa_reserve_flat_scratch 0
		.amdhsa_float_round_mode_32 0
		.amdhsa_float_round_mode_16_64 0
		.amdhsa_float_denorm_mode_32 3
		.amdhsa_float_denorm_mode_16_64 3
		.amdhsa_dx10_clamp 1
		.amdhsa_ieee_mode 1
		.amdhsa_fp16_overflow 0
		.amdhsa_tg_split 0
		.amdhsa_exception_fp_ieee_invalid_op 0
		.amdhsa_exception_fp_denorm_src 0
		.amdhsa_exception_fp_ieee_div_zero 0
		.amdhsa_exception_fp_ieee_overflow 0
		.amdhsa_exception_fp_ieee_underflow 0
		.amdhsa_exception_fp_ieee_inexact 0
		.amdhsa_exception_int_div_zero 0
	.end_amdhsa_kernel
	.section	.text._ZL23rocblas_trmm_rNx_kernelILi16E19rocblas_complex_numIfEPKS1_KS3_KPS1_Ev13rocblas_fill_17rocblas_diagonal_iiT1_lPT2_llSB_llPT3_lli,"axG",@progbits,_ZL23rocblas_trmm_rNx_kernelILi16E19rocblas_complex_numIfEPKS1_KS3_KPS1_Ev13rocblas_fill_17rocblas_diagonal_iiT1_lPT2_llSB_llPT3_lli,comdat
.Lfunc_end174:
	.size	_ZL23rocblas_trmm_rNx_kernelILi16E19rocblas_complex_numIfEPKS1_KS3_KPS1_Ev13rocblas_fill_17rocblas_diagonal_iiT1_lPT2_llSB_llPT3_lli, .Lfunc_end174-_ZL23rocblas_trmm_rNx_kernelILi16E19rocblas_complex_numIfEPKS1_KS3_KPS1_Ev13rocblas_fill_17rocblas_diagonal_iiT1_lPT2_llSB_llPT3_lli
                                        ; -- End function
	.section	.AMDGPU.csdata,"",@progbits
; Kernel info:
; codeLenInByte = 1384
; NumSgprs: 36
; NumVgprs: 59
; NumAgprs: 0
; TotalNumVgprs: 59
; ScratchSize: 0
; MemoryBound: 0
; FloatMode: 240
; IeeeMode: 1
; LDSByteSize: 4096 bytes/workgroup (compile time only)
; SGPRBlocks: 4
; VGPRBlocks: 7
; NumSGPRsForWavesPerEU: 36
; NumVGPRsForWavesPerEU: 59
; AccumOffset: 60
; Occupancy: 8
; WaveLimiterHint : 1
; COMPUTE_PGM_RSRC2:SCRATCH_EN: 0
; COMPUTE_PGM_RSRC2:USER_SGPR: 6
; COMPUTE_PGM_RSRC2:TRAP_HANDLER: 0
; COMPUTE_PGM_RSRC2:TGID_X_EN: 1
; COMPUTE_PGM_RSRC2:TGID_Y_EN: 0
; COMPUTE_PGM_RSRC2:TGID_Z_EN: 1
; COMPUTE_PGM_RSRC2:TIDIG_COMP_CNT: 1
; COMPUTE_PGM_RSRC3_GFX90A:ACCUM_OFFSET: 14
; COMPUTE_PGM_RSRC3_GFX90A:TG_SPLIT: 0
	.section	.text._ZL23rocblas_trmm_rNx_kernelILi16E19rocblas_complex_numIfES1_KPKS1_KPS1_Ev13rocblas_fill_17rocblas_diagonal_iiT1_lPT2_llSB_llPT3_lli,"axG",@progbits,_ZL23rocblas_trmm_rNx_kernelILi16E19rocblas_complex_numIfES1_KPKS1_KPS1_Ev13rocblas_fill_17rocblas_diagonal_iiT1_lPT2_llSB_llPT3_lli,comdat
	.globl	_ZL23rocblas_trmm_rNx_kernelILi16E19rocblas_complex_numIfES1_KPKS1_KPS1_Ev13rocblas_fill_17rocblas_diagonal_iiT1_lPT2_llSB_llPT3_lli ; -- Begin function _ZL23rocblas_trmm_rNx_kernelILi16E19rocblas_complex_numIfES1_KPKS1_KPS1_Ev13rocblas_fill_17rocblas_diagonal_iiT1_lPT2_llSB_llPT3_lli
	.p2align	8
	.type	_ZL23rocblas_trmm_rNx_kernelILi16E19rocblas_complex_numIfES1_KPKS1_KPS1_Ev13rocblas_fill_17rocblas_diagonal_iiT1_lPT2_llSB_llPT3_lli,@function
_ZL23rocblas_trmm_rNx_kernelILi16E19rocblas_complex_numIfES1_KPKS1_KPS1_Ev13rocblas_fill_17rocblas_diagonal_iiT1_lPT2_llSB_llPT3_lli: ; @_ZL23rocblas_trmm_rNx_kernelILi16E19rocblas_complex_numIfES1_KPKS1_KPS1_Ev13rocblas_fill_17rocblas_diagonal_iiT1_lPT2_llSB_llPT3_lli
; %bb.0:
	s_load_dwordx2 s[2:3], s[4:5], 0x10
	s_mov_b32 s1, 0
	s_waitcnt lgkmcnt(0)
	v_cmp_neq_f32_e64 s[8:9], s2, 0
	v_cmp_neq_f32_e64 s[10:11], s3, 0
	s_or_b64 s[8:9], s[8:9], s[10:11]
	s_andn2_b64 vcc, exec, s[8:9]
	s_cbranch_vccnz .LBB175_15
; %bb.1:
	s_load_dwordx16 s[8:23], s[4:5], 0x20
	s_load_dwordx4 s[24:27], s[4:5], 0x0
	s_mov_b32 s0, s7
	s_lshl_b64 s[30:31], s[0:1], 3
	v_and_b32_e32 v4, 0x3ff, v0
	s_waitcnt lgkmcnt(0)
	s_add_u32 s14, s14, s30
	s_addc_u32 s15, s15, s31
	s_load_dwordx2 s[28:29], s[14:15], 0x0
	s_add_u32 s14, s20, s30
	s_addc_u32 s15, s21, s31
	s_load_dwordx2 s[14:15], s[14:15], 0x0
	v_bfe_u32 v0, v0, 10, 10
	s_mov_b32 s0, s1
	v_lshlrev_b32_e32 v2, 4, v0
	v_pk_mov_b32 v[6:7], s[0:1], s[0:1] op_sel:[0,1]
	v_cmp_gt_i32_e32 vcc, s27, v0
	v_cmp_gt_i32_e64 s[0:1], s27, v4
	v_add_lshl_u32 v3, v2, v4, 3
	s_and_b64 s[0:1], vcc, s[0:1]
	v_lshlrev_b32_e32 v1, 3, v4
	ds_write2st64_b64 v3, v[6:7], v[6:7] offset1:4
	s_and_saveexec_b64 s[20:21], s[0:1]
	s_cbranch_execz .LBB175_3
; %bb.2:
	s_add_u32 s0, s8, s30
	s_addc_u32 s1, s9, s31
	s_load_dwordx2 s[0:1], s[0:1], 0x0
	v_mad_u64_u32 v[6:7], s[8:9], v0, s10, 0
	s_lshl_b64 s[8:9], s[12:13], 3
	v_mov_b32_e32 v8, v7
	s_waitcnt lgkmcnt(0)
	s_add_u32 s7, s0, s8
	s_addc_u32 s8, s1, s9
	v_mad_u64_u32 v[8:9], s[0:1], v0, s11, v[8:9]
	v_mov_b32_e32 v7, v8
	v_lshlrev_b64 v[6:7], 3, v[6:7]
	v_mov_b32_e32 v5, s8
	v_add_co_u32_e64 v6, s[0:1], s7, v6
	v_addc_co_u32_e64 v5, s[0:1], v5, v7, s[0:1]
	v_add_co_u32_e64 v6, s[0:1], v6, v1
	v_addc_co_u32_e64 v7, s[0:1], 0, v5, s[0:1]
	global_load_dwordx2 v[6:7], v[6:7], off
	s_waitcnt vmcnt(0)
	ds_write_b64 v3, v[6:7]
.LBB175_3:
	s_or_b64 exec, exec, s[20:21]
	s_add_i32 s0, s26, -1
	s_ashr_i32 s1, s0, 31
	s_lshr_b32 s1, s1, 28
	s_add_i32 s0, s0, s1
	s_ashr_i32 s1, s0, 4
	s_and_b32 s0, s0, -16
	s_sub_i32 s0, s26, s0
	s_cmp_ge_i32 s6, s1
	s_cselect_b32 s0, s0, 16
	s_lshl_b32 s6, s6, 4
	v_cmp_gt_i32_e64 s[0:1], s0, v4
	s_ashr_i32 s7, s6, 31
	s_and_b64 s[0:1], vcc, s[0:1]
	s_and_saveexec_b64 s[8:9], s[0:1]
	s_cbranch_execz .LBB175_5
; %bb.4:
	s_lshl_b64 s[10:11], s[18:19], 3
	s_waitcnt lgkmcnt(0)
	s_add_u32 s12, s28, s10
	s_addc_u32 s13, s29, s11
	s_lshl_b64 s[10:11], s[6:7], 3
	s_add_u32 s12, s12, s10
	s_addc_u32 s13, s13, s11
	v_mad_u64_u32 v[6:7], s[10:11], v0, s16, 0
	v_mov_b32_e32 v8, v7
	v_mad_u64_u32 v[8:9], s[10:11], v0, s17, v[8:9]
	v_mov_b32_e32 v7, v8
	v_lshlrev_b64 v[6:7], 3, v[6:7]
	v_mov_b32_e32 v5, s13
	v_add_co_u32_e32 v6, vcc, s12, v6
	v_addc_co_u32_e32 v5, vcc, v5, v7, vcc
	v_add_co_u32_e32 v6, vcc, v6, v1
	v_addc_co_u32_e32 v7, vcc, 0, v5, vcc
	global_load_dwordx2 v[6:7], v[6:7], off
	v_add_u32_e32 v5, 0x800, v3
	s_waitcnt vmcnt(0)
	ds_write_b64 v5, v[6:7]
.LBB175_5:
	s_or_b64 exec, exec, s[8:9]
	s_cmpk_eq_i32 s25, 0x84
	s_cselect_b64 s[8:9], -1, 0
	v_cmp_eq_u32_e32 vcc, v0, v4
	s_and_b64 s[10:11], vcc, s[8:9]
	s_and_saveexec_b64 s[8:9], s[10:11]
	s_cbranch_execz .LBB175_7
; %bb.6:
	v_mov_b32_e32 v6, 1.0
	v_mov_b32_e32 v7, 0
	ds_write_b64 v3, v[6:7]
.LBB175_7:
	s_or_b64 exec, exec, s[8:9]
	s_cmpk_lg_i32 s24, 0x79
	s_cbranch_scc0 .LBB175_9
; %bb.8:
	v_cmp_lt_u32_e32 vcc, v4, v0
	s_and_b64 s[8:9], vcc, exec
	s_cbranch_execz .LBB175_10
	s_branch .LBB175_11
.LBB175_9:
	s_mov_b64 s[8:9], 0
.LBB175_10:
	v_cmp_gt_u32_e32 vcc, v4, v0
	s_andn2_b64 s[8:9], s[8:9], exec
	s_and_b64 s[10:11], vcc, exec
	s_or_b64 s[8:9], s[8:9], s[10:11]
.LBB175_11:
	s_and_saveexec_b64 s[10:11], s[8:9]
	s_cbranch_execz .LBB175_13
; %bb.12:
	v_mov_b32_e32 v4, 0
	v_mov_b32_e32 v5, v4
	ds_write_b64 v3, v[4:5]
.LBB175_13:
	s_or_b64 exec, exec, s[10:11]
	s_waitcnt lgkmcnt(0)
	s_barrier
	s_and_saveexec_b64 s[8:9], s[0:1]
	s_cbranch_execz .LBB175_15
; %bb.14:
	v_lshlrev_b32_e32 v54, 3, v2
	v_add_u32_e32 v55, 0x800, v1
	ds_read2_b64 v[2:5], v55 offset1:16
	ds_read_b128 v[6:9], v54
	ds_read_b128 v[10:13], v54 offset:16
	ds_read_b128 v[14:17], v54 offset:32
	;; [unrolled: 1-line block ×3, first 2 shown]
	ds_read2_b64 v[22:25], v55 offset0:32 offset1:48
	s_load_dwordx2 s[0:1], s[4:5], 0x60
	s_waitcnt lgkmcnt(0)
	v_mul_f32_e32 v26, v6, v3
	v_fmac_f32_e32 v26, v7, v2
	v_mul_f32_e32 v27, v8, v5
	v_add_f32_e32 v26, 0, v26
	v_fmac_f32_e32 v27, v9, v4
	v_add_f32_e32 v30, v26, v27
	v_mul_f32_e32 v31, v10, v23
	ds_read2_b64 v[26:29], v55 offset0:64 offset1:80
	v_fmac_f32_e32 v31, v11, v22
	v_add_f32_e32 v30, v30, v31
	v_mul_f32_e32 v31, v12, v25
	v_fmac_f32_e32 v31, v13, v24
	v_add_f32_e32 v34, v30, v31
	ds_read2_b64 v[30:33], v55 offset0:96 offset1:112
	s_waitcnt lgkmcnt(1)
	v_mul_f32_e32 v35, v14, v27
	v_fmac_f32_e32 v35, v15, v26
	v_add_f32_e32 v34, v34, v35
	v_mul_f32_e32 v35, v16, v29
	v_fmac_f32_e32 v35, v17, v28
	v_add_f32_e32 v34, v34, v35
	s_waitcnt lgkmcnt(0)
	v_mul_f32_e32 v35, v18, v31
	v_fmac_f32_e32 v35, v19, v30
	v_add_f32_e32 v42, v34, v35
	ds_read2_b64 v[34:37], v55 offset0:128 offset1:144
	ds_read_b128 v[38:41], v54 offset:64
	v_mul_f32_e32 v43, v20, v33
	v_fmac_f32_e32 v43, v21, v32
	v_add_f32_e32 v50, v42, v43
	ds_read_b128 v[42:45], v54 offset:80
	ds_read2_b64 v[46:49], v55 offset0:160 offset1:176
	s_waitcnt lgkmcnt(2)
	v_mul_f32_e32 v51, v38, v35
	v_fmac_f32_e32 v51, v39, v34
	v_add_f32_e32 v50, v50, v51
	v_mul_f32_e32 v51, v40, v37
	v_fmac_f32_e32 v51, v41, v36
	v_add_f32_e32 v50, v50, v51
	s_waitcnt lgkmcnt(0)
	v_mul_f32_e32 v51, v42, v47
	v_fmac_f32_e32 v51, v43, v46
	v_add_f32_e32 v50, v50, v51
	v_mul_f32_e32 v51, v44, v49
	v_fmac_f32_e32 v51, v45, v48
	v_mul_f32_e32 v3, v7, v3
	v_add_f32_e32 v56, v50, v51
	ds_read2_b64 v[50:53], v55 offset0:192 offset1:208
	v_fma_f32 v57, v6, v2, -v3
	v_mul_f32_e32 v2, v9, v5
	v_fma_f32 v58, v8, v4, -v2
	ds_read_b128 v[2:5], v54 offset:96
	ds_read_b128 v[6:9], v54 offset:112
	v_mul_f32_e32 v11, v11, v23
	v_fma_f32 v22, v10, v22, -v11
	v_mul_f32_e32 v10, v13, v25
	v_fma_f32 v23, v12, v24, -v10
	ds_read2_b64 v[10:13], v55 offset0:224 offset1:240
	s_waitcnt lgkmcnt(2)
	v_mul_f32_e32 v24, v2, v51
	v_fmac_f32_e32 v24, v3, v50
	v_mul_f32_e32 v25, v4, v53
	v_add_f32_e32 v24, v56, v24
	v_fmac_f32_e32 v25, v5, v52
	v_add_f32_e32 v24, v24, v25
	s_waitcnt lgkmcnt(0)
	v_mul_f32_e32 v25, v6, v11
	v_fmac_f32_e32 v25, v7, v10
	v_add_f32_e32 v24, v24, v25
	v_mul_f32_e32 v25, v8, v13
	v_fmac_f32_e32 v25, v9, v12
	v_add_f32_e32 v24, v24, v25
	v_add_f32_e32 v25, 0, v57
	;; [unrolled: 1-line block ×4, first 2 shown]
	v_mul_f32_e32 v15, v15, v27
	v_add_f32_e32 v22, v22, v23
	v_fma_f32 v14, v14, v26, -v15
	v_mul_f32_e32 v15, v17, v29
	v_add_f32_e32 v14, v22, v14
	v_fma_f32 v15, v16, v28, -v15
	v_add_f32_e32 v14, v14, v15
	v_mul_f32_e32 v15, v19, v31
	v_fma_f32 v15, v18, v30, -v15
	v_add_f32_e32 v14, v14, v15
	v_mul_f32_e32 v15, v21, v33
	v_fma_f32 v15, v20, v32, -v15
	v_add_f32_e32 v14, v14, v15
	v_mul_f32_e32 v15, v39, v35
	v_fma_f32 v15, v38, v34, -v15
	v_add_f32_e32 v14, v14, v15
	v_mul_f32_e32 v15, v41, v37
	v_fma_f32 v15, v40, v36, -v15
	v_add_f32_e32 v14, v14, v15
	v_mul_f32_e32 v15, v43, v47
	v_fma_f32 v15, v42, v46, -v15
	v_add_f32_e32 v14, v14, v15
	v_mul_f32_e32 v15, v45, v49
	v_fma_f32 v15, v44, v48, -v15
	v_mul_f32_e32 v3, v3, v51
	v_add_f32_e32 v14, v14, v15
	v_fma_f32 v2, v2, v50, -v3
	v_mul_f32_e32 v3, v5, v53
	v_add_f32_e32 v2, v14, v2
	v_fma_f32 v3, v4, v52, -v3
	v_add_f32_e32 v2, v2, v3
	v_mul_f32_e32 v3, v7, v11
	v_fma_f32 v3, v6, v10, -v3
	v_add_f32_e32 v2, v2, v3
	v_mul_f32_e32 v3, v9, v13
	;; [unrolled: 3-line block ×3, first 2 shown]
	v_mul_f32_e32 v4, s3, v24
	s_lshl_b64 s[0:1], s[0:1], 3
	v_fmac_f32_e32 v3, s3, v2
	v_fma_f32 v2, s2, v2, -v4
	v_mad_u64_u32 v[4:5], s[2:3], v0, s22, 0
	s_add_u32 s4, s14, s0
	v_mov_b32_e32 v6, v5
	s_addc_u32 s5, s15, s1
	s_lshl_b64 s[0:1], s[6:7], 3
	v_mad_u64_u32 v[6:7], s[2:3], v0, s23, v[6:7]
	s_add_u32 s0, s4, s0
	v_mov_b32_e32 v5, v6
	s_addc_u32 s1, s5, s1
	v_lshlrev_b64 v[4:5], 3, v[4:5]
	v_mov_b32_e32 v0, s1
	v_add_co_u32_e32 v4, vcc, s0, v4
	v_addc_co_u32_e32 v5, vcc, v0, v5, vcc
	v_add_co_u32_e32 v0, vcc, v4, v1
	v_addc_co_u32_e32 v1, vcc, 0, v5, vcc
	global_store_dwordx2 v[0:1], v[2:3], off
.LBB175_15:
	s_endpgm
	.section	.rodata,"a",@progbits
	.p2align	6, 0x0
	.amdhsa_kernel _ZL23rocblas_trmm_rNx_kernelILi16E19rocblas_complex_numIfES1_KPKS1_KPS1_Ev13rocblas_fill_17rocblas_diagonal_iiT1_lPT2_llSB_llPT3_lli
		.amdhsa_group_segment_fixed_size 4096
		.amdhsa_private_segment_fixed_size 0
		.amdhsa_kernarg_size 108
		.amdhsa_user_sgpr_count 6
		.amdhsa_user_sgpr_private_segment_buffer 1
		.amdhsa_user_sgpr_dispatch_ptr 0
		.amdhsa_user_sgpr_queue_ptr 0
		.amdhsa_user_sgpr_kernarg_segment_ptr 1
		.amdhsa_user_sgpr_dispatch_id 0
		.amdhsa_user_sgpr_flat_scratch_init 0
		.amdhsa_user_sgpr_kernarg_preload_length 0
		.amdhsa_user_sgpr_kernarg_preload_offset 0
		.amdhsa_user_sgpr_private_segment_size 0
		.amdhsa_uses_dynamic_stack 0
		.amdhsa_system_sgpr_private_segment_wavefront_offset 0
		.amdhsa_system_sgpr_workgroup_id_x 1
		.amdhsa_system_sgpr_workgroup_id_y 0
		.amdhsa_system_sgpr_workgroup_id_z 1
		.amdhsa_system_sgpr_workgroup_info 0
		.amdhsa_system_vgpr_workitem_id 1
		.amdhsa_next_free_vgpr 59
		.amdhsa_next_free_sgpr 32
		.amdhsa_accum_offset 60
		.amdhsa_reserve_vcc 1
		.amdhsa_reserve_flat_scratch 0
		.amdhsa_float_round_mode_32 0
		.amdhsa_float_round_mode_16_64 0
		.amdhsa_float_denorm_mode_32 3
		.amdhsa_float_denorm_mode_16_64 3
		.amdhsa_dx10_clamp 1
		.amdhsa_ieee_mode 1
		.amdhsa_fp16_overflow 0
		.amdhsa_tg_split 0
		.amdhsa_exception_fp_ieee_invalid_op 0
		.amdhsa_exception_fp_denorm_src 0
		.amdhsa_exception_fp_ieee_div_zero 0
		.amdhsa_exception_fp_ieee_overflow 0
		.amdhsa_exception_fp_ieee_underflow 0
		.amdhsa_exception_fp_ieee_inexact 0
		.amdhsa_exception_int_div_zero 0
	.end_amdhsa_kernel
	.section	.text._ZL23rocblas_trmm_rNx_kernelILi16E19rocblas_complex_numIfES1_KPKS1_KPS1_Ev13rocblas_fill_17rocblas_diagonal_iiT1_lPT2_llSB_llPT3_lli,"axG",@progbits,_ZL23rocblas_trmm_rNx_kernelILi16E19rocblas_complex_numIfES1_KPKS1_KPS1_Ev13rocblas_fill_17rocblas_diagonal_iiT1_lPT2_llSB_llPT3_lli,comdat
.Lfunc_end175:
	.size	_ZL23rocblas_trmm_rNx_kernelILi16E19rocblas_complex_numIfES1_KPKS1_KPS1_Ev13rocblas_fill_17rocblas_diagonal_iiT1_lPT2_llSB_llPT3_lli, .Lfunc_end175-_ZL23rocblas_trmm_rNx_kernelILi16E19rocblas_complex_numIfES1_KPKS1_KPS1_Ev13rocblas_fill_17rocblas_diagonal_iiT1_lPT2_llSB_llPT3_lli
                                        ; -- End function
	.section	.AMDGPU.csdata,"",@progbits
; Kernel info:
; codeLenInByte = 1344
; NumSgprs: 36
; NumVgprs: 59
; NumAgprs: 0
; TotalNumVgprs: 59
; ScratchSize: 0
; MemoryBound: 0
; FloatMode: 240
; IeeeMode: 1
; LDSByteSize: 4096 bytes/workgroup (compile time only)
; SGPRBlocks: 4
; VGPRBlocks: 7
; NumSGPRsForWavesPerEU: 36
; NumVGPRsForWavesPerEU: 59
; AccumOffset: 60
; Occupancy: 8
; WaveLimiterHint : 1
; COMPUTE_PGM_RSRC2:SCRATCH_EN: 0
; COMPUTE_PGM_RSRC2:USER_SGPR: 6
; COMPUTE_PGM_RSRC2:TRAP_HANDLER: 0
; COMPUTE_PGM_RSRC2:TGID_X_EN: 1
; COMPUTE_PGM_RSRC2:TGID_Y_EN: 0
; COMPUTE_PGM_RSRC2:TGID_Z_EN: 1
; COMPUTE_PGM_RSRC2:TIDIG_COMP_CNT: 1
; COMPUTE_PGM_RSRC3_GFX90A:ACCUM_OFFSET: 14
; COMPUTE_PGM_RSRC3_GFX90A:TG_SPLIT: 0
	.section	.text._ZL23rocblas_trmm_rTx_kernelILi16ELb0E19rocblas_complex_numIfEPKS1_KS3_KPS1_Ev13rocblas_fill_17rocblas_diagonal_iiT2_lPT3_llSB_llPT4_lli,"axG",@progbits,_ZL23rocblas_trmm_rTx_kernelILi16ELb0E19rocblas_complex_numIfEPKS1_KS3_KPS1_Ev13rocblas_fill_17rocblas_diagonal_iiT2_lPT3_llSB_llPT4_lli,comdat
	.globl	_ZL23rocblas_trmm_rTx_kernelILi16ELb0E19rocblas_complex_numIfEPKS1_KS3_KPS1_Ev13rocblas_fill_17rocblas_diagonal_iiT2_lPT3_llSB_llPT4_lli ; -- Begin function _ZL23rocblas_trmm_rTx_kernelILi16ELb0E19rocblas_complex_numIfEPKS1_KS3_KPS1_Ev13rocblas_fill_17rocblas_diagonal_iiT2_lPT3_llSB_llPT4_lli
	.p2align	8
	.type	_ZL23rocblas_trmm_rTx_kernelILi16ELb0E19rocblas_complex_numIfEPKS1_KS3_KPS1_Ev13rocblas_fill_17rocblas_diagonal_iiT2_lPT3_llSB_llPT4_lli,@function
_ZL23rocblas_trmm_rTx_kernelILi16ELb0E19rocblas_complex_numIfEPKS1_KS3_KPS1_Ev13rocblas_fill_17rocblas_diagonal_iiT2_lPT3_llSB_llPT4_lli: ; @_ZL23rocblas_trmm_rTx_kernelILi16ELb0E19rocblas_complex_numIfEPKS1_KS3_KPS1_Ev13rocblas_fill_17rocblas_diagonal_iiT2_lPT3_llSB_llPT4_lli
; %bb.0:
	s_load_dwordx16 s[8:23], s[4:5], 0x10
	s_mov_b32 s29, 0
	s_waitcnt lgkmcnt(0)
	s_mul_i32 s0, s7, s11
	s_mul_hi_u32 s1, s7, s10
	s_add_i32 s1, s1, s0
	s_mul_i32 s0, s7, s10
	s_lshl_b64 s[0:1], s[0:1], 3
	s_add_u32 s0, s8, s0
	s_addc_u32 s1, s9, s1
	s_load_dwordx2 s[24:25], s[0:1], 0x0
	s_waitcnt lgkmcnt(0)
	v_cmp_neq_f32_e64 s[0:1], s24, 0
	v_cmp_neq_f32_e64 s[2:3], s25, 0
	s_or_b64 s[0:1], s[0:1], s[2:3]
	s_andn2_b64 vcc, exec, s[0:1]
	s_cbranch_vccnz .LBB176_15
; %bb.1:
	s_load_dwordx4 s[8:11], s[4:5], 0x0
	s_load_dwordx4 s[0:3], s[4:5], 0x50
	s_mov_b32 s28, s7
	s_lshl_b64 s[30:31], s[28:29], 3
	s_add_u32 s18, s18, s30
	s_addc_u32 s19, s19, s31
	s_waitcnt lgkmcnt(0)
	s_add_u32 s0, s0, s30
	s_addc_u32 s1, s1, s31
	s_load_dwordx2 s[26:27], s[18:19], 0x0
	v_and_b32_e32 v3, 0x3ff, v0
	s_load_dwordx2 s[18:19], s[0:1], 0x0
	v_bfe_u32 v0, v0, 10, 10
	v_lshlrev_b32_e32 v1, 4, v0
	s_mov_b32 s28, s29
	v_cmp_gt_i32_e32 vcc, s11, v0
	v_cmp_gt_i32_e64 s[0:1], s11, v3
	v_add_lshl_u32 v2, v1, v3, 3
	v_pk_mov_b32 v[4:5], s[28:29], s[28:29] op_sel:[0,1]
	s_and_b64 s[0:1], vcc, s[0:1]
	v_lshlrev_b32_e32 v1, 3, v3
	ds_write2st64_b64 v2, v[4:5], v[4:5] offset1:4
	s_and_saveexec_b64 s[28:29], s[0:1]
	s_cbranch_execz .LBB176_3
; %bb.2:
	s_add_u32 s0, s12, s30
	s_addc_u32 s1, s13, s31
	s_load_dwordx2 s[0:1], s[0:1], 0x0
	v_mad_u64_u32 v[4:5], s[12:13], v0, s14, 0
	s_lshl_b64 s[12:13], s[16:17], 3
	v_mov_b32_e32 v6, v5
	s_waitcnt lgkmcnt(0)
	s_add_u32 s7, s0, s12
	s_addc_u32 s11, s1, s13
	v_mad_u64_u32 v[6:7], s[0:1], v0, s15, v[6:7]
	v_mov_b32_e32 v5, v6
	v_lshlrev_b64 v[4:5], 3, v[4:5]
	v_mov_b32_e32 v6, s11
	v_add_co_u32_e64 v4, s[0:1], s7, v4
	v_addc_co_u32_e64 v5, s[0:1], v6, v5, s[0:1]
	v_add_co_u32_e64 v4, s[0:1], v4, v1
	v_addc_co_u32_e64 v5, s[0:1], 0, v5, s[0:1]
	global_load_dwordx2 v[4:5], v[4:5], off
	s_waitcnt vmcnt(0)
	ds_write_b64 v2, v[4:5]
.LBB176_3:
	s_or_b64 exec, exec, s[28:29]
	s_add_i32 s0, s10, -1
	s_ashr_i32 s1, s0, 31
	s_lshr_b32 s1, s1, 28
	s_add_i32 s0, s0, s1
	s_ashr_i32 s1, s0, 4
	s_and_b32 s0, s0, -16
	s_sub_i32 s0, s10, s0
	s_cmp_ge_i32 s6, s1
	s_cselect_b32 s0, s0, 16
	s_lshl_b32 s6, s6, 4
	v_cmp_gt_i32_e64 s[0:1], s0, v3
	s_ashr_i32 s7, s6, 31
	s_and_b64 s[0:1], vcc, s[0:1]
	s_and_saveexec_b64 s[10:11], s[0:1]
	s_cbranch_execz .LBB176_5
; %bb.4:
	s_lshl_b64 s[12:13], s[22:23], 3
	s_waitcnt lgkmcnt(0)
	s_add_u32 s14, s26, s12
	s_addc_u32 s15, s27, s13
	s_lshl_b64 s[12:13], s[6:7], 3
	s_add_u32 s14, s14, s12
	s_addc_u32 s15, s15, s13
	v_mad_u64_u32 v[4:5], s[12:13], v0, s20, 0
	v_mov_b32_e32 v6, v5
	v_mad_u64_u32 v[6:7], s[12:13], v0, s21, v[6:7]
	v_mov_b32_e32 v5, v6
	v_lshlrev_b64 v[4:5], 3, v[4:5]
	v_mov_b32_e32 v6, s15
	v_add_co_u32_e32 v4, vcc, s14, v4
	v_addc_co_u32_e32 v5, vcc, v6, v5, vcc
	v_add_co_u32_e32 v4, vcc, v4, v1
	v_addc_co_u32_e32 v5, vcc, 0, v5, vcc
	global_load_dwordx2 v[4:5], v[4:5], off
	v_add_u32_e32 v6, 0x800, v2
	s_waitcnt vmcnt(0)
	ds_write_b64 v6, v[4:5]
.LBB176_5:
	s_or_b64 exec, exec, s[10:11]
	s_cmpk_eq_i32 s9, 0x84
	s_cselect_b64 s[10:11], -1, 0
	v_cmp_eq_u32_e32 vcc, v0, v3
	s_and_b64 s[12:13], vcc, s[10:11]
	s_and_saveexec_b64 s[10:11], s[12:13]
	s_cbranch_execz .LBB176_7
; %bb.6:
	v_mov_b32_e32 v4, 1.0
	v_mov_b32_e32 v5, 0
	ds_write_b64 v2, v[4:5]
.LBB176_7:
	s_or_b64 exec, exec, s[10:11]
	s_cmpk_lg_i32 s8, 0x79
	s_cbranch_scc0 .LBB176_9
; %bb.8:
	v_cmp_lt_u32_e32 vcc, v3, v0
	s_and_b64 s[8:9], vcc, exec
	s_cbranch_execz .LBB176_10
	s_branch .LBB176_11
.LBB176_9:
	s_mov_b64 s[8:9], 0
.LBB176_10:
	v_cmp_gt_u32_e32 vcc, v3, v0
	s_andn2_b64 s[8:9], s[8:9], exec
	s_and_b64 s[10:11], vcc, exec
	s_or_b64 s[8:9], s[8:9], s[10:11]
.LBB176_11:
	s_and_saveexec_b64 s[10:11], s[8:9]
	s_cbranch_execz .LBB176_13
; %bb.12:
	v_mov_b32_e32 v4, 0
	v_mov_b32_e32 v5, v4
	ds_write_b64 v2, v[4:5]
.LBB176_13:
	s_or_b64 exec, exec, s[10:11]
	s_waitcnt lgkmcnt(0)
	s_barrier
	s_and_saveexec_b64 s[8:9], s[0:1]
	s_cbranch_execz .LBB176_15
; %bb.14:
	v_lshlrev_b32_e32 v54, 3, v0
	v_add_u32_e32 v55, 0x800, v1
	ds_read2_b64 v[2:5], v54 offset1:16
	ds_read2_b64 v[6:9], v55 offset1:16
	ds_read2_b64 v[10:13], v54 offset0:32 offset1:48
	ds_read2_b64 v[14:17], v55 offset0:32 offset1:48
	s_load_dwordx2 s[0:1], s[4:5], 0x60
	s_waitcnt lgkmcnt(0)
	v_mul_f32_e32 v18, v2, v7
	v_fmac_f32_e32 v18, v3, v6
	v_mul_f32_e32 v19, v4, v9
	v_add_f32_e32 v18, 0, v18
	v_fmac_f32_e32 v19, v5, v8
	v_mul_f32_e32 v27, v10, v15
	v_add_f32_e32 v26, v18, v19
	v_fmac_f32_e32 v27, v11, v14
	ds_read2_b64 v[18:21], v54 offset0:64 offset1:80
	ds_read2_b64 v[22:25], v55 offset0:64 offset1:80
	v_add_f32_e32 v26, v26, v27
	v_mul_f32_e32 v27, v12, v17
	v_fmac_f32_e32 v27, v13, v16
	v_add_f32_e32 v34, v26, v27
	ds_read2_b64 v[26:29], v54 offset0:96 offset1:112
	ds_read2_b64 v[30:33], v55 offset0:96 offset1:112
	s_waitcnt lgkmcnt(2)
	v_mul_f32_e32 v35, v18, v23
	v_fmac_f32_e32 v35, v19, v22
	v_add_f32_e32 v34, v34, v35
	v_mul_f32_e32 v35, v20, v25
	v_fmac_f32_e32 v35, v21, v24
	s_waitcnt lgkmcnt(0)
	v_mul_f32_e32 v43, v26, v31
	v_add_f32_e32 v42, v34, v35
	v_fmac_f32_e32 v43, v27, v30
	ds_read2_b64 v[34:37], v54 offset0:128 offset1:144
	ds_read2_b64 v[38:41], v55 offset0:128 offset1:144
	v_add_f32_e32 v42, v42, v43
	v_mul_f32_e32 v43, v28, v33
	v_fmac_f32_e32 v43, v29, v32
	v_add_f32_e32 v50, v42, v43
	ds_read2_b64 v[42:45], v54 offset0:160 offset1:176
	ds_read2_b64 v[46:49], v55 offset0:160 offset1:176
	s_waitcnt lgkmcnt(2)
	v_mul_f32_e32 v51, v34, v39
	v_fmac_f32_e32 v51, v35, v38
	v_add_f32_e32 v50, v50, v51
	v_mul_f32_e32 v51, v36, v41
	v_fmac_f32_e32 v51, v37, v40
	s_waitcnt lgkmcnt(0)
	v_mul_f32_e32 v57, v42, v47
	v_mul_f32_e32 v3, v3, v7
	v_add_f32_e32 v56, v50, v51
	v_fmac_f32_e32 v57, v43, v46
	v_fma_f32 v58, v2, v6, -v3
	v_mul_f32_e32 v2, v5, v9
	v_mul_f32_e32 v7, v44, v49
	ds_read2_b64 v[50:53], v54 offset0:192 offset1:208
	v_fma_f32 v59, v4, v8, -v2
	ds_read2_b64 v[2:5], v55 offset0:192 offset1:208
	v_add_f32_e32 v6, v56, v57
	v_fmac_f32_e32 v7, v45, v48
	v_add_f32_e32 v56, v6, v7
	v_mul_f32_e32 v6, v11, v15
	v_fma_f32 v14, v10, v14, -v6
	v_mul_f32_e32 v6, v13, v17
	v_fma_f32 v15, v12, v16, -v6
	ds_read2_b64 v[6:9], v54 offset0:224 offset1:240
	ds_read2_b64 v[10:13], v55 offset0:224 offset1:240
	s_waitcnt lgkmcnt(2)
	v_mul_f32_e32 v57, v50, v3
	v_fmac_f32_e32 v57, v51, v2
	v_mul_f32_e32 v17, v52, v5
	v_add_f32_e32 v16, v56, v57
	v_fmac_f32_e32 v17, v53, v4
	v_add_f32_e32 v16, v16, v17
	s_waitcnt lgkmcnt(0)
	v_mul_f32_e32 v17, v6, v11
	v_fmac_f32_e32 v17, v7, v10
	v_add_f32_e32 v16, v16, v17
	v_mul_f32_e32 v17, v8, v13
	v_fmac_f32_e32 v17, v9, v12
	v_add_f32_e32 v16, v16, v17
	v_add_f32_e32 v17, 0, v58
	;; [unrolled: 1-line block ×5, first 2 shown]
	v_mul_f32_e32 v15, v19, v23
	v_fma_f32 v15, v18, v22, -v15
	v_add_f32_e32 v14, v14, v15
	v_mul_f32_e32 v15, v21, v25
	v_fma_f32 v15, v20, v24, -v15
	v_add_f32_e32 v14, v14, v15
	;; [unrolled: 3-line block ×7, first 2 shown]
	v_mul_f32_e32 v15, v45, v49
	v_fma_f32 v15, v44, v48, -v15
	v_mul_f32_e32 v3, v51, v3
	v_add_f32_e32 v14, v14, v15
	v_fma_f32 v2, v50, v2, -v3
	v_mul_f32_e32 v3, v53, v5
	v_add_f32_e32 v2, v14, v2
	v_fma_f32 v3, v52, v4, -v3
	v_add_f32_e32 v2, v2, v3
	v_mul_f32_e32 v3, v7, v11
	s_lshl_b64 s[0:1], s[0:1], 3
	v_fma_f32 v3, v6, v10, -v3
	s_add_u32 s4, s18, s0
	v_add_f32_e32 v2, v2, v3
	v_mul_f32_e32 v3, v9, v13
	s_addc_u32 s5, s19, s1
	s_lshl_b64 s[0:1], s[6:7], 3
	v_fma_f32 v3, v8, v12, -v3
	s_add_u32 s0, s4, s0
	v_add_f32_e32 v2, v2, v3
	v_mul_f32_e32 v3, s24, v16
	v_mul_f32_e32 v4, s25, v16
	s_addc_u32 s1, s5, s1
	v_fmac_f32_e32 v3, s25, v2
	v_fma_f32 v2, s24, v2, -v4
	v_mad_u64_u32 v[4:5], s[4:5], v0, s2, 0
	v_mov_b32_e32 v6, v5
	v_mad_u64_u32 v[6:7], s[2:3], v0, s3, v[6:7]
	v_mov_b32_e32 v5, v6
	v_lshlrev_b64 v[4:5], 3, v[4:5]
	v_mov_b32_e32 v0, s1
	v_add_co_u32_e32 v4, vcc, s0, v4
	v_addc_co_u32_e32 v5, vcc, v0, v5, vcc
	v_add_co_u32_e32 v0, vcc, v4, v1
	v_addc_co_u32_e32 v1, vcc, 0, v5, vcc
	global_store_dwordx2 v[0:1], v[2:3], off
.LBB176_15:
	s_endpgm
	.section	.rodata,"a",@progbits
	.p2align	6, 0x0
	.amdhsa_kernel _ZL23rocblas_trmm_rTx_kernelILi16ELb0E19rocblas_complex_numIfEPKS1_KS3_KPS1_Ev13rocblas_fill_17rocblas_diagonal_iiT2_lPT3_llSB_llPT4_lli
		.amdhsa_group_segment_fixed_size 4096
		.amdhsa_private_segment_fixed_size 0
		.amdhsa_kernarg_size 108
		.amdhsa_user_sgpr_count 6
		.amdhsa_user_sgpr_private_segment_buffer 1
		.amdhsa_user_sgpr_dispatch_ptr 0
		.amdhsa_user_sgpr_queue_ptr 0
		.amdhsa_user_sgpr_kernarg_segment_ptr 1
		.amdhsa_user_sgpr_dispatch_id 0
		.amdhsa_user_sgpr_flat_scratch_init 0
		.amdhsa_user_sgpr_kernarg_preload_length 0
		.amdhsa_user_sgpr_kernarg_preload_offset 0
		.amdhsa_user_sgpr_private_segment_size 0
		.amdhsa_uses_dynamic_stack 0
		.amdhsa_system_sgpr_private_segment_wavefront_offset 0
		.amdhsa_system_sgpr_workgroup_id_x 1
		.amdhsa_system_sgpr_workgroup_id_y 0
		.amdhsa_system_sgpr_workgroup_id_z 1
		.amdhsa_system_sgpr_workgroup_info 0
		.amdhsa_system_vgpr_workitem_id 1
		.amdhsa_next_free_vgpr 60
		.amdhsa_next_free_sgpr 32
		.amdhsa_accum_offset 60
		.amdhsa_reserve_vcc 1
		.amdhsa_reserve_flat_scratch 0
		.amdhsa_float_round_mode_32 0
		.amdhsa_float_round_mode_16_64 0
		.amdhsa_float_denorm_mode_32 3
		.amdhsa_float_denorm_mode_16_64 3
		.amdhsa_dx10_clamp 1
		.amdhsa_ieee_mode 1
		.amdhsa_fp16_overflow 0
		.amdhsa_tg_split 0
		.amdhsa_exception_fp_ieee_invalid_op 0
		.amdhsa_exception_fp_denorm_src 0
		.amdhsa_exception_fp_ieee_div_zero 0
		.amdhsa_exception_fp_ieee_overflow 0
		.amdhsa_exception_fp_ieee_underflow 0
		.amdhsa_exception_fp_ieee_inexact 0
		.amdhsa_exception_int_div_zero 0
	.end_amdhsa_kernel
	.section	.text._ZL23rocblas_trmm_rTx_kernelILi16ELb0E19rocblas_complex_numIfEPKS1_KS3_KPS1_Ev13rocblas_fill_17rocblas_diagonal_iiT2_lPT3_llSB_llPT4_lli,"axG",@progbits,_ZL23rocblas_trmm_rTx_kernelILi16ELb0E19rocblas_complex_numIfEPKS1_KS3_KPS1_Ev13rocblas_fill_17rocblas_diagonal_iiT2_lPT3_llSB_llPT4_lli,comdat
.Lfunc_end176:
	.size	_ZL23rocblas_trmm_rTx_kernelILi16ELb0E19rocblas_complex_numIfEPKS1_KS3_KPS1_Ev13rocblas_fill_17rocblas_diagonal_iiT2_lPT3_llSB_llPT4_lli, .Lfunc_end176-_ZL23rocblas_trmm_rTx_kernelILi16ELb0E19rocblas_complex_numIfEPKS1_KS3_KPS1_Ev13rocblas_fill_17rocblas_diagonal_iiT2_lPT3_llSB_llPT4_lli
                                        ; -- End function
	.section	.AMDGPU.csdata,"",@progbits
; Kernel info:
; codeLenInByte = 1384
; NumSgprs: 36
; NumVgprs: 60
; NumAgprs: 0
; TotalNumVgprs: 60
; ScratchSize: 0
; MemoryBound: 0
; FloatMode: 240
; IeeeMode: 1
; LDSByteSize: 4096 bytes/workgroup (compile time only)
; SGPRBlocks: 4
; VGPRBlocks: 7
; NumSGPRsForWavesPerEU: 36
; NumVGPRsForWavesPerEU: 60
; AccumOffset: 60
; Occupancy: 8
; WaveLimiterHint : 1
; COMPUTE_PGM_RSRC2:SCRATCH_EN: 0
; COMPUTE_PGM_RSRC2:USER_SGPR: 6
; COMPUTE_PGM_RSRC2:TRAP_HANDLER: 0
; COMPUTE_PGM_RSRC2:TGID_X_EN: 1
; COMPUTE_PGM_RSRC2:TGID_Y_EN: 0
; COMPUTE_PGM_RSRC2:TGID_Z_EN: 1
; COMPUTE_PGM_RSRC2:TIDIG_COMP_CNT: 1
; COMPUTE_PGM_RSRC3_GFX90A:ACCUM_OFFSET: 14
; COMPUTE_PGM_RSRC3_GFX90A:TG_SPLIT: 0
	.section	.text._ZL23rocblas_trmm_rTx_kernelILi16ELb0E19rocblas_complex_numIfES1_KPKS1_KPS1_Ev13rocblas_fill_17rocblas_diagonal_iiT2_lPT3_llSB_llPT4_lli,"axG",@progbits,_ZL23rocblas_trmm_rTx_kernelILi16ELb0E19rocblas_complex_numIfES1_KPKS1_KPS1_Ev13rocblas_fill_17rocblas_diagonal_iiT2_lPT3_llSB_llPT4_lli,comdat
	.globl	_ZL23rocblas_trmm_rTx_kernelILi16ELb0E19rocblas_complex_numIfES1_KPKS1_KPS1_Ev13rocblas_fill_17rocblas_diagonal_iiT2_lPT3_llSB_llPT4_lli ; -- Begin function _ZL23rocblas_trmm_rTx_kernelILi16ELb0E19rocblas_complex_numIfES1_KPKS1_KPS1_Ev13rocblas_fill_17rocblas_diagonal_iiT2_lPT3_llSB_llPT4_lli
	.p2align	8
	.type	_ZL23rocblas_trmm_rTx_kernelILi16ELb0E19rocblas_complex_numIfES1_KPKS1_KPS1_Ev13rocblas_fill_17rocblas_diagonal_iiT2_lPT3_llSB_llPT4_lli,@function
_ZL23rocblas_trmm_rTx_kernelILi16ELb0E19rocblas_complex_numIfES1_KPKS1_KPS1_Ev13rocblas_fill_17rocblas_diagonal_iiT2_lPT3_llSB_llPT4_lli: ; @_ZL23rocblas_trmm_rTx_kernelILi16ELb0E19rocblas_complex_numIfES1_KPKS1_KPS1_Ev13rocblas_fill_17rocblas_diagonal_iiT2_lPT3_llSB_llPT4_lli
; %bb.0:
	s_load_dwordx2 s[2:3], s[4:5], 0x10
	s_mov_b32 s1, 0
	s_waitcnt lgkmcnt(0)
	v_cmp_neq_f32_e64 s[8:9], s2, 0
	v_cmp_neq_f32_e64 s[10:11], s3, 0
	s_or_b64 s[8:9], s[8:9], s[10:11]
	s_andn2_b64 vcc, exec, s[8:9]
	s_cbranch_vccnz .LBB177_15
; %bb.1:
	s_load_dwordx16 s[8:23], s[4:5], 0x20
	s_load_dwordx4 s[24:27], s[4:5], 0x0
	s_mov_b32 s0, s7
	s_lshl_b64 s[30:31], s[0:1], 3
	v_and_b32_e32 v3, 0x3ff, v0
	s_waitcnt lgkmcnt(0)
	s_add_u32 s14, s14, s30
	s_addc_u32 s15, s15, s31
	s_load_dwordx2 s[28:29], s[14:15], 0x0
	s_add_u32 s14, s20, s30
	s_addc_u32 s15, s21, s31
	s_load_dwordx2 s[14:15], s[14:15], 0x0
	v_bfe_u32 v0, v0, 10, 10
	s_mov_b32 s0, s1
	v_lshlrev_b32_e32 v1, 4, v0
	v_pk_mov_b32 v[4:5], s[0:1], s[0:1] op_sel:[0,1]
	v_cmp_gt_i32_e32 vcc, s27, v0
	v_cmp_gt_i32_e64 s[0:1], s27, v3
	v_add_lshl_u32 v2, v1, v3, 3
	s_and_b64 s[0:1], vcc, s[0:1]
	v_lshlrev_b32_e32 v1, 3, v3
	ds_write2st64_b64 v2, v[4:5], v[4:5] offset1:4
	s_and_saveexec_b64 s[20:21], s[0:1]
	s_cbranch_execz .LBB177_3
; %bb.2:
	s_add_u32 s0, s8, s30
	s_addc_u32 s1, s9, s31
	s_load_dwordx2 s[0:1], s[0:1], 0x0
	v_mad_u64_u32 v[4:5], s[8:9], v0, s10, 0
	s_lshl_b64 s[8:9], s[12:13], 3
	v_mov_b32_e32 v6, v5
	s_waitcnt lgkmcnt(0)
	s_add_u32 s7, s0, s8
	s_addc_u32 s8, s1, s9
	v_mad_u64_u32 v[6:7], s[0:1], v0, s11, v[6:7]
	v_mov_b32_e32 v5, v6
	v_lshlrev_b64 v[4:5], 3, v[4:5]
	v_mov_b32_e32 v6, s8
	v_add_co_u32_e64 v4, s[0:1], s7, v4
	v_addc_co_u32_e64 v5, s[0:1], v6, v5, s[0:1]
	v_add_co_u32_e64 v4, s[0:1], v4, v1
	v_addc_co_u32_e64 v5, s[0:1], 0, v5, s[0:1]
	global_load_dwordx2 v[4:5], v[4:5], off
	s_waitcnt vmcnt(0)
	ds_write_b64 v2, v[4:5]
.LBB177_3:
	s_or_b64 exec, exec, s[20:21]
	s_add_i32 s0, s26, -1
	s_ashr_i32 s1, s0, 31
	s_lshr_b32 s1, s1, 28
	s_add_i32 s0, s0, s1
	s_ashr_i32 s1, s0, 4
	s_and_b32 s0, s0, -16
	s_sub_i32 s0, s26, s0
	s_cmp_ge_i32 s6, s1
	s_cselect_b32 s0, s0, 16
	s_lshl_b32 s6, s6, 4
	v_cmp_gt_i32_e64 s[0:1], s0, v3
	s_ashr_i32 s7, s6, 31
	s_and_b64 s[0:1], vcc, s[0:1]
	s_and_saveexec_b64 s[8:9], s[0:1]
	s_cbranch_execz .LBB177_5
; %bb.4:
	s_lshl_b64 s[10:11], s[18:19], 3
	s_waitcnt lgkmcnt(0)
	s_add_u32 s12, s28, s10
	s_addc_u32 s13, s29, s11
	s_lshl_b64 s[10:11], s[6:7], 3
	s_add_u32 s12, s12, s10
	s_addc_u32 s13, s13, s11
	v_mad_u64_u32 v[4:5], s[10:11], v0, s16, 0
	v_mov_b32_e32 v6, v5
	v_mad_u64_u32 v[6:7], s[10:11], v0, s17, v[6:7]
	v_mov_b32_e32 v5, v6
	v_lshlrev_b64 v[4:5], 3, v[4:5]
	v_mov_b32_e32 v6, s13
	v_add_co_u32_e32 v4, vcc, s12, v4
	v_addc_co_u32_e32 v5, vcc, v6, v5, vcc
	v_add_co_u32_e32 v4, vcc, v4, v1
	v_addc_co_u32_e32 v5, vcc, 0, v5, vcc
	global_load_dwordx2 v[4:5], v[4:5], off
	v_add_u32_e32 v6, 0x800, v2
	s_waitcnt vmcnt(0)
	ds_write_b64 v6, v[4:5]
.LBB177_5:
	s_or_b64 exec, exec, s[8:9]
	s_cmpk_eq_i32 s25, 0x84
	s_cselect_b64 s[8:9], -1, 0
	v_cmp_eq_u32_e32 vcc, v0, v3
	s_and_b64 s[10:11], vcc, s[8:9]
	s_and_saveexec_b64 s[8:9], s[10:11]
	s_cbranch_execz .LBB177_7
; %bb.6:
	v_mov_b32_e32 v4, 1.0
	v_mov_b32_e32 v5, 0
	ds_write_b64 v2, v[4:5]
.LBB177_7:
	s_or_b64 exec, exec, s[8:9]
	s_cmpk_lg_i32 s24, 0x79
	s_cbranch_scc0 .LBB177_9
; %bb.8:
	v_cmp_lt_u32_e32 vcc, v3, v0
	s_and_b64 s[8:9], vcc, exec
	s_cbranch_execz .LBB177_10
	s_branch .LBB177_11
.LBB177_9:
	s_mov_b64 s[8:9], 0
.LBB177_10:
	v_cmp_gt_u32_e32 vcc, v3, v0
	s_andn2_b64 s[8:9], s[8:9], exec
	s_and_b64 s[10:11], vcc, exec
	s_or_b64 s[8:9], s[8:9], s[10:11]
.LBB177_11:
	s_and_saveexec_b64 s[10:11], s[8:9]
	s_cbranch_execz .LBB177_13
; %bb.12:
	v_mov_b32_e32 v4, 0
	v_mov_b32_e32 v5, v4
	ds_write_b64 v2, v[4:5]
.LBB177_13:
	s_or_b64 exec, exec, s[10:11]
	s_waitcnt lgkmcnt(0)
	s_barrier
	s_and_saveexec_b64 s[8:9], s[0:1]
	s_cbranch_execz .LBB177_15
; %bb.14:
	v_lshlrev_b32_e32 v54, 3, v0
	v_add_u32_e32 v55, 0x800, v1
	ds_read2_b64 v[2:5], v54 offset1:16
	ds_read2_b64 v[6:9], v55 offset1:16
	ds_read2_b64 v[10:13], v54 offset0:32 offset1:48
	ds_read2_b64 v[14:17], v55 offset0:32 offset1:48
	s_load_dwordx2 s[0:1], s[4:5], 0x60
	s_waitcnt lgkmcnt(0)
	v_mul_f32_e32 v18, v2, v7
	v_fmac_f32_e32 v18, v3, v6
	v_mul_f32_e32 v19, v4, v9
	v_add_f32_e32 v18, 0, v18
	v_fmac_f32_e32 v19, v5, v8
	v_mul_f32_e32 v27, v10, v15
	v_add_f32_e32 v26, v18, v19
	v_fmac_f32_e32 v27, v11, v14
	ds_read2_b64 v[18:21], v54 offset0:64 offset1:80
	ds_read2_b64 v[22:25], v55 offset0:64 offset1:80
	v_add_f32_e32 v26, v26, v27
	v_mul_f32_e32 v27, v12, v17
	v_fmac_f32_e32 v27, v13, v16
	v_add_f32_e32 v34, v26, v27
	ds_read2_b64 v[26:29], v54 offset0:96 offset1:112
	ds_read2_b64 v[30:33], v55 offset0:96 offset1:112
	s_waitcnt lgkmcnt(2)
	v_mul_f32_e32 v35, v18, v23
	v_fmac_f32_e32 v35, v19, v22
	v_add_f32_e32 v34, v34, v35
	v_mul_f32_e32 v35, v20, v25
	v_fmac_f32_e32 v35, v21, v24
	s_waitcnt lgkmcnt(0)
	v_mul_f32_e32 v43, v26, v31
	v_add_f32_e32 v42, v34, v35
	v_fmac_f32_e32 v43, v27, v30
	ds_read2_b64 v[34:37], v54 offset0:128 offset1:144
	ds_read2_b64 v[38:41], v55 offset0:128 offset1:144
	v_add_f32_e32 v42, v42, v43
	v_mul_f32_e32 v43, v28, v33
	v_fmac_f32_e32 v43, v29, v32
	v_add_f32_e32 v50, v42, v43
	ds_read2_b64 v[42:45], v54 offset0:160 offset1:176
	ds_read2_b64 v[46:49], v55 offset0:160 offset1:176
	s_waitcnt lgkmcnt(2)
	v_mul_f32_e32 v51, v34, v39
	v_fmac_f32_e32 v51, v35, v38
	v_add_f32_e32 v50, v50, v51
	v_mul_f32_e32 v51, v36, v41
	v_fmac_f32_e32 v51, v37, v40
	s_waitcnt lgkmcnt(0)
	v_mul_f32_e32 v57, v42, v47
	v_mul_f32_e32 v3, v3, v7
	v_add_f32_e32 v56, v50, v51
	v_fmac_f32_e32 v57, v43, v46
	v_fma_f32 v58, v2, v6, -v3
	v_mul_f32_e32 v2, v5, v9
	v_mul_f32_e32 v7, v44, v49
	ds_read2_b64 v[50:53], v54 offset0:192 offset1:208
	v_fma_f32 v59, v4, v8, -v2
	ds_read2_b64 v[2:5], v55 offset0:192 offset1:208
	v_add_f32_e32 v6, v56, v57
	v_fmac_f32_e32 v7, v45, v48
	v_add_f32_e32 v56, v6, v7
	v_mul_f32_e32 v6, v11, v15
	v_fma_f32 v14, v10, v14, -v6
	v_mul_f32_e32 v6, v13, v17
	v_fma_f32 v15, v12, v16, -v6
	ds_read2_b64 v[6:9], v54 offset0:224 offset1:240
	ds_read2_b64 v[10:13], v55 offset0:224 offset1:240
	s_waitcnt lgkmcnt(2)
	v_mul_f32_e32 v57, v50, v3
	v_fmac_f32_e32 v57, v51, v2
	v_mul_f32_e32 v17, v52, v5
	v_add_f32_e32 v16, v56, v57
	v_fmac_f32_e32 v17, v53, v4
	v_add_f32_e32 v16, v16, v17
	s_waitcnt lgkmcnt(0)
	v_mul_f32_e32 v17, v6, v11
	v_fmac_f32_e32 v17, v7, v10
	v_add_f32_e32 v16, v16, v17
	v_mul_f32_e32 v17, v8, v13
	v_fmac_f32_e32 v17, v9, v12
	v_add_f32_e32 v16, v16, v17
	v_add_f32_e32 v17, 0, v58
	;; [unrolled: 1-line block ×5, first 2 shown]
	v_mul_f32_e32 v15, v19, v23
	v_fma_f32 v15, v18, v22, -v15
	v_add_f32_e32 v14, v14, v15
	v_mul_f32_e32 v15, v21, v25
	v_fma_f32 v15, v20, v24, -v15
	v_add_f32_e32 v14, v14, v15
	;; [unrolled: 3-line block ×7, first 2 shown]
	v_mul_f32_e32 v15, v45, v49
	v_fma_f32 v15, v44, v48, -v15
	v_mul_f32_e32 v3, v51, v3
	v_add_f32_e32 v14, v14, v15
	v_fma_f32 v2, v50, v2, -v3
	v_mul_f32_e32 v3, v53, v5
	v_add_f32_e32 v2, v14, v2
	v_fma_f32 v3, v52, v4, -v3
	v_add_f32_e32 v2, v2, v3
	v_mul_f32_e32 v3, v7, v11
	v_fma_f32 v3, v6, v10, -v3
	v_add_f32_e32 v2, v2, v3
	v_mul_f32_e32 v3, v9, v13
	v_fma_f32 v3, v8, v12, -v3
	v_add_f32_e32 v2, v2, v3
	v_mul_f32_e32 v3, s2, v16
	v_mul_f32_e32 v4, s3, v16
	s_lshl_b64 s[0:1], s[0:1], 3
	v_fmac_f32_e32 v3, s3, v2
	v_fma_f32 v2, s2, v2, -v4
	v_mad_u64_u32 v[4:5], s[2:3], v0, s22, 0
	s_add_u32 s4, s14, s0
	v_mov_b32_e32 v6, v5
	s_addc_u32 s5, s15, s1
	s_lshl_b64 s[0:1], s[6:7], 3
	v_mad_u64_u32 v[6:7], s[2:3], v0, s23, v[6:7]
	s_add_u32 s0, s4, s0
	v_mov_b32_e32 v5, v6
	s_addc_u32 s1, s5, s1
	v_lshlrev_b64 v[4:5], 3, v[4:5]
	v_mov_b32_e32 v0, s1
	v_add_co_u32_e32 v4, vcc, s0, v4
	v_addc_co_u32_e32 v5, vcc, v0, v5, vcc
	v_add_co_u32_e32 v0, vcc, v4, v1
	v_addc_co_u32_e32 v1, vcc, 0, v5, vcc
	global_store_dwordx2 v[0:1], v[2:3], off
.LBB177_15:
	s_endpgm
	.section	.rodata,"a",@progbits
	.p2align	6, 0x0
	.amdhsa_kernel _ZL23rocblas_trmm_rTx_kernelILi16ELb0E19rocblas_complex_numIfES1_KPKS1_KPS1_Ev13rocblas_fill_17rocblas_diagonal_iiT2_lPT3_llSB_llPT4_lli
		.amdhsa_group_segment_fixed_size 4096
		.amdhsa_private_segment_fixed_size 0
		.amdhsa_kernarg_size 108
		.amdhsa_user_sgpr_count 6
		.amdhsa_user_sgpr_private_segment_buffer 1
		.amdhsa_user_sgpr_dispatch_ptr 0
		.amdhsa_user_sgpr_queue_ptr 0
		.amdhsa_user_sgpr_kernarg_segment_ptr 1
		.amdhsa_user_sgpr_dispatch_id 0
		.amdhsa_user_sgpr_flat_scratch_init 0
		.amdhsa_user_sgpr_kernarg_preload_length 0
		.amdhsa_user_sgpr_kernarg_preload_offset 0
		.amdhsa_user_sgpr_private_segment_size 0
		.amdhsa_uses_dynamic_stack 0
		.amdhsa_system_sgpr_private_segment_wavefront_offset 0
		.amdhsa_system_sgpr_workgroup_id_x 1
		.amdhsa_system_sgpr_workgroup_id_y 0
		.amdhsa_system_sgpr_workgroup_id_z 1
		.amdhsa_system_sgpr_workgroup_info 0
		.amdhsa_system_vgpr_workitem_id 1
		.amdhsa_next_free_vgpr 60
		.amdhsa_next_free_sgpr 32
		.amdhsa_accum_offset 60
		.amdhsa_reserve_vcc 1
		.amdhsa_reserve_flat_scratch 0
		.amdhsa_float_round_mode_32 0
		.amdhsa_float_round_mode_16_64 0
		.amdhsa_float_denorm_mode_32 3
		.amdhsa_float_denorm_mode_16_64 3
		.amdhsa_dx10_clamp 1
		.amdhsa_ieee_mode 1
		.amdhsa_fp16_overflow 0
		.amdhsa_tg_split 0
		.amdhsa_exception_fp_ieee_invalid_op 0
		.amdhsa_exception_fp_denorm_src 0
		.amdhsa_exception_fp_ieee_div_zero 0
		.amdhsa_exception_fp_ieee_overflow 0
		.amdhsa_exception_fp_ieee_underflow 0
		.amdhsa_exception_fp_ieee_inexact 0
		.amdhsa_exception_int_div_zero 0
	.end_amdhsa_kernel
	.section	.text._ZL23rocblas_trmm_rTx_kernelILi16ELb0E19rocblas_complex_numIfES1_KPKS1_KPS1_Ev13rocblas_fill_17rocblas_diagonal_iiT2_lPT3_llSB_llPT4_lli,"axG",@progbits,_ZL23rocblas_trmm_rTx_kernelILi16ELb0E19rocblas_complex_numIfES1_KPKS1_KPS1_Ev13rocblas_fill_17rocblas_diagonal_iiT2_lPT3_llSB_llPT4_lli,comdat
.Lfunc_end177:
	.size	_ZL23rocblas_trmm_rTx_kernelILi16ELb0E19rocblas_complex_numIfES1_KPKS1_KPS1_Ev13rocblas_fill_17rocblas_diagonal_iiT2_lPT3_llSB_llPT4_lli, .Lfunc_end177-_ZL23rocblas_trmm_rTx_kernelILi16ELb0E19rocblas_complex_numIfES1_KPKS1_KPS1_Ev13rocblas_fill_17rocblas_diagonal_iiT2_lPT3_llSB_llPT4_lli
                                        ; -- End function
	.section	.AMDGPU.csdata,"",@progbits
; Kernel info:
; codeLenInByte = 1344
; NumSgprs: 36
; NumVgprs: 60
; NumAgprs: 0
; TotalNumVgprs: 60
; ScratchSize: 0
; MemoryBound: 0
; FloatMode: 240
; IeeeMode: 1
; LDSByteSize: 4096 bytes/workgroup (compile time only)
; SGPRBlocks: 4
; VGPRBlocks: 7
; NumSGPRsForWavesPerEU: 36
; NumVGPRsForWavesPerEU: 60
; AccumOffset: 60
; Occupancy: 8
; WaveLimiterHint : 1
; COMPUTE_PGM_RSRC2:SCRATCH_EN: 0
; COMPUTE_PGM_RSRC2:USER_SGPR: 6
; COMPUTE_PGM_RSRC2:TRAP_HANDLER: 0
; COMPUTE_PGM_RSRC2:TGID_X_EN: 1
; COMPUTE_PGM_RSRC2:TGID_Y_EN: 0
; COMPUTE_PGM_RSRC2:TGID_Z_EN: 1
; COMPUTE_PGM_RSRC2:TIDIG_COMP_CNT: 1
; COMPUTE_PGM_RSRC3_GFX90A:ACCUM_OFFSET: 14
; COMPUTE_PGM_RSRC3_GFX90A:TG_SPLIT: 0
	.section	.text._ZL23rocblas_trmm_rTx_kernelILi16ELb1E19rocblas_complex_numIfEPKS1_KS3_KPS1_Ev13rocblas_fill_17rocblas_diagonal_iiT2_lPT3_llSB_llPT4_lli,"axG",@progbits,_ZL23rocblas_trmm_rTx_kernelILi16ELb1E19rocblas_complex_numIfEPKS1_KS3_KPS1_Ev13rocblas_fill_17rocblas_diagonal_iiT2_lPT3_llSB_llPT4_lli,comdat
	.globl	_ZL23rocblas_trmm_rTx_kernelILi16ELb1E19rocblas_complex_numIfEPKS1_KS3_KPS1_Ev13rocblas_fill_17rocblas_diagonal_iiT2_lPT3_llSB_llPT4_lli ; -- Begin function _ZL23rocblas_trmm_rTx_kernelILi16ELb1E19rocblas_complex_numIfEPKS1_KS3_KPS1_Ev13rocblas_fill_17rocblas_diagonal_iiT2_lPT3_llSB_llPT4_lli
	.p2align	8
	.type	_ZL23rocblas_trmm_rTx_kernelILi16ELb1E19rocblas_complex_numIfEPKS1_KS3_KPS1_Ev13rocblas_fill_17rocblas_diagonal_iiT2_lPT3_llSB_llPT4_lli,@function
_ZL23rocblas_trmm_rTx_kernelILi16ELb1E19rocblas_complex_numIfEPKS1_KS3_KPS1_Ev13rocblas_fill_17rocblas_diagonal_iiT2_lPT3_llSB_llPT4_lli: ; @_ZL23rocblas_trmm_rTx_kernelILi16ELb1E19rocblas_complex_numIfEPKS1_KS3_KPS1_Ev13rocblas_fill_17rocblas_diagonal_iiT2_lPT3_llSB_llPT4_lli
; %bb.0:
	s_load_dwordx16 s[8:23], s[4:5], 0x10
	s_mov_b32 s29, 0
	s_waitcnt lgkmcnt(0)
	s_mul_i32 s0, s7, s11
	s_mul_hi_u32 s1, s7, s10
	s_add_i32 s1, s1, s0
	s_mul_i32 s0, s7, s10
	s_lshl_b64 s[0:1], s[0:1], 3
	s_add_u32 s0, s8, s0
	s_addc_u32 s1, s9, s1
	s_load_dwordx2 s[24:25], s[0:1], 0x0
	s_waitcnt lgkmcnt(0)
	v_cmp_neq_f32_e64 s[0:1], s24, 0
	v_cmp_neq_f32_e64 s[2:3], s25, 0
	s_or_b64 s[0:1], s[0:1], s[2:3]
	s_andn2_b64 vcc, exec, s[0:1]
	s_cbranch_vccnz .LBB178_15
; %bb.1:
	s_load_dwordx4 s[8:11], s[4:5], 0x0
	s_load_dwordx4 s[0:3], s[4:5], 0x50
	s_mov_b32 s28, s7
	s_lshl_b64 s[30:31], s[28:29], 3
	s_add_u32 s18, s18, s30
	s_addc_u32 s19, s19, s31
	s_waitcnt lgkmcnt(0)
	s_add_u32 s0, s0, s30
	s_addc_u32 s1, s1, s31
	s_load_dwordx2 s[26:27], s[18:19], 0x0
	v_and_b32_e32 v3, 0x3ff, v0
	s_load_dwordx2 s[18:19], s[0:1], 0x0
	v_bfe_u32 v0, v0, 10, 10
	v_lshlrev_b32_e32 v1, 4, v0
	s_mov_b32 s28, s29
	v_cmp_gt_i32_e32 vcc, s11, v0
	v_cmp_gt_i32_e64 s[0:1], s11, v3
	v_add_lshl_u32 v2, v1, v3, 3
	v_pk_mov_b32 v[4:5], s[28:29], s[28:29] op_sel:[0,1]
	s_and_b64 s[0:1], vcc, s[0:1]
	v_lshlrev_b32_e32 v1, 3, v3
	ds_write2st64_b64 v2, v[4:5], v[4:5] offset1:4
	s_and_saveexec_b64 s[28:29], s[0:1]
	s_cbranch_execz .LBB178_3
; %bb.2:
	s_add_u32 s0, s12, s30
	s_addc_u32 s1, s13, s31
	s_load_dwordx2 s[0:1], s[0:1], 0x0
	v_mad_u64_u32 v[4:5], s[12:13], v0, s14, 0
	s_lshl_b64 s[12:13], s[16:17], 3
	v_mov_b32_e32 v6, v5
	s_waitcnt lgkmcnt(0)
	s_add_u32 s7, s0, s12
	s_addc_u32 s11, s1, s13
	v_mad_u64_u32 v[6:7], s[0:1], v0, s15, v[6:7]
	v_mov_b32_e32 v5, v6
	v_lshlrev_b64 v[4:5], 3, v[4:5]
	v_mov_b32_e32 v6, s11
	v_add_co_u32_e64 v4, s[0:1], s7, v4
	v_addc_co_u32_e64 v5, s[0:1], v6, v5, s[0:1]
	v_add_co_u32_e64 v4, s[0:1], v4, v1
	v_addc_co_u32_e64 v5, s[0:1], 0, v5, s[0:1]
	global_load_dwordx2 v[4:5], v[4:5], off
	s_waitcnt vmcnt(0)
	v_xor_b32_e32 v5, 0x80000000, v5
	ds_write_b64 v2, v[4:5]
.LBB178_3:
	s_or_b64 exec, exec, s[28:29]
	s_add_i32 s0, s10, -1
	s_ashr_i32 s1, s0, 31
	s_lshr_b32 s1, s1, 28
	s_add_i32 s0, s0, s1
	s_ashr_i32 s1, s0, 4
	s_and_b32 s0, s0, -16
	s_sub_i32 s0, s10, s0
	s_cmp_ge_i32 s6, s1
	s_cselect_b32 s0, s0, 16
	s_lshl_b32 s6, s6, 4
	v_cmp_gt_i32_e64 s[0:1], s0, v3
	s_ashr_i32 s7, s6, 31
	s_and_b64 s[0:1], vcc, s[0:1]
	s_and_saveexec_b64 s[10:11], s[0:1]
	s_cbranch_execz .LBB178_5
; %bb.4:
	s_lshl_b64 s[12:13], s[22:23], 3
	s_waitcnt lgkmcnt(0)
	s_add_u32 s14, s26, s12
	s_addc_u32 s15, s27, s13
	s_lshl_b64 s[12:13], s[6:7], 3
	s_add_u32 s14, s14, s12
	s_addc_u32 s15, s15, s13
	v_mad_u64_u32 v[4:5], s[12:13], v0, s20, 0
	v_mov_b32_e32 v6, v5
	v_mad_u64_u32 v[6:7], s[12:13], v0, s21, v[6:7]
	v_mov_b32_e32 v5, v6
	v_lshlrev_b64 v[4:5], 3, v[4:5]
	v_mov_b32_e32 v6, s15
	v_add_co_u32_e32 v4, vcc, s14, v4
	v_addc_co_u32_e32 v5, vcc, v6, v5, vcc
	v_add_co_u32_e32 v4, vcc, v4, v1
	v_addc_co_u32_e32 v5, vcc, 0, v5, vcc
	global_load_dwordx2 v[4:5], v[4:5], off
	v_add_u32_e32 v6, 0x800, v2
	s_waitcnt vmcnt(0)
	ds_write_b64 v6, v[4:5]
.LBB178_5:
	s_or_b64 exec, exec, s[10:11]
	s_cmpk_eq_i32 s9, 0x84
	s_cselect_b64 s[10:11], -1, 0
	v_cmp_eq_u32_e32 vcc, v0, v3
	s_and_b64 s[12:13], vcc, s[10:11]
	s_and_saveexec_b64 s[10:11], s[12:13]
	s_cbranch_execz .LBB178_7
; %bb.6:
	v_mov_b32_e32 v4, 1.0
	v_mov_b32_e32 v5, 0
	ds_write_b64 v2, v[4:5]
.LBB178_7:
	s_or_b64 exec, exec, s[10:11]
	s_cmpk_lg_i32 s8, 0x79
	s_cbranch_scc0 .LBB178_9
; %bb.8:
	v_cmp_lt_u32_e32 vcc, v3, v0
	s_and_b64 s[8:9], vcc, exec
	s_cbranch_execz .LBB178_10
	s_branch .LBB178_11
.LBB178_9:
	s_mov_b64 s[8:9], 0
.LBB178_10:
	v_cmp_gt_u32_e32 vcc, v3, v0
	s_andn2_b64 s[8:9], s[8:9], exec
	s_and_b64 s[10:11], vcc, exec
	s_or_b64 s[8:9], s[8:9], s[10:11]
.LBB178_11:
	s_and_saveexec_b64 s[10:11], s[8:9]
	s_cbranch_execz .LBB178_13
; %bb.12:
	v_mov_b32_e32 v4, 0
	v_mov_b32_e32 v5, v4
	ds_write_b64 v2, v[4:5]
.LBB178_13:
	s_or_b64 exec, exec, s[10:11]
	s_waitcnt lgkmcnt(0)
	s_barrier
	s_and_saveexec_b64 s[8:9], s[0:1]
	s_cbranch_execz .LBB178_15
; %bb.14:
	v_lshlrev_b32_e32 v54, 3, v0
	v_add_u32_e32 v55, 0x800, v1
	ds_read2_b64 v[2:5], v54 offset1:16
	ds_read2_b64 v[6:9], v55 offset1:16
	ds_read2_b64 v[10:13], v54 offset0:32 offset1:48
	ds_read2_b64 v[14:17], v55 offset0:32 offset1:48
	s_load_dwordx2 s[0:1], s[4:5], 0x60
	s_waitcnt lgkmcnt(0)
	v_mul_f32_e32 v18, v2, v7
	v_fmac_f32_e32 v18, v3, v6
	v_mul_f32_e32 v19, v4, v9
	v_add_f32_e32 v18, 0, v18
	v_fmac_f32_e32 v19, v5, v8
	v_mul_f32_e32 v27, v10, v15
	v_add_f32_e32 v26, v18, v19
	v_fmac_f32_e32 v27, v11, v14
	ds_read2_b64 v[18:21], v54 offset0:64 offset1:80
	ds_read2_b64 v[22:25], v55 offset0:64 offset1:80
	v_add_f32_e32 v26, v26, v27
	v_mul_f32_e32 v27, v12, v17
	v_fmac_f32_e32 v27, v13, v16
	v_add_f32_e32 v34, v26, v27
	ds_read2_b64 v[26:29], v54 offset0:96 offset1:112
	ds_read2_b64 v[30:33], v55 offset0:96 offset1:112
	s_waitcnt lgkmcnt(2)
	v_mul_f32_e32 v35, v18, v23
	v_fmac_f32_e32 v35, v19, v22
	v_add_f32_e32 v34, v34, v35
	v_mul_f32_e32 v35, v20, v25
	v_fmac_f32_e32 v35, v21, v24
	s_waitcnt lgkmcnt(0)
	v_mul_f32_e32 v43, v26, v31
	v_add_f32_e32 v42, v34, v35
	v_fmac_f32_e32 v43, v27, v30
	ds_read2_b64 v[34:37], v54 offset0:128 offset1:144
	ds_read2_b64 v[38:41], v55 offset0:128 offset1:144
	v_add_f32_e32 v42, v42, v43
	v_mul_f32_e32 v43, v28, v33
	v_fmac_f32_e32 v43, v29, v32
	v_add_f32_e32 v50, v42, v43
	ds_read2_b64 v[42:45], v54 offset0:160 offset1:176
	ds_read2_b64 v[46:49], v55 offset0:160 offset1:176
	s_waitcnt lgkmcnt(2)
	v_mul_f32_e32 v51, v34, v39
	v_fmac_f32_e32 v51, v35, v38
	v_add_f32_e32 v50, v50, v51
	v_mul_f32_e32 v51, v36, v41
	v_fmac_f32_e32 v51, v37, v40
	s_waitcnt lgkmcnt(0)
	v_mul_f32_e32 v57, v42, v47
	v_mul_f32_e32 v3, v3, v7
	v_add_f32_e32 v56, v50, v51
	v_fmac_f32_e32 v57, v43, v46
	v_fma_f32 v58, v2, v6, -v3
	v_mul_f32_e32 v2, v5, v9
	v_mul_f32_e32 v7, v44, v49
	ds_read2_b64 v[50:53], v54 offset0:192 offset1:208
	v_fma_f32 v59, v4, v8, -v2
	ds_read2_b64 v[2:5], v55 offset0:192 offset1:208
	v_add_f32_e32 v6, v56, v57
	v_fmac_f32_e32 v7, v45, v48
	v_add_f32_e32 v56, v6, v7
	v_mul_f32_e32 v6, v11, v15
	v_fma_f32 v14, v10, v14, -v6
	v_mul_f32_e32 v6, v13, v17
	v_fma_f32 v15, v12, v16, -v6
	ds_read2_b64 v[6:9], v54 offset0:224 offset1:240
	ds_read2_b64 v[10:13], v55 offset0:224 offset1:240
	s_waitcnt lgkmcnt(2)
	v_mul_f32_e32 v57, v50, v3
	v_fmac_f32_e32 v57, v51, v2
	v_mul_f32_e32 v17, v52, v5
	v_add_f32_e32 v16, v56, v57
	v_fmac_f32_e32 v17, v53, v4
	v_add_f32_e32 v16, v16, v17
	s_waitcnt lgkmcnt(0)
	v_mul_f32_e32 v17, v6, v11
	v_fmac_f32_e32 v17, v7, v10
	v_add_f32_e32 v16, v16, v17
	v_mul_f32_e32 v17, v8, v13
	v_fmac_f32_e32 v17, v9, v12
	v_add_f32_e32 v16, v16, v17
	v_add_f32_e32 v17, 0, v58
	;; [unrolled: 1-line block ×5, first 2 shown]
	v_mul_f32_e32 v15, v19, v23
	v_fma_f32 v15, v18, v22, -v15
	v_add_f32_e32 v14, v14, v15
	v_mul_f32_e32 v15, v21, v25
	v_fma_f32 v15, v20, v24, -v15
	v_add_f32_e32 v14, v14, v15
	v_mul_f32_e32 v15, v27, v31
	v_fma_f32 v15, v26, v30, -v15
	v_add_f32_e32 v14, v14, v15
	v_mul_f32_e32 v15, v29, v33
	v_fma_f32 v15, v28, v32, -v15
	v_add_f32_e32 v14, v14, v15
	v_mul_f32_e32 v15, v35, v39
	v_fma_f32 v15, v34, v38, -v15
	v_add_f32_e32 v14, v14, v15
	v_mul_f32_e32 v15, v37, v41
	v_fma_f32 v15, v36, v40, -v15
	v_add_f32_e32 v14, v14, v15
	v_mul_f32_e32 v15, v43, v47
	v_fma_f32 v15, v42, v46, -v15
	v_add_f32_e32 v14, v14, v15
	v_mul_f32_e32 v15, v45, v49
	v_fma_f32 v15, v44, v48, -v15
	v_mul_f32_e32 v3, v51, v3
	v_add_f32_e32 v14, v14, v15
	v_fma_f32 v2, v50, v2, -v3
	v_mul_f32_e32 v3, v53, v5
	v_add_f32_e32 v2, v14, v2
	v_fma_f32 v3, v52, v4, -v3
	v_add_f32_e32 v2, v2, v3
	v_mul_f32_e32 v3, v7, v11
	s_lshl_b64 s[0:1], s[0:1], 3
	v_fma_f32 v3, v6, v10, -v3
	s_add_u32 s4, s18, s0
	v_add_f32_e32 v2, v2, v3
	v_mul_f32_e32 v3, v9, v13
	s_addc_u32 s5, s19, s1
	s_lshl_b64 s[0:1], s[6:7], 3
	v_fma_f32 v3, v8, v12, -v3
	s_add_u32 s0, s4, s0
	v_add_f32_e32 v2, v2, v3
	v_mul_f32_e32 v3, s24, v16
	v_mul_f32_e32 v4, s25, v16
	s_addc_u32 s1, s5, s1
	v_fmac_f32_e32 v3, s25, v2
	v_fma_f32 v2, s24, v2, -v4
	v_mad_u64_u32 v[4:5], s[4:5], v0, s2, 0
	v_mov_b32_e32 v6, v5
	v_mad_u64_u32 v[6:7], s[2:3], v0, s3, v[6:7]
	v_mov_b32_e32 v5, v6
	v_lshlrev_b64 v[4:5], 3, v[4:5]
	v_mov_b32_e32 v0, s1
	v_add_co_u32_e32 v4, vcc, s0, v4
	v_addc_co_u32_e32 v5, vcc, v0, v5, vcc
	v_add_co_u32_e32 v0, vcc, v4, v1
	v_addc_co_u32_e32 v1, vcc, 0, v5, vcc
	global_store_dwordx2 v[0:1], v[2:3], off
.LBB178_15:
	s_endpgm
	.section	.rodata,"a",@progbits
	.p2align	6, 0x0
	.amdhsa_kernel _ZL23rocblas_trmm_rTx_kernelILi16ELb1E19rocblas_complex_numIfEPKS1_KS3_KPS1_Ev13rocblas_fill_17rocblas_diagonal_iiT2_lPT3_llSB_llPT4_lli
		.amdhsa_group_segment_fixed_size 4096
		.amdhsa_private_segment_fixed_size 0
		.amdhsa_kernarg_size 108
		.amdhsa_user_sgpr_count 6
		.amdhsa_user_sgpr_private_segment_buffer 1
		.amdhsa_user_sgpr_dispatch_ptr 0
		.amdhsa_user_sgpr_queue_ptr 0
		.amdhsa_user_sgpr_kernarg_segment_ptr 1
		.amdhsa_user_sgpr_dispatch_id 0
		.amdhsa_user_sgpr_flat_scratch_init 0
		.amdhsa_user_sgpr_kernarg_preload_length 0
		.amdhsa_user_sgpr_kernarg_preload_offset 0
		.amdhsa_user_sgpr_private_segment_size 0
		.amdhsa_uses_dynamic_stack 0
		.amdhsa_system_sgpr_private_segment_wavefront_offset 0
		.amdhsa_system_sgpr_workgroup_id_x 1
		.amdhsa_system_sgpr_workgroup_id_y 0
		.amdhsa_system_sgpr_workgroup_id_z 1
		.amdhsa_system_sgpr_workgroup_info 0
		.amdhsa_system_vgpr_workitem_id 1
		.amdhsa_next_free_vgpr 60
		.amdhsa_next_free_sgpr 32
		.amdhsa_accum_offset 60
		.amdhsa_reserve_vcc 1
		.amdhsa_reserve_flat_scratch 0
		.amdhsa_float_round_mode_32 0
		.amdhsa_float_round_mode_16_64 0
		.amdhsa_float_denorm_mode_32 3
		.amdhsa_float_denorm_mode_16_64 3
		.amdhsa_dx10_clamp 1
		.amdhsa_ieee_mode 1
		.amdhsa_fp16_overflow 0
		.amdhsa_tg_split 0
		.amdhsa_exception_fp_ieee_invalid_op 0
		.amdhsa_exception_fp_denorm_src 0
		.amdhsa_exception_fp_ieee_div_zero 0
		.amdhsa_exception_fp_ieee_overflow 0
		.amdhsa_exception_fp_ieee_underflow 0
		.amdhsa_exception_fp_ieee_inexact 0
		.amdhsa_exception_int_div_zero 0
	.end_amdhsa_kernel
	.section	.text._ZL23rocblas_trmm_rTx_kernelILi16ELb1E19rocblas_complex_numIfEPKS1_KS3_KPS1_Ev13rocblas_fill_17rocblas_diagonal_iiT2_lPT3_llSB_llPT4_lli,"axG",@progbits,_ZL23rocblas_trmm_rTx_kernelILi16ELb1E19rocblas_complex_numIfEPKS1_KS3_KPS1_Ev13rocblas_fill_17rocblas_diagonal_iiT2_lPT3_llSB_llPT4_lli,comdat
.Lfunc_end178:
	.size	_ZL23rocblas_trmm_rTx_kernelILi16ELb1E19rocblas_complex_numIfEPKS1_KS3_KPS1_Ev13rocblas_fill_17rocblas_diagonal_iiT2_lPT3_llSB_llPT4_lli, .Lfunc_end178-_ZL23rocblas_trmm_rTx_kernelILi16ELb1E19rocblas_complex_numIfEPKS1_KS3_KPS1_Ev13rocblas_fill_17rocblas_diagonal_iiT2_lPT3_llSB_llPT4_lli
                                        ; -- End function
	.section	.AMDGPU.csdata,"",@progbits
; Kernel info:
; codeLenInByte = 1392
; NumSgprs: 36
; NumVgprs: 60
; NumAgprs: 0
; TotalNumVgprs: 60
; ScratchSize: 0
; MemoryBound: 0
; FloatMode: 240
; IeeeMode: 1
; LDSByteSize: 4096 bytes/workgroup (compile time only)
; SGPRBlocks: 4
; VGPRBlocks: 7
; NumSGPRsForWavesPerEU: 36
; NumVGPRsForWavesPerEU: 60
; AccumOffset: 60
; Occupancy: 8
; WaveLimiterHint : 1
; COMPUTE_PGM_RSRC2:SCRATCH_EN: 0
; COMPUTE_PGM_RSRC2:USER_SGPR: 6
; COMPUTE_PGM_RSRC2:TRAP_HANDLER: 0
; COMPUTE_PGM_RSRC2:TGID_X_EN: 1
; COMPUTE_PGM_RSRC2:TGID_Y_EN: 0
; COMPUTE_PGM_RSRC2:TGID_Z_EN: 1
; COMPUTE_PGM_RSRC2:TIDIG_COMP_CNT: 1
; COMPUTE_PGM_RSRC3_GFX90A:ACCUM_OFFSET: 14
; COMPUTE_PGM_RSRC3_GFX90A:TG_SPLIT: 0
	.section	.text._ZL23rocblas_trmm_rTx_kernelILi16ELb1E19rocblas_complex_numIfES1_KPKS1_KPS1_Ev13rocblas_fill_17rocblas_diagonal_iiT2_lPT3_llSB_llPT4_lli,"axG",@progbits,_ZL23rocblas_trmm_rTx_kernelILi16ELb1E19rocblas_complex_numIfES1_KPKS1_KPS1_Ev13rocblas_fill_17rocblas_diagonal_iiT2_lPT3_llSB_llPT4_lli,comdat
	.globl	_ZL23rocblas_trmm_rTx_kernelILi16ELb1E19rocblas_complex_numIfES1_KPKS1_KPS1_Ev13rocblas_fill_17rocblas_diagonal_iiT2_lPT3_llSB_llPT4_lli ; -- Begin function _ZL23rocblas_trmm_rTx_kernelILi16ELb1E19rocblas_complex_numIfES1_KPKS1_KPS1_Ev13rocblas_fill_17rocblas_diagonal_iiT2_lPT3_llSB_llPT4_lli
	.p2align	8
	.type	_ZL23rocblas_trmm_rTx_kernelILi16ELb1E19rocblas_complex_numIfES1_KPKS1_KPS1_Ev13rocblas_fill_17rocblas_diagonal_iiT2_lPT3_llSB_llPT4_lli,@function
_ZL23rocblas_trmm_rTx_kernelILi16ELb1E19rocblas_complex_numIfES1_KPKS1_KPS1_Ev13rocblas_fill_17rocblas_diagonal_iiT2_lPT3_llSB_llPT4_lli: ; @_ZL23rocblas_trmm_rTx_kernelILi16ELb1E19rocblas_complex_numIfES1_KPKS1_KPS1_Ev13rocblas_fill_17rocblas_diagonal_iiT2_lPT3_llSB_llPT4_lli
; %bb.0:
	s_load_dwordx2 s[2:3], s[4:5], 0x10
	s_mov_b32 s1, 0
	s_waitcnt lgkmcnt(0)
	v_cmp_neq_f32_e64 s[8:9], s2, 0
	v_cmp_neq_f32_e64 s[10:11], s3, 0
	s_or_b64 s[8:9], s[8:9], s[10:11]
	s_andn2_b64 vcc, exec, s[8:9]
	s_cbranch_vccnz .LBB179_15
; %bb.1:
	s_load_dwordx16 s[8:23], s[4:5], 0x20
	s_load_dwordx4 s[24:27], s[4:5], 0x0
	s_mov_b32 s0, s7
	s_lshl_b64 s[30:31], s[0:1], 3
	v_and_b32_e32 v3, 0x3ff, v0
	s_waitcnt lgkmcnt(0)
	s_add_u32 s14, s14, s30
	s_addc_u32 s15, s15, s31
	s_load_dwordx2 s[28:29], s[14:15], 0x0
	s_add_u32 s14, s20, s30
	s_addc_u32 s15, s21, s31
	s_load_dwordx2 s[14:15], s[14:15], 0x0
	v_bfe_u32 v0, v0, 10, 10
	s_mov_b32 s0, s1
	v_lshlrev_b32_e32 v1, 4, v0
	v_pk_mov_b32 v[4:5], s[0:1], s[0:1] op_sel:[0,1]
	v_cmp_gt_i32_e32 vcc, s27, v0
	v_cmp_gt_i32_e64 s[0:1], s27, v3
	v_add_lshl_u32 v2, v1, v3, 3
	s_and_b64 s[0:1], vcc, s[0:1]
	v_lshlrev_b32_e32 v1, 3, v3
	ds_write2st64_b64 v2, v[4:5], v[4:5] offset1:4
	s_and_saveexec_b64 s[20:21], s[0:1]
	s_cbranch_execz .LBB179_3
; %bb.2:
	s_add_u32 s0, s8, s30
	s_addc_u32 s1, s9, s31
	s_load_dwordx2 s[0:1], s[0:1], 0x0
	v_mad_u64_u32 v[4:5], s[8:9], v0, s10, 0
	s_lshl_b64 s[8:9], s[12:13], 3
	v_mov_b32_e32 v6, v5
	s_waitcnt lgkmcnt(0)
	s_add_u32 s7, s0, s8
	s_addc_u32 s8, s1, s9
	v_mad_u64_u32 v[6:7], s[0:1], v0, s11, v[6:7]
	v_mov_b32_e32 v5, v6
	v_lshlrev_b64 v[4:5], 3, v[4:5]
	v_mov_b32_e32 v6, s8
	v_add_co_u32_e64 v4, s[0:1], s7, v4
	v_addc_co_u32_e64 v5, s[0:1], v6, v5, s[0:1]
	v_add_co_u32_e64 v4, s[0:1], v4, v1
	v_addc_co_u32_e64 v5, s[0:1], 0, v5, s[0:1]
	global_load_dwordx2 v[4:5], v[4:5], off
	s_waitcnt vmcnt(0)
	v_xor_b32_e32 v5, 0x80000000, v5
	ds_write_b64 v2, v[4:5]
.LBB179_3:
	s_or_b64 exec, exec, s[20:21]
	s_add_i32 s0, s26, -1
	s_ashr_i32 s1, s0, 31
	s_lshr_b32 s1, s1, 28
	s_add_i32 s0, s0, s1
	s_ashr_i32 s1, s0, 4
	s_and_b32 s0, s0, -16
	s_sub_i32 s0, s26, s0
	s_cmp_ge_i32 s6, s1
	s_cselect_b32 s0, s0, 16
	s_lshl_b32 s6, s6, 4
	v_cmp_gt_i32_e64 s[0:1], s0, v3
	s_ashr_i32 s7, s6, 31
	s_and_b64 s[0:1], vcc, s[0:1]
	s_and_saveexec_b64 s[8:9], s[0:1]
	s_cbranch_execz .LBB179_5
; %bb.4:
	s_lshl_b64 s[10:11], s[18:19], 3
	s_waitcnt lgkmcnt(0)
	s_add_u32 s12, s28, s10
	s_addc_u32 s13, s29, s11
	s_lshl_b64 s[10:11], s[6:7], 3
	s_add_u32 s12, s12, s10
	s_addc_u32 s13, s13, s11
	v_mad_u64_u32 v[4:5], s[10:11], v0, s16, 0
	v_mov_b32_e32 v6, v5
	v_mad_u64_u32 v[6:7], s[10:11], v0, s17, v[6:7]
	v_mov_b32_e32 v5, v6
	v_lshlrev_b64 v[4:5], 3, v[4:5]
	v_mov_b32_e32 v6, s13
	v_add_co_u32_e32 v4, vcc, s12, v4
	v_addc_co_u32_e32 v5, vcc, v6, v5, vcc
	v_add_co_u32_e32 v4, vcc, v4, v1
	v_addc_co_u32_e32 v5, vcc, 0, v5, vcc
	global_load_dwordx2 v[4:5], v[4:5], off
	v_add_u32_e32 v6, 0x800, v2
	s_waitcnt vmcnt(0)
	ds_write_b64 v6, v[4:5]
.LBB179_5:
	s_or_b64 exec, exec, s[8:9]
	s_cmpk_eq_i32 s25, 0x84
	s_cselect_b64 s[8:9], -1, 0
	v_cmp_eq_u32_e32 vcc, v0, v3
	s_and_b64 s[10:11], vcc, s[8:9]
	s_and_saveexec_b64 s[8:9], s[10:11]
	s_cbranch_execz .LBB179_7
; %bb.6:
	v_mov_b32_e32 v4, 1.0
	v_mov_b32_e32 v5, 0
	ds_write_b64 v2, v[4:5]
.LBB179_7:
	s_or_b64 exec, exec, s[8:9]
	s_cmpk_lg_i32 s24, 0x79
	s_cbranch_scc0 .LBB179_9
; %bb.8:
	v_cmp_lt_u32_e32 vcc, v3, v0
	s_and_b64 s[8:9], vcc, exec
	s_cbranch_execz .LBB179_10
	s_branch .LBB179_11
.LBB179_9:
	s_mov_b64 s[8:9], 0
.LBB179_10:
	v_cmp_gt_u32_e32 vcc, v3, v0
	s_andn2_b64 s[8:9], s[8:9], exec
	s_and_b64 s[10:11], vcc, exec
	s_or_b64 s[8:9], s[8:9], s[10:11]
.LBB179_11:
	s_and_saveexec_b64 s[10:11], s[8:9]
	s_cbranch_execz .LBB179_13
; %bb.12:
	v_mov_b32_e32 v4, 0
	v_mov_b32_e32 v5, v4
	ds_write_b64 v2, v[4:5]
.LBB179_13:
	s_or_b64 exec, exec, s[10:11]
	s_waitcnt lgkmcnt(0)
	s_barrier
	s_and_saveexec_b64 s[8:9], s[0:1]
	s_cbranch_execz .LBB179_15
; %bb.14:
	v_lshlrev_b32_e32 v54, 3, v0
	v_add_u32_e32 v55, 0x800, v1
	ds_read2_b64 v[2:5], v54 offset1:16
	ds_read2_b64 v[6:9], v55 offset1:16
	ds_read2_b64 v[10:13], v54 offset0:32 offset1:48
	ds_read2_b64 v[14:17], v55 offset0:32 offset1:48
	s_load_dwordx2 s[0:1], s[4:5], 0x60
	s_waitcnt lgkmcnt(0)
	v_mul_f32_e32 v18, v2, v7
	v_fmac_f32_e32 v18, v3, v6
	v_mul_f32_e32 v19, v4, v9
	v_add_f32_e32 v18, 0, v18
	v_fmac_f32_e32 v19, v5, v8
	v_mul_f32_e32 v27, v10, v15
	v_add_f32_e32 v26, v18, v19
	v_fmac_f32_e32 v27, v11, v14
	ds_read2_b64 v[18:21], v54 offset0:64 offset1:80
	ds_read2_b64 v[22:25], v55 offset0:64 offset1:80
	v_add_f32_e32 v26, v26, v27
	v_mul_f32_e32 v27, v12, v17
	v_fmac_f32_e32 v27, v13, v16
	v_add_f32_e32 v34, v26, v27
	ds_read2_b64 v[26:29], v54 offset0:96 offset1:112
	ds_read2_b64 v[30:33], v55 offset0:96 offset1:112
	s_waitcnt lgkmcnt(2)
	v_mul_f32_e32 v35, v18, v23
	v_fmac_f32_e32 v35, v19, v22
	v_add_f32_e32 v34, v34, v35
	v_mul_f32_e32 v35, v20, v25
	v_fmac_f32_e32 v35, v21, v24
	s_waitcnt lgkmcnt(0)
	v_mul_f32_e32 v43, v26, v31
	v_add_f32_e32 v42, v34, v35
	v_fmac_f32_e32 v43, v27, v30
	ds_read2_b64 v[34:37], v54 offset0:128 offset1:144
	ds_read2_b64 v[38:41], v55 offset0:128 offset1:144
	v_add_f32_e32 v42, v42, v43
	v_mul_f32_e32 v43, v28, v33
	v_fmac_f32_e32 v43, v29, v32
	v_add_f32_e32 v50, v42, v43
	ds_read2_b64 v[42:45], v54 offset0:160 offset1:176
	ds_read2_b64 v[46:49], v55 offset0:160 offset1:176
	s_waitcnt lgkmcnt(2)
	v_mul_f32_e32 v51, v34, v39
	v_fmac_f32_e32 v51, v35, v38
	v_add_f32_e32 v50, v50, v51
	v_mul_f32_e32 v51, v36, v41
	v_fmac_f32_e32 v51, v37, v40
	s_waitcnt lgkmcnt(0)
	v_mul_f32_e32 v57, v42, v47
	v_mul_f32_e32 v3, v3, v7
	v_add_f32_e32 v56, v50, v51
	v_fmac_f32_e32 v57, v43, v46
	v_fma_f32 v58, v2, v6, -v3
	v_mul_f32_e32 v2, v5, v9
	v_mul_f32_e32 v7, v44, v49
	ds_read2_b64 v[50:53], v54 offset0:192 offset1:208
	v_fma_f32 v59, v4, v8, -v2
	ds_read2_b64 v[2:5], v55 offset0:192 offset1:208
	v_add_f32_e32 v6, v56, v57
	v_fmac_f32_e32 v7, v45, v48
	v_add_f32_e32 v56, v6, v7
	v_mul_f32_e32 v6, v11, v15
	v_fma_f32 v14, v10, v14, -v6
	v_mul_f32_e32 v6, v13, v17
	v_fma_f32 v15, v12, v16, -v6
	ds_read2_b64 v[6:9], v54 offset0:224 offset1:240
	ds_read2_b64 v[10:13], v55 offset0:224 offset1:240
	s_waitcnt lgkmcnt(2)
	v_mul_f32_e32 v57, v50, v3
	v_fmac_f32_e32 v57, v51, v2
	v_mul_f32_e32 v17, v52, v5
	v_add_f32_e32 v16, v56, v57
	v_fmac_f32_e32 v17, v53, v4
	v_add_f32_e32 v16, v16, v17
	s_waitcnt lgkmcnt(0)
	v_mul_f32_e32 v17, v6, v11
	v_fmac_f32_e32 v17, v7, v10
	v_add_f32_e32 v16, v16, v17
	v_mul_f32_e32 v17, v8, v13
	v_fmac_f32_e32 v17, v9, v12
	v_add_f32_e32 v16, v16, v17
	v_add_f32_e32 v17, 0, v58
	;; [unrolled: 1-line block ×5, first 2 shown]
	v_mul_f32_e32 v15, v19, v23
	v_fma_f32 v15, v18, v22, -v15
	v_add_f32_e32 v14, v14, v15
	v_mul_f32_e32 v15, v21, v25
	v_fma_f32 v15, v20, v24, -v15
	v_add_f32_e32 v14, v14, v15
	;; [unrolled: 3-line block ×7, first 2 shown]
	v_mul_f32_e32 v15, v45, v49
	v_fma_f32 v15, v44, v48, -v15
	v_mul_f32_e32 v3, v51, v3
	v_add_f32_e32 v14, v14, v15
	v_fma_f32 v2, v50, v2, -v3
	v_mul_f32_e32 v3, v53, v5
	v_add_f32_e32 v2, v14, v2
	v_fma_f32 v3, v52, v4, -v3
	v_add_f32_e32 v2, v2, v3
	v_mul_f32_e32 v3, v7, v11
	v_fma_f32 v3, v6, v10, -v3
	v_add_f32_e32 v2, v2, v3
	v_mul_f32_e32 v3, v9, v13
	v_fma_f32 v3, v8, v12, -v3
	v_add_f32_e32 v2, v2, v3
	v_mul_f32_e32 v3, s2, v16
	v_mul_f32_e32 v4, s3, v16
	s_lshl_b64 s[0:1], s[0:1], 3
	v_fmac_f32_e32 v3, s3, v2
	v_fma_f32 v2, s2, v2, -v4
	v_mad_u64_u32 v[4:5], s[2:3], v0, s22, 0
	s_add_u32 s4, s14, s0
	v_mov_b32_e32 v6, v5
	s_addc_u32 s5, s15, s1
	s_lshl_b64 s[0:1], s[6:7], 3
	v_mad_u64_u32 v[6:7], s[2:3], v0, s23, v[6:7]
	s_add_u32 s0, s4, s0
	v_mov_b32_e32 v5, v6
	s_addc_u32 s1, s5, s1
	v_lshlrev_b64 v[4:5], 3, v[4:5]
	v_mov_b32_e32 v0, s1
	v_add_co_u32_e32 v4, vcc, s0, v4
	v_addc_co_u32_e32 v5, vcc, v0, v5, vcc
	v_add_co_u32_e32 v0, vcc, v4, v1
	v_addc_co_u32_e32 v1, vcc, 0, v5, vcc
	global_store_dwordx2 v[0:1], v[2:3], off
.LBB179_15:
	s_endpgm
	.section	.rodata,"a",@progbits
	.p2align	6, 0x0
	.amdhsa_kernel _ZL23rocblas_trmm_rTx_kernelILi16ELb1E19rocblas_complex_numIfES1_KPKS1_KPS1_Ev13rocblas_fill_17rocblas_diagonal_iiT2_lPT3_llSB_llPT4_lli
		.amdhsa_group_segment_fixed_size 4096
		.amdhsa_private_segment_fixed_size 0
		.amdhsa_kernarg_size 108
		.amdhsa_user_sgpr_count 6
		.amdhsa_user_sgpr_private_segment_buffer 1
		.amdhsa_user_sgpr_dispatch_ptr 0
		.amdhsa_user_sgpr_queue_ptr 0
		.amdhsa_user_sgpr_kernarg_segment_ptr 1
		.amdhsa_user_sgpr_dispatch_id 0
		.amdhsa_user_sgpr_flat_scratch_init 0
		.amdhsa_user_sgpr_kernarg_preload_length 0
		.amdhsa_user_sgpr_kernarg_preload_offset 0
		.amdhsa_user_sgpr_private_segment_size 0
		.amdhsa_uses_dynamic_stack 0
		.amdhsa_system_sgpr_private_segment_wavefront_offset 0
		.amdhsa_system_sgpr_workgroup_id_x 1
		.amdhsa_system_sgpr_workgroup_id_y 0
		.amdhsa_system_sgpr_workgroup_id_z 1
		.amdhsa_system_sgpr_workgroup_info 0
		.amdhsa_system_vgpr_workitem_id 1
		.amdhsa_next_free_vgpr 60
		.amdhsa_next_free_sgpr 32
		.amdhsa_accum_offset 60
		.amdhsa_reserve_vcc 1
		.amdhsa_reserve_flat_scratch 0
		.amdhsa_float_round_mode_32 0
		.amdhsa_float_round_mode_16_64 0
		.amdhsa_float_denorm_mode_32 3
		.amdhsa_float_denorm_mode_16_64 3
		.amdhsa_dx10_clamp 1
		.amdhsa_ieee_mode 1
		.amdhsa_fp16_overflow 0
		.amdhsa_tg_split 0
		.amdhsa_exception_fp_ieee_invalid_op 0
		.amdhsa_exception_fp_denorm_src 0
		.amdhsa_exception_fp_ieee_div_zero 0
		.amdhsa_exception_fp_ieee_overflow 0
		.amdhsa_exception_fp_ieee_underflow 0
		.amdhsa_exception_fp_ieee_inexact 0
		.amdhsa_exception_int_div_zero 0
	.end_amdhsa_kernel
	.section	.text._ZL23rocblas_trmm_rTx_kernelILi16ELb1E19rocblas_complex_numIfES1_KPKS1_KPS1_Ev13rocblas_fill_17rocblas_diagonal_iiT2_lPT3_llSB_llPT4_lli,"axG",@progbits,_ZL23rocblas_trmm_rTx_kernelILi16ELb1E19rocblas_complex_numIfES1_KPKS1_KPS1_Ev13rocblas_fill_17rocblas_diagonal_iiT2_lPT3_llSB_llPT4_lli,comdat
.Lfunc_end179:
	.size	_ZL23rocblas_trmm_rTx_kernelILi16ELb1E19rocblas_complex_numIfES1_KPKS1_KPS1_Ev13rocblas_fill_17rocblas_diagonal_iiT2_lPT3_llSB_llPT4_lli, .Lfunc_end179-_ZL23rocblas_trmm_rTx_kernelILi16ELb1E19rocblas_complex_numIfES1_KPKS1_KPS1_Ev13rocblas_fill_17rocblas_diagonal_iiT2_lPT3_llSB_llPT4_lli
                                        ; -- End function
	.section	.AMDGPU.csdata,"",@progbits
; Kernel info:
; codeLenInByte = 1352
; NumSgprs: 36
; NumVgprs: 60
; NumAgprs: 0
; TotalNumVgprs: 60
; ScratchSize: 0
; MemoryBound: 0
; FloatMode: 240
; IeeeMode: 1
; LDSByteSize: 4096 bytes/workgroup (compile time only)
; SGPRBlocks: 4
; VGPRBlocks: 7
; NumSGPRsForWavesPerEU: 36
; NumVGPRsForWavesPerEU: 60
; AccumOffset: 60
; Occupancy: 8
; WaveLimiterHint : 1
; COMPUTE_PGM_RSRC2:SCRATCH_EN: 0
; COMPUTE_PGM_RSRC2:USER_SGPR: 6
; COMPUTE_PGM_RSRC2:TRAP_HANDLER: 0
; COMPUTE_PGM_RSRC2:TGID_X_EN: 1
; COMPUTE_PGM_RSRC2:TGID_Y_EN: 0
; COMPUTE_PGM_RSRC2:TGID_Z_EN: 1
; COMPUTE_PGM_RSRC2:TIDIG_COMP_CNT: 1
; COMPUTE_PGM_RSRC3_GFX90A:ACCUM_OFFSET: 14
; COMPUTE_PGM_RSRC3_GFX90A:TG_SPLIT: 0
	.section	.text._ZL23rocblas_trmm_lNx_kernelILi16E19rocblas_complex_numIdEPKS1_KS3_KPS1_Ev13rocblas_fill_17rocblas_diagonal_iiT1_lPT2_llSB_llPT3_lli,"axG",@progbits,_ZL23rocblas_trmm_lNx_kernelILi16E19rocblas_complex_numIdEPKS1_KS3_KPS1_Ev13rocblas_fill_17rocblas_diagonal_iiT1_lPT2_llSB_llPT3_lli,comdat
	.globl	_ZL23rocblas_trmm_lNx_kernelILi16E19rocblas_complex_numIdEPKS1_KS3_KPS1_Ev13rocblas_fill_17rocblas_diagonal_iiT1_lPT2_llSB_llPT3_lli ; -- Begin function _ZL23rocblas_trmm_lNx_kernelILi16E19rocblas_complex_numIdEPKS1_KS3_KPS1_Ev13rocblas_fill_17rocblas_diagonal_iiT1_lPT2_llSB_llPT3_lli
	.p2align	8
	.type	_ZL23rocblas_trmm_lNx_kernelILi16E19rocblas_complex_numIdEPKS1_KS3_KPS1_Ev13rocblas_fill_17rocblas_diagonal_iiT1_lPT2_llSB_llPT3_lli,@function
_ZL23rocblas_trmm_lNx_kernelILi16E19rocblas_complex_numIdEPKS1_KS3_KPS1_Ev13rocblas_fill_17rocblas_diagonal_iiT1_lPT2_llSB_llPT3_lli: ; @_ZL23rocblas_trmm_lNx_kernelILi16E19rocblas_complex_numIdEPKS1_KS3_KPS1_Ev13rocblas_fill_17rocblas_diagonal_iiT1_lPT2_llSB_llPT3_lli
; %bb.0:
	s_load_dwordx16 s[8:23], s[4:5], 0x10
	s_waitcnt lgkmcnt(0)
	s_mul_i32 s0, s7, s11
	s_mul_hi_u32 s1, s7, s10
	s_add_i32 s1, s1, s0
	s_mul_i32 s0, s7, s10
	s_lshl_b64 s[0:1], s[0:1], 4
	s_add_u32 s0, s8, s0
	s_addc_u32 s1, s9, s1
	s_load_dwordx4 s[8:11], s[0:1], 0x0
	s_waitcnt lgkmcnt(0)
	v_cmp_neq_f64_e64 s[0:1], s[8:9], 0
	v_cmp_neq_f64_e64 s[2:3], s[10:11], 0
	s_or_b64 s[0:1], s[0:1], s[2:3]
	s_andn2_b64 vcc, exec, s[0:1]
	s_cbranch_vccnz .LBB180_15
; %bb.1:
	s_load_dwordx4 s[24:27], s[4:5], 0x0
	s_load_dwordx4 s[0:3], s[4:5], 0x50
	s_mov_b32 s28, s7
	s_mov_b32 s29, 0
	s_lshl_b64 s[36:37], s[28:29], 3
	s_add_u32 s18, s18, s36
	s_addc_u32 s19, s19, s37
	s_waitcnt lgkmcnt(0)
	s_add_u32 s0, s0, s36
	s_addc_u32 s1, s1, s37
	s_load_dwordx2 s[34:35], s[18:19], 0x0
	v_and_b32_e32 v2, 0x3ff, v0
	s_load_dwordx2 s[18:19], s[0:1], 0x0
	v_bfe_u32 v48, v0, 10, 10
	s_mov_b32 s28, s29
	v_lshlrev_b32_e32 v0, 4, v48
	s_mov_b32 s30, s29
	s_mov_b32 s31, s29
	v_pk_mov_b32 v[4:5], s[28:29], s[28:29] op_sel:[0,1]
	v_cmp_gt_i32_e64 s[0:1], s26, v48
	v_cmp_gt_i32_e32 vcc, s26, v2
	v_add_lshl_u32 v1, v0, v2, 4
	v_pk_mov_b32 v[6:7], s[30:31], s[30:31] op_sel:[0,1]
	s_and_b64 s[0:1], s[0:1], vcc
	v_lshlrev_b32_e32 v49, 4, v2
	ds_write_b128 v1, v[4:7]
	ds_write_b128 v1, v[4:7] offset:4096
	s_and_saveexec_b64 s[28:29], s[0:1]
	s_cbranch_execz .LBB180_3
; %bb.2:
	s_add_u32 s0, s12, s36
	s_addc_u32 s1, s13, s37
	s_load_dwordx2 s[0:1], s[0:1], 0x0
	v_mad_u64_u32 v[4:5], s[12:13], v48, s14, 0
	s_lshl_b64 s[12:13], s[16:17], 4
	v_mov_b32_e32 v6, v5
	s_waitcnt lgkmcnt(0)
	s_add_u32 s7, s0, s12
	s_addc_u32 s12, s1, s13
	v_mad_u64_u32 v[6:7], s[0:1], v48, s15, v[6:7]
	v_mov_b32_e32 v5, v6
	v_lshlrev_b64 v[4:5], 4, v[4:5]
	v_mov_b32_e32 v3, s12
	v_add_co_u32_e64 v4, s[0:1], s7, v4
	v_addc_co_u32_e64 v3, s[0:1], v3, v5, s[0:1]
	v_add_co_u32_e64 v4, s[0:1], v4, v49
	v_addc_co_u32_e64 v5, s[0:1], 0, v3, s[0:1]
	global_load_dwordx4 v[4:7], v[4:5], off
	s_waitcnt vmcnt(0)
	ds_write2_b64 v1, v[4:5], v[6:7] offset1:1
.LBB180_3:
	s_or_b64 exec, exec, s[28:29]
	s_add_i32 s0, s27, -1
	s_ashr_i32 s1, s0, 31
	s_lshr_b32 s1, s1, 28
	s_add_i32 s0, s0, s1
	s_ashr_i32 s1, s0, 4
	s_and_b32 s0, s0, -16
	s_sub_i32 s0, s27, s0
	s_cmp_ge_i32 s6, s1
	s_cselect_b32 s0, s0, 16
	s_lshl_b32 s14, s6, 4
	v_cmp_gt_i32_e64 s[0:1], s0, v48
	s_ashr_i32 s15, s14, 31
	s_and_b64 s[0:1], vcc, s[0:1]
	s_and_saveexec_b64 s[6:7], s[0:1]
	s_cbranch_execz .LBB180_5
; %bb.4:
	s_lshl_b64 s[12:13], s[22:23], 4
	s_waitcnt lgkmcnt(0)
	s_add_u32 s16, s34, s12
	s_addc_u32 s17, s35, s13
	s_mul_i32 s12, s14, s21
	s_mul_hi_u32 s13, s14, s20
	s_add_i32 s12, s13, s12
	s_mul_i32 s13, s15, s20
	s_add_i32 s13, s12, s13
	s_mul_i32 s12, s14, s20
	s_lshl_b64 s[12:13], s[12:13], 4
	s_add_u32 s16, s16, s12
	s_addc_u32 s17, s17, s13
	v_mad_u64_u32 v[4:5], s[12:13], v48, s20, 0
	v_mov_b32_e32 v6, v5
	v_mad_u64_u32 v[6:7], s[12:13], v48, s21, v[6:7]
	v_mov_b32_e32 v5, v6
	v_lshlrev_b64 v[4:5], 4, v[4:5]
	v_mov_b32_e32 v3, s17
	v_add_co_u32_e32 v4, vcc, s16, v4
	v_addc_co_u32_e32 v3, vcc, v3, v5, vcc
	v_add_co_u32_e32 v4, vcc, v4, v49
	v_addc_co_u32_e32 v5, vcc, 0, v3, vcc
	global_load_dwordx4 v[4:7], v[4:5], off
	v_add_u32_e32 v3, 0x1000, v1
	s_waitcnt vmcnt(0)
	ds_write2_b64 v3, v[4:5], v[6:7] offset1:1
.LBB180_5:
	s_or_b64 exec, exec, s[6:7]
	s_cmpk_eq_i32 s25, 0x84
	s_cselect_b64 s[6:7], -1, 0
	v_cmp_eq_u32_e32 vcc, v48, v2
	s_and_b64 s[12:13], vcc, s[6:7]
	s_and_saveexec_b64 s[6:7], s[12:13]
	s_cbranch_execz .LBB180_7
; %bb.6:
	v_mov_b32_e32 v4, 0
	v_mov_b32_e32 v5, 0x3ff00000
	;; [unrolled: 1-line block ×4, first 2 shown]
	ds_write_b128 v1, v[4:7]
.LBB180_7:
	s_or_b64 exec, exec, s[6:7]
	s_cmpk_lg_i32 s24, 0x79
	s_cbranch_scc0 .LBB180_9
; %bb.8:
	v_cmp_lt_u32_e32 vcc, v2, v48
	s_and_b64 s[6:7], vcc, exec
	s_cbranch_execz .LBB180_10
	s_branch .LBB180_11
.LBB180_9:
	s_mov_b64 s[6:7], 0
.LBB180_10:
	v_cmp_gt_u32_e32 vcc, v2, v48
	s_andn2_b64 s[6:7], s[6:7], exec
	s_and_b64 s[12:13], vcc, exec
	s_or_b64 s[6:7], s[6:7], s[12:13]
.LBB180_11:
	s_and_saveexec_b64 s[12:13], s[6:7]
	s_cbranch_execz .LBB180_13
; %bb.12:
	v_mov_b32_e32 v2, 0
	v_mov_b32_e32 v3, v2
	v_mov_b32_e32 v4, v2
	v_mov_b32_e32 v5, v2
	ds_write_b128 v1, v[2:5]
.LBB180_13:
	s_or_b64 exec, exec, s[12:13]
	s_waitcnt lgkmcnt(0)
	s_barrier
	s_and_saveexec_b64 s[6:7], s[0:1]
	s_cbranch_execz .LBB180_15
; %bb.14:
	v_lshlrev_b32_e32 v74, 4, v0
	ds_read_b128 v[12:15], v49
	ds_read_b128 v[16:19], v74 offset:4096
	ds_read_b128 v[8:11], v74 offset:4112
	;; [unrolled: 1-line block ×5, first 2 shown]
	s_waitcnt lgkmcnt(4)
	v_mul_f64 v[24:25], v[16:17], v[14:15]
	v_fmac_f64_e32 v[24:25], v[18:19], v[12:13]
	v_add_f64 v[32:33], v[24:25], 0
	ds_read_b128 v[24:27], v49 offset:512
	ds_read_b128 v[28:31], v49 offset:768
	s_waitcnt lgkmcnt(2)
	v_mul_f64 v[34:35], v[8:9], v[22:23]
	v_fmac_f64_e32 v[34:35], v[10:11], v[20:21]
	v_add_f64 v[32:33], v[32:33], v[34:35]
	s_waitcnt lgkmcnt(1)
	v_mul_f64 v[34:35], v[4:5], v[26:27]
	v_fmac_f64_e32 v[34:35], v[6:7], v[24:25]
	v_add_f64 v[50:51], v[32:33], v[34:35]
	ds_read_b128 v[32:35], v49 offset:1024
	ds_read_b128 v[36:39], v74 offset:4160
	ds_read_b128 v[40:43], v74 offset:4176
	ds_read_b128 v[44:47], v49 offset:1280
	s_waitcnt lgkmcnt(4)
	v_mul_f64 v[52:53], v[0:1], v[30:31]
	v_fmac_f64_e32 v[52:53], v[2:3], v[28:29]
	v_add_f64 v[50:51], v[50:51], v[52:53]
	s_waitcnt lgkmcnt(2)
	v_mul_f64 v[52:53], v[36:37], v[34:35]
	v_fmac_f64_e32 v[52:53], v[38:39], v[32:33]
	v_add_f64 v[50:51], v[50:51], v[52:53]
	s_waitcnt lgkmcnt(0)
	v_mul_f64 v[52:53], v[40:41], v[46:47]
	v_fmac_f64_e32 v[52:53], v[42:43], v[44:45]
	v_mul_f64 v[14:15], v[18:19], v[14:15]
	v_add_f64 v[54:55], v[50:51], v[52:53]
	ds_read_b128 v[50:53], v49 offset:1536
	v_fma_f64 v[56:57], v[16:17], v[12:13], -v[14:15]
	ds_read_b128 v[12:15], v74 offset:4192
	v_mul_f64 v[10:11], v[10:11], v[22:23]
	v_fma_f64 v[58:59], v[8:9], v[20:21], -v[10:11]
	ds_read_b128 v[8:11], v74 offset:4208
	ds_read_b128 v[16:19], v49 offset:1792
	v_mul_f64 v[6:7], v[6:7], v[26:27]
	v_mul_f64 v[2:3], v[2:3], v[30:31]
	v_fma_f64 v[60:61], v[4:5], v[24:25], -v[6:7]
	ds_read_b128 v[4:7], v49 offset:2048
	v_fma_f64 v[64:65], v[0:1], v[28:29], -v[2:3]
	ds_read_b128 v[0:3], v74 offset:4224
	s_waitcnt lgkmcnt(4)
	v_mul_f64 v[20:21], v[12:13], v[52:53]
	v_fmac_f64_e32 v[20:21], v[14:15], v[50:51]
	s_waitcnt lgkmcnt(2)
	v_mul_f64 v[62:63], v[8:9], v[18:19]
	v_add_f64 v[54:55], v[54:55], v[20:21]
	v_fmac_f64_e32 v[62:63], v[10:11], v[16:17]
	s_waitcnt lgkmcnt(0)
	v_mul_f64 v[30:31], v[0:1], v[6:7]
	v_mul_f64 v[20:21], v[38:39], v[34:35]
	v_add_f64 v[28:29], v[54:55], v[62:63]
	v_fmac_f64_e32 v[30:31], v[2:3], v[4:5]
	v_fma_f64 v[66:67], v[36:37], v[32:33], -v[20:21]
	ds_read_b128 v[20:23], v74 offset:4240
	ds_read_b128 v[24:27], v49 offset:2304
	v_add_f64 v[36:37], v[28:29], v[30:31]
	v_mul_f64 v[28:29], v[42:43], v[46:47]
	v_mul_f64 v[14:15], v[14:15], v[52:53]
	v_fma_f64 v[54:55], v[40:41], v[44:45], -v[28:29]
	v_fma_f64 v[50:51], v[12:13], v[50:51], -v[14:15]
	ds_read_b128 v[12:15], v74 offset:4256
	ds_read_b128 v[28:31], v74 offset:4272
	;; [unrolled: 1-line block ×3, first 2 shown]
	v_mul_f64 v[10:11], v[10:11], v[18:19]
	v_fma_f64 v[52:53], v[8:9], v[16:17], -v[10:11]
	ds_read_b128 v[8:11], v49 offset:2816
	v_mul_f64 v[2:3], v[2:3], v[6:7]
	v_fma_f64 v[62:63], v[0:1], v[4:5], -v[2:3]
	ds_read_b128 v[0:3], v49 offset:3072
	ds_read_b128 v[4:7], v74 offset:4288
	v_add_f64 v[56:57], v[56:57], 0
	s_waitcnt lgkmcnt(6)
	v_mul_f64 v[38:39], v[20:21], v[26:27]
	v_add_f64 v[56:57], v[56:57], v[58:59]
	v_fmac_f64_e32 v[38:39], v[22:23], v[24:25]
	s_waitcnt lgkmcnt(3)
	v_mul_f64 v[18:19], v[12:13], v[34:35]
	v_add_f64 v[56:57], v[56:57], v[60:61]
	v_add_f64 v[16:17], v[36:37], v[38:39]
	v_fmac_f64_e32 v[18:19], v[14:15], v[32:33]
	v_add_f64 v[56:57], v[56:57], v[64:65]
	v_add_f64 v[36:37], v[16:17], v[18:19]
	s_waitcnt lgkmcnt(2)
	v_mul_f64 v[38:39], v[28:29], v[10:11]
	v_mul_f64 v[16:17], v[22:23], v[26:27]
	v_add_f64 v[56:57], v[56:57], v[66:67]
	v_fmac_f64_e32 v[38:39], v[30:31], v[8:9]
	v_fma_f64 v[68:69], v[20:21], v[24:25], -v[16:17]
	ds_read_b128 v[16:19], v74 offset:4304
	ds_read_b128 v[20:23], v49 offset:3328
	s_waitcnt lgkmcnt(2)
	v_mul_f64 v[26:27], v[4:5], v[2:3]
	v_add_f64 v[54:55], v[56:57], v[54:55]
	v_add_f64 v[24:25], v[36:37], v[38:39]
	v_fmac_f64_e32 v[26:27], v[6:7], v[0:1]
	s_load_dwordx2 s[0:1], s[4:5], 0x60
	v_add_f64 v[50:51], v[54:55], v[50:51]
	v_add_f64 v[70:71], v[24:25], v[26:27]
	ds_read_b128 v[24:27], v49 offset:3584
	ds_read_b128 v[36:39], v74 offset:4320
	v_add_f64 v[50:51], v[50:51], v[52:53]
	v_add_f64 v[50:51], v[50:51], v[62:63]
	v_mul_f64 v[14:15], v[14:15], v[34:35]
	ds_read_b128 v[40:43], v74 offset:4336
	ds_read_b128 v[44:47], v49 offset:3840
	v_add_f64 v[50:51], v[50:51], v[68:69]
	v_fma_f64 v[12:13], v[12:13], v[32:33], -v[14:15]
	v_mul_f64 v[10:11], v[30:31], v[10:11]
	s_waitcnt lgkmcnt(0)
	v_mul_f64 v[72:73], v[16:17], v[22:23]
	v_add_f64 v[12:13], v[50:51], v[12:13]
	v_fma_f64 v[8:9], v[28:29], v[8:9], -v[10:11]
	v_mul_f64 v[2:3], v[6:7], v[2:3]
	v_fmac_f64_e32 v[72:73], v[18:19], v[20:21]
	s_lshl_b64 s[0:1], s[0:1], 4
	v_add_f64 v[8:9], v[12:13], v[8:9]
	v_fma_f64 v[0:1], v[4:5], v[0:1], -v[2:3]
	v_mul_f64 v[2:3], v[18:19], v[22:23]
	v_add_f64 v[70:71], v[70:71], v[72:73]
	v_mul_f64 v[72:73], v[36:37], v[26:27]
	s_add_u32 s4, s18, s0
	v_add_f64 v[0:1], v[8:9], v[0:1]
	v_fma_f64 v[2:3], v[16:17], v[20:21], -v[2:3]
	v_fmac_f64_e32 v[72:73], v[38:39], v[24:25]
	s_addc_u32 s5, s19, s1
	s_mul_i32 s0, s14, s3
	s_mul_hi_u32 s1, s14, s2
	v_add_f64 v[0:1], v[0:1], v[2:3]
	v_mul_f64 v[2:3], v[38:39], v[26:27]
	v_add_f64 v[70:71], v[70:71], v[72:73]
	v_mul_f64 v[72:73], v[40:41], v[46:47]
	s_add_i32 s0, s1, s0
	s_mul_i32 s15, s15, s2
	v_fma_f64 v[2:3], v[36:37], v[24:25], -v[2:3]
	v_fmac_f64_e32 v[72:73], v[42:43], v[44:45]
	s_add_i32 s1, s0, s15
	s_mul_i32 s0, s14, s2
	v_add_f64 v[0:1], v[0:1], v[2:3]
	v_mul_f64 v[2:3], v[42:43], v[46:47]
	v_add_f64 v[70:71], v[70:71], v[72:73]
	s_lshl_b64 s[0:1], s[0:1], 4
	v_fma_f64 v[2:3], v[40:41], v[44:45], -v[2:3]
	s_add_u32 s4, s4, s0
	v_add_f64 v[0:1], v[0:1], v[2:3]
	v_mul_f64 v[2:3], s[8:9], v[70:71]
	v_mul_f64 v[4:5], s[10:11], v[70:71]
	s_addc_u32 s5, s5, s1
	v_fmac_f64_e32 v[2:3], s[10:11], v[0:1]
	v_fma_f64 v[0:1], s[8:9], v[0:1], -v[4:5]
	v_mad_u64_u32 v[4:5], s[0:1], v48, s2, 0
	v_mov_b32_e32 v6, v5
	v_mad_u64_u32 v[6:7], s[0:1], v48, s3, v[6:7]
	v_mov_b32_e32 v5, v6
	v_lshlrev_b64 v[4:5], 4, v[4:5]
	v_mov_b32_e32 v6, s5
	v_add_co_u32_e32 v4, vcc, s4, v4
	v_addc_co_u32_e32 v5, vcc, v6, v5, vcc
	v_add_co_u32_e32 v4, vcc, v4, v49
	v_addc_co_u32_e32 v5, vcc, 0, v5, vcc
	global_store_dwordx4 v[4:5], v[0:3], off
.LBB180_15:
	s_endpgm
	.section	.rodata,"a",@progbits
	.p2align	6, 0x0
	.amdhsa_kernel _ZL23rocblas_trmm_lNx_kernelILi16E19rocblas_complex_numIdEPKS1_KS3_KPS1_Ev13rocblas_fill_17rocblas_diagonal_iiT1_lPT2_llSB_llPT3_lli
		.amdhsa_group_segment_fixed_size 8192
		.amdhsa_private_segment_fixed_size 0
		.amdhsa_kernarg_size 108
		.amdhsa_user_sgpr_count 6
		.amdhsa_user_sgpr_private_segment_buffer 1
		.amdhsa_user_sgpr_dispatch_ptr 0
		.amdhsa_user_sgpr_queue_ptr 0
		.amdhsa_user_sgpr_kernarg_segment_ptr 1
		.amdhsa_user_sgpr_dispatch_id 0
		.amdhsa_user_sgpr_flat_scratch_init 0
		.amdhsa_user_sgpr_kernarg_preload_length 0
		.amdhsa_user_sgpr_kernarg_preload_offset 0
		.amdhsa_user_sgpr_private_segment_size 0
		.amdhsa_uses_dynamic_stack 0
		.amdhsa_system_sgpr_private_segment_wavefront_offset 0
		.amdhsa_system_sgpr_workgroup_id_x 1
		.amdhsa_system_sgpr_workgroup_id_y 0
		.amdhsa_system_sgpr_workgroup_id_z 1
		.amdhsa_system_sgpr_workgroup_info 0
		.amdhsa_system_vgpr_workitem_id 1
		.amdhsa_next_free_vgpr 75
		.amdhsa_next_free_sgpr 38
		.amdhsa_accum_offset 76
		.amdhsa_reserve_vcc 1
		.amdhsa_reserve_flat_scratch 0
		.amdhsa_float_round_mode_32 0
		.amdhsa_float_round_mode_16_64 0
		.amdhsa_float_denorm_mode_32 3
		.amdhsa_float_denorm_mode_16_64 3
		.amdhsa_dx10_clamp 1
		.amdhsa_ieee_mode 1
		.amdhsa_fp16_overflow 0
		.amdhsa_tg_split 0
		.amdhsa_exception_fp_ieee_invalid_op 0
		.amdhsa_exception_fp_denorm_src 0
		.amdhsa_exception_fp_ieee_div_zero 0
		.amdhsa_exception_fp_ieee_overflow 0
		.amdhsa_exception_fp_ieee_underflow 0
		.amdhsa_exception_fp_ieee_inexact 0
		.amdhsa_exception_int_div_zero 0
	.end_amdhsa_kernel
	.section	.text._ZL23rocblas_trmm_lNx_kernelILi16E19rocblas_complex_numIdEPKS1_KS3_KPS1_Ev13rocblas_fill_17rocblas_diagonal_iiT1_lPT2_llSB_llPT3_lli,"axG",@progbits,_ZL23rocblas_trmm_lNx_kernelILi16E19rocblas_complex_numIdEPKS1_KS3_KPS1_Ev13rocblas_fill_17rocblas_diagonal_iiT1_lPT2_llSB_llPT3_lli,comdat
.Lfunc_end180:
	.size	_ZL23rocblas_trmm_lNx_kernelILi16E19rocblas_complex_numIdEPKS1_KS3_KPS1_Ev13rocblas_fill_17rocblas_diagonal_iiT1_lPT2_llSB_llPT3_lli, .Lfunc_end180-_ZL23rocblas_trmm_lNx_kernelILi16E19rocblas_complex_numIdEPKS1_KS3_KPS1_Ev13rocblas_fill_17rocblas_diagonal_iiT1_lPT2_llSB_llPT3_lli
                                        ; -- End function
	.section	.AMDGPU.csdata,"",@progbits
; Kernel info:
; codeLenInByte = 1888
; NumSgprs: 42
; NumVgprs: 75
; NumAgprs: 0
; TotalNumVgprs: 75
; ScratchSize: 0
; MemoryBound: 0
; FloatMode: 240
; IeeeMode: 1
; LDSByteSize: 8192 bytes/workgroup (compile time only)
; SGPRBlocks: 5
; VGPRBlocks: 9
; NumSGPRsForWavesPerEU: 42
; NumVGPRsForWavesPerEU: 75
; AccumOffset: 76
; Occupancy: 6
; WaveLimiterHint : 1
; COMPUTE_PGM_RSRC2:SCRATCH_EN: 0
; COMPUTE_PGM_RSRC2:USER_SGPR: 6
; COMPUTE_PGM_RSRC2:TRAP_HANDLER: 0
; COMPUTE_PGM_RSRC2:TGID_X_EN: 1
; COMPUTE_PGM_RSRC2:TGID_Y_EN: 0
; COMPUTE_PGM_RSRC2:TGID_Z_EN: 1
; COMPUTE_PGM_RSRC2:TIDIG_COMP_CNT: 1
; COMPUTE_PGM_RSRC3_GFX90A:ACCUM_OFFSET: 18
; COMPUTE_PGM_RSRC3_GFX90A:TG_SPLIT: 0
	.section	.text._ZL23rocblas_trmm_lNx_kernelILi16E19rocblas_complex_numIdES1_KPKS1_KPS1_Ev13rocblas_fill_17rocblas_diagonal_iiT1_lPT2_llSB_llPT3_lli,"axG",@progbits,_ZL23rocblas_trmm_lNx_kernelILi16E19rocblas_complex_numIdES1_KPKS1_KPS1_Ev13rocblas_fill_17rocblas_diagonal_iiT1_lPT2_llSB_llPT3_lli,comdat
	.globl	_ZL23rocblas_trmm_lNx_kernelILi16E19rocblas_complex_numIdES1_KPKS1_KPS1_Ev13rocblas_fill_17rocblas_diagonal_iiT1_lPT2_llSB_llPT3_lli ; -- Begin function _ZL23rocblas_trmm_lNx_kernelILi16E19rocblas_complex_numIdES1_KPKS1_KPS1_Ev13rocblas_fill_17rocblas_diagonal_iiT1_lPT2_llSB_llPT3_lli
	.p2align	8
	.type	_ZL23rocblas_trmm_lNx_kernelILi16E19rocblas_complex_numIdES1_KPKS1_KPS1_Ev13rocblas_fill_17rocblas_diagonal_iiT1_lPT2_llSB_llPT3_lli,@function
_ZL23rocblas_trmm_lNx_kernelILi16E19rocblas_complex_numIdES1_KPKS1_KPS1_Ev13rocblas_fill_17rocblas_diagonal_iiT1_lPT2_llSB_llPT3_lli: ; @_ZL23rocblas_trmm_lNx_kernelILi16E19rocblas_complex_numIdES1_KPKS1_KPS1_Ev13rocblas_fill_17rocblas_diagonal_iiT1_lPT2_llSB_llPT3_lli
; %bb.0:
	s_load_dwordx4 s[24:27], s[4:5], 0x10
	s_waitcnt lgkmcnt(0)
	v_cmp_neq_f64_e64 s[2:3], s[24:25], 0
	v_cmp_neq_f64_e64 s[8:9], s[26:27], 0
	s_or_b64 s[2:3], s[2:3], s[8:9]
	s_andn2_b64 vcc, exec, s[2:3]
	s_cbranch_vccnz .LBB181_15
; %bb.1:
	s_load_dwordx4 s[28:31], s[4:5], 0x0
	s_load_dwordx16 s[8:23], s[4:5], 0x28
	s_mov_b32 s0, s7
	s_mov_b32 s1, 0
	s_lshl_b64 s[36:37], s[0:1], 3
	v_and_b32_e32 v2, 0x3ff, v0
	s_waitcnt lgkmcnt(0)
	s_add_u32 s2, s14, s36
	s_addc_u32 s3, s15, s37
	s_load_dwordx2 s[34:35], s[2:3], 0x0
	s_add_u32 s2, s20, s36
	s_addc_u32 s3, s21, s37
	s_load_dwordx2 s[14:15], s[2:3], 0x0
	s_mov_b32 s2, s1
	s_mov_b32 s3, s1
	v_bfe_u32 v48, v0, 10, 10
	s_mov_b32 s0, s1
	v_pk_mov_b32 v[6:7], s[2:3], s[2:3] op_sel:[0,1]
	v_lshlrev_b32_e32 v0, 4, v48
	v_pk_mov_b32 v[4:5], s[0:1], s[0:1] op_sel:[0,1]
	v_cmp_gt_i32_e64 s[0:1], s30, v48
	v_cmp_gt_i32_e32 vcc, s30, v2
	v_add_lshl_u32 v1, v0, v2, 4
	s_and_b64 s[0:1], s[0:1], vcc
	v_lshlrev_b32_e32 v49, 4, v2
	ds_write_b128 v1, v[4:7]
	ds_write_b128 v1, v[4:7] offset:4096
	s_and_saveexec_b64 s[2:3], s[0:1]
	s_cbranch_execz .LBB181_3
; %bb.2:
	s_add_u32 s0, s8, s36
	s_addc_u32 s1, s9, s37
	s_load_dwordx2 s[0:1], s[0:1], 0x0
	v_mad_u64_u32 v[4:5], s[8:9], v48, s10, 0
	s_lshl_b64 s[8:9], s[12:13], 4
	v_mov_b32_e32 v6, v5
	s_waitcnt lgkmcnt(0)
	s_add_u32 s7, s0, s8
	s_addc_u32 s8, s1, s9
	v_mad_u64_u32 v[6:7], s[0:1], v48, s11, v[6:7]
	v_mov_b32_e32 v5, v6
	v_lshlrev_b64 v[4:5], 4, v[4:5]
	v_mov_b32_e32 v3, s8
	v_add_co_u32_e64 v4, s[0:1], s7, v4
	v_addc_co_u32_e64 v3, s[0:1], v3, v5, s[0:1]
	v_add_co_u32_e64 v4, s[0:1], v4, v49
	v_addc_co_u32_e64 v5, s[0:1], 0, v3, s[0:1]
	global_load_dwordx4 v[4:7], v[4:5], off
	s_waitcnt vmcnt(0)
	ds_write2_b64 v1, v[4:5], v[6:7] offset1:1
.LBB181_3:
	s_or_b64 exec, exec, s[2:3]
	s_add_i32 s0, s31, -1
	s_ashr_i32 s1, s0, 31
	s_lshr_b32 s1, s1, 28
	s_add_i32 s0, s0, s1
	s_ashr_i32 s1, s0, 4
	s_and_b32 s0, s0, -16
	s_sub_i32 s0, s31, s0
	s_cmp_ge_i32 s6, s1
	s_cselect_b32 s0, s0, 16
	s_lshl_b32 s8, s6, 4
	v_cmp_gt_i32_e64 s[0:1], s0, v48
	s_ashr_i32 s9, s8, 31
	s_and_b64 s[0:1], vcc, s[0:1]
	s_and_saveexec_b64 s[2:3], s[0:1]
	s_cbranch_execz .LBB181_5
; %bb.4:
	s_lshl_b64 s[6:7], s[18:19], 4
	s_waitcnt lgkmcnt(0)
	s_add_u32 s10, s34, s6
	s_addc_u32 s11, s35, s7
	s_mul_i32 s6, s8, s17
	s_mul_hi_u32 s7, s8, s16
	s_add_i32 s6, s7, s6
	s_mul_i32 s7, s9, s16
	s_add_i32 s7, s6, s7
	s_mul_i32 s6, s8, s16
	s_lshl_b64 s[6:7], s[6:7], 4
	s_add_u32 s10, s10, s6
	s_addc_u32 s11, s11, s7
	v_mad_u64_u32 v[4:5], s[6:7], v48, s16, 0
	v_mov_b32_e32 v6, v5
	v_mad_u64_u32 v[6:7], s[6:7], v48, s17, v[6:7]
	v_mov_b32_e32 v5, v6
	v_lshlrev_b64 v[4:5], 4, v[4:5]
	v_mov_b32_e32 v3, s11
	v_add_co_u32_e32 v4, vcc, s10, v4
	v_addc_co_u32_e32 v3, vcc, v3, v5, vcc
	v_add_co_u32_e32 v4, vcc, v4, v49
	v_addc_co_u32_e32 v5, vcc, 0, v3, vcc
	global_load_dwordx4 v[4:7], v[4:5], off
	v_add_u32_e32 v3, 0x1000, v1
	s_waitcnt vmcnt(0)
	ds_write2_b64 v3, v[4:5], v[6:7] offset1:1
.LBB181_5:
	s_or_b64 exec, exec, s[2:3]
	s_cmpk_eq_i32 s29, 0x84
	s_cselect_b64 s[2:3], -1, 0
	v_cmp_eq_u32_e32 vcc, v48, v2
	s_and_b64 s[6:7], vcc, s[2:3]
	s_and_saveexec_b64 s[2:3], s[6:7]
	s_cbranch_execz .LBB181_7
; %bb.6:
	v_mov_b32_e32 v4, 0
	v_mov_b32_e32 v5, 0x3ff00000
	;; [unrolled: 1-line block ×4, first 2 shown]
	ds_write_b128 v1, v[4:7]
.LBB181_7:
	s_or_b64 exec, exec, s[2:3]
	s_cmpk_lg_i32 s28, 0x79
	s_cbranch_scc0 .LBB181_9
; %bb.8:
	v_cmp_lt_u32_e32 vcc, v2, v48
	s_and_b64 s[2:3], vcc, exec
	s_cbranch_execz .LBB181_10
	s_branch .LBB181_11
.LBB181_9:
	s_mov_b64 s[2:3], 0
.LBB181_10:
	v_cmp_gt_u32_e32 vcc, v2, v48
	s_andn2_b64 s[2:3], s[2:3], exec
	s_and_b64 s[6:7], vcc, exec
	s_or_b64 s[2:3], s[2:3], s[6:7]
.LBB181_11:
	s_and_saveexec_b64 s[6:7], s[2:3]
	s_cbranch_execz .LBB181_13
; %bb.12:
	v_mov_b32_e32 v2, 0
	v_mov_b32_e32 v3, v2
	;; [unrolled: 1-line block ×4, first 2 shown]
	ds_write_b128 v1, v[2:5]
.LBB181_13:
	s_or_b64 exec, exec, s[6:7]
	s_waitcnt lgkmcnt(0)
	s_barrier
	s_and_saveexec_b64 s[2:3], s[0:1]
	s_cbranch_execz .LBB181_15
; %bb.14:
	v_lshlrev_b32_e32 v74, 4, v0
	ds_read_b128 v[12:15], v49
	ds_read_b128 v[16:19], v74 offset:4096
	ds_read_b128 v[8:11], v74 offset:4112
	;; [unrolled: 1-line block ×5, first 2 shown]
	s_waitcnt lgkmcnt(4)
	v_mul_f64 v[24:25], v[16:17], v[14:15]
	v_fmac_f64_e32 v[24:25], v[18:19], v[12:13]
	v_add_f64 v[32:33], v[24:25], 0
	ds_read_b128 v[24:27], v49 offset:512
	ds_read_b128 v[28:31], v49 offset:768
	s_waitcnt lgkmcnt(2)
	v_mul_f64 v[34:35], v[8:9], v[22:23]
	v_fmac_f64_e32 v[34:35], v[10:11], v[20:21]
	v_add_f64 v[32:33], v[32:33], v[34:35]
	s_waitcnt lgkmcnt(1)
	v_mul_f64 v[34:35], v[4:5], v[26:27]
	v_fmac_f64_e32 v[34:35], v[6:7], v[24:25]
	v_add_f64 v[50:51], v[32:33], v[34:35]
	ds_read_b128 v[32:35], v49 offset:1024
	ds_read_b128 v[36:39], v74 offset:4160
	ds_read_b128 v[40:43], v74 offset:4176
	ds_read_b128 v[44:47], v49 offset:1280
	s_waitcnt lgkmcnt(4)
	v_mul_f64 v[52:53], v[0:1], v[30:31]
	v_fmac_f64_e32 v[52:53], v[2:3], v[28:29]
	v_add_f64 v[50:51], v[50:51], v[52:53]
	s_waitcnt lgkmcnt(2)
	v_mul_f64 v[52:53], v[36:37], v[34:35]
	v_fmac_f64_e32 v[52:53], v[38:39], v[32:33]
	v_add_f64 v[50:51], v[50:51], v[52:53]
	s_waitcnt lgkmcnt(0)
	v_mul_f64 v[52:53], v[40:41], v[46:47]
	v_fmac_f64_e32 v[52:53], v[42:43], v[44:45]
	v_mul_f64 v[14:15], v[18:19], v[14:15]
	v_add_f64 v[54:55], v[50:51], v[52:53]
	ds_read_b128 v[50:53], v49 offset:1536
	v_fma_f64 v[56:57], v[16:17], v[12:13], -v[14:15]
	ds_read_b128 v[12:15], v74 offset:4192
	v_mul_f64 v[10:11], v[10:11], v[22:23]
	v_fma_f64 v[58:59], v[8:9], v[20:21], -v[10:11]
	ds_read_b128 v[8:11], v74 offset:4208
	ds_read_b128 v[16:19], v49 offset:1792
	v_mul_f64 v[6:7], v[6:7], v[26:27]
	v_mul_f64 v[2:3], v[2:3], v[30:31]
	v_fma_f64 v[60:61], v[4:5], v[24:25], -v[6:7]
	ds_read_b128 v[4:7], v49 offset:2048
	v_fma_f64 v[64:65], v[0:1], v[28:29], -v[2:3]
	ds_read_b128 v[0:3], v74 offset:4224
	s_waitcnt lgkmcnt(4)
	v_mul_f64 v[20:21], v[12:13], v[52:53]
	v_fmac_f64_e32 v[20:21], v[14:15], v[50:51]
	s_waitcnt lgkmcnt(2)
	v_mul_f64 v[62:63], v[8:9], v[18:19]
	v_add_f64 v[54:55], v[54:55], v[20:21]
	v_fmac_f64_e32 v[62:63], v[10:11], v[16:17]
	s_waitcnt lgkmcnt(0)
	v_mul_f64 v[30:31], v[0:1], v[6:7]
	v_mul_f64 v[20:21], v[38:39], v[34:35]
	v_add_f64 v[28:29], v[54:55], v[62:63]
	v_fmac_f64_e32 v[30:31], v[2:3], v[4:5]
	v_fma_f64 v[66:67], v[36:37], v[32:33], -v[20:21]
	ds_read_b128 v[20:23], v74 offset:4240
	ds_read_b128 v[24:27], v49 offset:2304
	v_add_f64 v[36:37], v[28:29], v[30:31]
	v_mul_f64 v[28:29], v[42:43], v[46:47]
	v_mul_f64 v[14:15], v[14:15], v[52:53]
	v_fma_f64 v[54:55], v[40:41], v[44:45], -v[28:29]
	v_fma_f64 v[50:51], v[12:13], v[50:51], -v[14:15]
	ds_read_b128 v[12:15], v74 offset:4256
	ds_read_b128 v[28:31], v74 offset:4272
	;; [unrolled: 1-line block ×3, first 2 shown]
	v_mul_f64 v[10:11], v[10:11], v[18:19]
	v_fma_f64 v[52:53], v[8:9], v[16:17], -v[10:11]
	ds_read_b128 v[8:11], v49 offset:2816
	v_mul_f64 v[2:3], v[2:3], v[6:7]
	v_fma_f64 v[62:63], v[0:1], v[4:5], -v[2:3]
	ds_read_b128 v[0:3], v49 offset:3072
	ds_read_b128 v[4:7], v74 offset:4288
	v_add_f64 v[56:57], v[56:57], 0
	s_waitcnt lgkmcnt(6)
	v_mul_f64 v[38:39], v[20:21], v[26:27]
	v_add_f64 v[56:57], v[56:57], v[58:59]
	v_fmac_f64_e32 v[38:39], v[22:23], v[24:25]
	s_waitcnt lgkmcnt(3)
	v_mul_f64 v[18:19], v[12:13], v[34:35]
	v_add_f64 v[56:57], v[56:57], v[60:61]
	v_add_f64 v[16:17], v[36:37], v[38:39]
	v_fmac_f64_e32 v[18:19], v[14:15], v[32:33]
	v_add_f64 v[56:57], v[56:57], v[64:65]
	v_add_f64 v[36:37], v[16:17], v[18:19]
	s_waitcnt lgkmcnt(2)
	v_mul_f64 v[38:39], v[28:29], v[10:11]
	v_mul_f64 v[16:17], v[22:23], v[26:27]
	v_add_f64 v[56:57], v[56:57], v[66:67]
	v_fmac_f64_e32 v[38:39], v[30:31], v[8:9]
	v_fma_f64 v[68:69], v[20:21], v[24:25], -v[16:17]
	ds_read_b128 v[16:19], v74 offset:4304
	ds_read_b128 v[20:23], v49 offset:3328
	s_waitcnt lgkmcnt(2)
	v_mul_f64 v[26:27], v[4:5], v[2:3]
	v_add_f64 v[54:55], v[56:57], v[54:55]
	v_add_f64 v[24:25], v[36:37], v[38:39]
	v_fmac_f64_e32 v[26:27], v[6:7], v[0:1]
	s_load_dwordx2 s[0:1], s[4:5], 0x68
	v_add_f64 v[50:51], v[54:55], v[50:51]
	v_add_f64 v[70:71], v[24:25], v[26:27]
	ds_read_b128 v[24:27], v49 offset:3584
	ds_read_b128 v[36:39], v74 offset:4320
	v_add_f64 v[50:51], v[50:51], v[52:53]
	v_add_f64 v[50:51], v[50:51], v[62:63]
	v_mul_f64 v[14:15], v[14:15], v[34:35]
	ds_read_b128 v[40:43], v74 offset:4336
	ds_read_b128 v[44:47], v49 offset:3840
	v_add_f64 v[50:51], v[50:51], v[68:69]
	v_fma_f64 v[12:13], v[12:13], v[32:33], -v[14:15]
	v_mul_f64 v[10:11], v[30:31], v[10:11]
	s_waitcnt lgkmcnt(0)
	v_mul_f64 v[72:73], v[16:17], v[22:23]
	v_add_f64 v[12:13], v[50:51], v[12:13]
	v_fma_f64 v[8:9], v[28:29], v[8:9], -v[10:11]
	v_mul_f64 v[2:3], v[6:7], v[2:3]
	v_fmac_f64_e32 v[72:73], v[18:19], v[20:21]
	s_lshl_b64 s[0:1], s[0:1], 4
	v_add_f64 v[8:9], v[12:13], v[8:9]
	v_fma_f64 v[0:1], v[4:5], v[0:1], -v[2:3]
	v_mul_f64 v[2:3], v[18:19], v[22:23]
	v_add_f64 v[70:71], v[70:71], v[72:73]
	v_mul_f64 v[72:73], v[36:37], v[26:27]
	s_add_u32 s2, s14, s0
	v_add_f64 v[0:1], v[8:9], v[0:1]
	v_fma_f64 v[2:3], v[16:17], v[20:21], -v[2:3]
	v_fmac_f64_e32 v[72:73], v[38:39], v[24:25]
	s_addc_u32 s3, s15, s1
	s_mul_i32 s0, s8, s23
	s_mul_hi_u32 s1, s8, s22
	v_add_f64 v[0:1], v[0:1], v[2:3]
	v_mul_f64 v[2:3], v[38:39], v[26:27]
	v_add_f64 v[70:71], v[70:71], v[72:73]
	v_mul_f64 v[72:73], v[40:41], v[46:47]
	s_add_i32 s0, s1, s0
	s_mul_i32 s9, s9, s22
	v_fma_f64 v[2:3], v[36:37], v[24:25], -v[2:3]
	v_fmac_f64_e32 v[72:73], v[42:43], v[44:45]
	s_add_i32 s1, s0, s9
	s_mul_i32 s0, s8, s22
	v_add_f64 v[0:1], v[0:1], v[2:3]
	v_mul_f64 v[2:3], v[42:43], v[46:47]
	v_add_f64 v[70:71], v[70:71], v[72:73]
	s_lshl_b64 s[0:1], s[0:1], 4
	v_fma_f64 v[2:3], v[40:41], v[44:45], -v[2:3]
	s_add_u32 s2, s2, s0
	v_add_f64 v[0:1], v[0:1], v[2:3]
	v_mul_f64 v[2:3], s[24:25], v[70:71]
	v_mul_f64 v[4:5], s[26:27], v[70:71]
	s_addc_u32 s3, s3, s1
	v_fmac_f64_e32 v[2:3], s[26:27], v[0:1]
	v_fma_f64 v[0:1], s[24:25], v[0:1], -v[4:5]
	v_mad_u64_u32 v[4:5], s[0:1], v48, s22, 0
	v_mov_b32_e32 v6, v5
	v_mad_u64_u32 v[6:7], s[0:1], v48, s23, v[6:7]
	v_mov_b32_e32 v5, v6
	v_lshlrev_b64 v[4:5], 4, v[4:5]
	v_mov_b32_e32 v6, s3
	v_add_co_u32_e32 v4, vcc, s2, v4
	v_addc_co_u32_e32 v5, vcc, v6, v5, vcc
	v_add_co_u32_e32 v4, vcc, v4, v49
	v_addc_co_u32_e32 v5, vcc, 0, v5, vcc
	global_store_dwordx4 v[4:5], v[0:3], off
.LBB181_15:
	s_endpgm
	.section	.rodata,"a",@progbits
	.p2align	6, 0x0
	.amdhsa_kernel _ZL23rocblas_trmm_lNx_kernelILi16E19rocblas_complex_numIdES1_KPKS1_KPS1_Ev13rocblas_fill_17rocblas_diagonal_iiT1_lPT2_llSB_llPT3_lli
		.amdhsa_group_segment_fixed_size 8192
		.amdhsa_private_segment_fixed_size 0
		.amdhsa_kernarg_size 116
		.amdhsa_user_sgpr_count 6
		.amdhsa_user_sgpr_private_segment_buffer 1
		.amdhsa_user_sgpr_dispatch_ptr 0
		.amdhsa_user_sgpr_queue_ptr 0
		.amdhsa_user_sgpr_kernarg_segment_ptr 1
		.amdhsa_user_sgpr_dispatch_id 0
		.amdhsa_user_sgpr_flat_scratch_init 0
		.amdhsa_user_sgpr_kernarg_preload_length 0
		.amdhsa_user_sgpr_kernarg_preload_offset 0
		.amdhsa_user_sgpr_private_segment_size 0
		.amdhsa_uses_dynamic_stack 0
		.amdhsa_system_sgpr_private_segment_wavefront_offset 0
		.amdhsa_system_sgpr_workgroup_id_x 1
		.amdhsa_system_sgpr_workgroup_id_y 0
		.amdhsa_system_sgpr_workgroup_id_z 1
		.amdhsa_system_sgpr_workgroup_info 0
		.amdhsa_system_vgpr_workitem_id 1
		.amdhsa_next_free_vgpr 75
		.amdhsa_next_free_sgpr 38
		.amdhsa_accum_offset 76
		.amdhsa_reserve_vcc 1
		.amdhsa_reserve_flat_scratch 0
		.amdhsa_float_round_mode_32 0
		.amdhsa_float_round_mode_16_64 0
		.amdhsa_float_denorm_mode_32 3
		.amdhsa_float_denorm_mode_16_64 3
		.amdhsa_dx10_clamp 1
		.amdhsa_ieee_mode 1
		.amdhsa_fp16_overflow 0
		.amdhsa_tg_split 0
		.amdhsa_exception_fp_ieee_invalid_op 0
		.amdhsa_exception_fp_denorm_src 0
		.amdhsa_exception_fp_ieee_div_zero 0
		.amdhsa_exception_fp_ieee_overflow 0
		.amdhsa_exception_fp_ieee_underflow 0
		.amdhsa_exception_fp_ieee_inexact 0
		.amdhsa_exception_int_div_zero 0
	.end_amdhsa_kernel
	.section	.text._ZL23rocblas_trmm_lNx_kernelILi16E19rocblas_complex_numIdES1_KPKS1_KPS1_Ev13rocblas_fill_17rocblas_diagonal_iiT1_lPT2_llSB_llPT3_lli,"axG",@progbits,_ZL23rocblas_trmm_lNx_kernelILi16E19rocblas_complex_numIdES1_KPKS1_KPS1_Ev13rocblas_fill_17rocblas_diagonal_iiT1_lPT2_llSB_llPT3_lli,comdat
.Lfunc_end181:
	.size	_ZL23rocblas_trmm_lNx_kernelILi16E19rocblas_complex_numIdES1_KPKS1_KPS1_Ev13rocblas_fill_17rocblas_diagonal_iiT1_lPT2_llSB_llPT3_lli, .Lfunc_end181-_ZL23rocblas_trmm_lNx_kernelILi16E19rocblas_complex_numIdES1_KPKS1_KPS1_Ev13rocblas_fill_17rocblas_diagonal_iiT1_lPT2_llSB_llPT3_lli
                                        ; -- End function
	.section	.AMDGPU.csdata,"",@progbits
; Kernel info:
; codeLenInByte = 1848
; NumSgprs: 42
; NumVgprs: 75
; NumAgprs: 0
; TotalNumVgprs: 75
; ScratchSize: 0
; MemoryBound: 0
; FloatMode: 240
; IeeeMode: 1
; LDSByteSize: 8192 bytes/workgroup (compile time only)
; SGPRBlocks: 5
; VGPRBlocks: 9
; NumSGPRsForWavesPerEU: 42
; NumVGPRsForWavesPerEU: 75
; AccumOffset: 76
; Occupancy: 6
; WaveLimiterHint : 1
; COMPUTE_PGM_RSRC2:SCRATCH_EN: 0
; COMPUTE_PGM_RSRC2:USER_SGPR: 6
; COMPUTE_PGM_RSRC2:TRAP_HANDLER: 0
; COMPUTE_PGM_RSRC2:TGID_X_EN: 1
; COMPUTE_PGM_RSRC2:TGID_Y_EN: 0
; COMPUTE_PGM_RSRC2:TGID_Z_EN: 1
; COMPUTE_PGM_RSRC2:TIDIG_COMP_CNT: 1
; COMPUTE_PGM_RSRC3_GFX90A:ACCUM_OFFSET: 18
; COMPUTE_PGM_RSRC3_GFX90A:TG_SPLIT: 0
	.section	.text._ZL23rocblas_trmm_lTx_kernelILi16ELb0E19rocblas_complex_numIdEPKS1_KS3_KPS1_Ev13rocblas_fill_17rocblas_diagonal_iiT2_lPT3_llSB_llPT4_lli,"axG",@progbits,_ZL23rocblas_trmm_lTx_kernelILi16ELb0E19rocblas_complex_numIdEPKS1_KS3_KPS1_Ev13rocblas_fill_17rocblas_diagonal_iiT2_lPT3_llSB_llPT4_lli,comdat
	.globl	_ZL23rocblas_trmm_lTx_kernelILi16ELb0E19rocblas_complex_numIdEPKS1_KS3_KPS1_Ev13rocblas_fill_17rocblas_diagonal_iiT2_lPT3_llSB_llPT4_lli ; -- Begin function _ZL23rocblas_trmm_lTx_kernelILi16ELb0E19rocblas_complex_numIdEPKS1_KS3_KPS1_Ev13rocblas_fill_17rocblas_diagonal_iiT2_lPT3_llSB_llPT4_lli
	.p2align	8
	.type	_ZL23rocblas_trmm_lTx_kernelILi16ELb0E19rocblas_complex_numIdEPKS1_KS3_KPS1_Ev13rocblas_fill_17rocblas_diagonal_iiT2_lPT3_llSB_llPT4_lli,@function
_ZL23rocblas_trmm_lTx_kernelILi16ELb0E19rocblas_complex_numIdEPKS1_KS3_KPS1_Ev13rocblas_fill_17rocblas_diagonal_iiT2_lPT3_llSB_llPT4_lli: ; @_ZL23rocblas_trmm_lTx_kernelILi16ELb0E19rocblas_complex_numIdEPKS1_KS3_KPS1_Ev13rocblas_fill_17rocblas_diagonal_iiT2_lPT3_llSB_llPT4_lli
; %bb.0:
	s_load_dwordx16 s[8:23], s[4:5], 0x10
	s_waitcnt lgkmcnt(0)
	s_mul_i32 s0, s7, s11
	s_mul_hi_u32 s1, s7, s10
	s_add_i32 s1, s1, s0
	s_mul_i32 s0, s7, s10
	s_lshl_b64 s[0:1], s[0:1], 4
	s_add_u32 s0, s8, s0
	s_addc_u32 s1, s9, s1
	s_load_dwordx4 s[8:11], s[0:1], 0x0
	s_waitcnt lgkmcnt(0)
	v_cmp_neq_f64_e64 s[0:1], s[8:9], 0
	v_cmp_neq_f64_e64 s[2:3], s[10:11], 0
	s_or_b64 s[0:1], s[0:1], s[2:3]
	s_andn2_b64 vcc, exec, s[0:1]
	s_cbranch_vccnz .LBB182_15
; %bb.1:
	s_mov_b32 s28, s7
	s_mov_b32 s29, 0
	s_load_dwordx4 s[24:27], s[4:5], 0x0
	s_load_dwordx4 s[0:3], s[4:5], 0x50
	s_lshl_b64 s[30:31], s[28:29], 3
	s_add_u32 s12, s12, s30
	s_addc_u32 s13, s13, s31
	s_load_dwordx2 s[34:35], s[12:13], 0x0
	s_add_u32 s12, s18, s30
	s_addc_u32 s13, s19, s31
	s_waitcnt lgkmcnt(0)
	s_add_u32 s0, s0, s30
	s_addc_u32 s1, s1, s31
	s_load_dwordx2 s[18:19], s[12:13], 0x0
	v_and_b32_e32 v2, 0x3ff, v0
	s_load_dwordx2 s[12:13], s[0:1], 0x0
	v_bfe_u32 v48, v0, 10, 10
	s_mov_b32 s28, s29
	v_lshlrev_b32_e32 v0, 4, v48
	s_mov_b32 s30, s29
	s_mov_b32 s31, s29
	v_pk_mov_b32 v[4:5], s[28:29], s[28:29] op_sel:[0,1]
	v_cmp_gt_i32_e64 s[0:1], s26, v48
	v_cmp_gt_i32_e32 vcc, s26, v2
	v_add_lshl_u32 v1, v0, v2, 4
	v_pk_mov_b32 v[6:7], s[30:31], s[30:31] op_sel:[0,1]
	s_and_b64 s[0:1], s[0:1], vcc
	v_lshlrev_b32_e32 v49, 4, v2
	ds_write_b128 v1, v[4:7]
	ds_write_b128 v1, v[4:7] offset:4096
	s_waitcnt lgkmcnt(0)
	s_barrier
	s_and_saveexec_b64 s[28:29], s[0:1]
	s_cbranch_execz .LBB182_3
; %bb.2:
	s_lshl_b64 s[0:1], s[16:17], 4
	s_add_u32 s7, s34, s0
	s_addc_u32 s16, s35, s1
	v_mad_u64_u32 v[4:5], s[0:1], v48, s14, 0
	v_mov_b32_e32 v6, v5
	v_mad_u64_u32 v[6:7], s[0:1], v48, s15, v[6:7]
	v_mov_b32_e32 v5, v6
	v_lshlrev_b64 v[4:5], 4, v[4:5]
	v_mov_b32_e32 v3, s16
	v_add_co_u32_e64 v4, s[0:1], s7, v4
	v_addc_co_u32_e64 v3, s[0:1], v3, v5, s[0:1]
	v_add_co_u32_e64 v4, s[0:1], v4, v49
	v_addc_co_u32_e64 v5, s[0:1], 0, v3, s[0:1]
	global_load_dwordx4 v[4:7], v[4:5], off
	v_add_lshl_u32 v3, v49, v48, 4
	s_waitcnt vmcnt(0)
	ds_write2_b64 v3, v[4:5], v[6:7] offset1:1
.LBB182_3:
	s_or_b64 exec, exec, s[28:29]
	s_add_i32 s0, s27, -1
	s_ashr_i32 s1, s0, 31
	s_lshr_b32 s1, s1, 28
	s_add_i32 s0, s0, s1
	s_ashr_i32 s1, s0, 4
	s_and_b32 s0, s0, -16
	s_sub_i32 s0, s27, s0
	s_cmp_ge_i32 s6, s1
	s_cselect_b32 s0, s0, 16
	s_lshl_b32 s16, s6, 4
	v_cmp_gt_i32_e64 s[0:1], s0, v48
	s_ashr_i32 s17, s16, 31
	s_and_b64 s[0:1], vcc, s[0:1]
	s_and_saveexec_b64 s[6:7], s[0:1]
	s_cbranch_execz .LBB182_5
; %bb.4:
	s_lshl_b64 s[14:15], s[22:23], 4
	s_add_u32 s18, s18, s14
	s_addc_u32 s19, s19, s15
	s_mul_i32 s14, s16, s21
	s_mul_hi_u32 s15, s16, s20
	s_add_i32 s14, s15, s14
	s_mul_i32 s15, s17, s20
	s_add_i32 s15, s14, s15
	s_mul_i32 s14, s16, s20
	s_lshl_b64 s[14:15], s[14:15], 4
	s_add_u32 s18, s18, s14
	s_addc_u32 s19, s19, s15
	v_mad_u64_u32 v[4:5], s[14:15], v48, s20, 0
	v_mov_b32_e32 v6, v5
	v_mad_u64_u32 v[6:7], s[14:15], v48, s21, v[6:7]
	v_mov_b32_e32 v5, v6
	v_lshlrev_b64 v[4:5], 4, v[4:5]
	v_mov_b32_e32 v3, s19
	v_add_co_u32_e32 v4, vcc, s18, v4
	v_addc_co_u32_e32 v3, vcc, v3, v5, vcc
	v_add_co_u32_e32 v4, vcc, v4, v49
	v_addc_co_u32_e32 v5, vcc, 0, v3, vcc
	global_load_dwordx4 v[4:7], v[4:5], off
	v_add_u32_e32 v3, 0x1000, v1
	s_waitcnt vmcnt(0)
	ds_write2_b64 v3, v[4:5], v[6:7] offset1:1
.LBB182_5:
	s_or_b64 exec, exec, s[6:7]
	s_cmpk_eq_i32 s25, 0x84
	s_cselect_b64 s[6:7], -1, 0
	v_cmp_eq_u32_e32 vcc, v48, v2
	s_and_b64 s[14:15], vcc, s[6:7]
	s_and_saveexec_b64 s[6:7], s[14:15]
	s_cbranch_execz .LBB182_7
; %bb.6:
	v_mov_b32_e32 v4, 0
	v_mov_b32_e32 v5, 0x3ff00000
	;; [unrolled: 1-line block ×4, first 2 shown]
	ds_write_b128 v1, v[4:7]
.LBB182_7:
	s_or_b64 exec, exec, s[6:7]
	s_cmpk_lg_i32 s24, 0x7a
	s_waitcnt lgkmcnt(0)
	s_barrier
	s_cbranch_scc0 .LBB182_9
; %bb.8:
	v_cmp_lt_u32_e32 vcc, v2, v48
	s_and_b64 s[6:7], vcc, exec
	s_cbranch_execz .LBB182_10
	s_branch .LBB182_11
.LBB182_9:
	s_mov_b64 s[6:7], 0
.LBB182_10:
	v_cmp_gt_u32_e32 vcc, v2, v48
	s_andn2_b64 s[6:7], s[6:7], exec
	s_and_b64 s[14:15], vcc, exec
	s_or_b64 s[6:7], s[6:7], s[14:15]
.LBB182_11:
	s_and_saveexec_b64 s[14:15], s[6:7]
	s_cbranch_execz .LBB182_13
; %bb.12:
	v_mov_b32_e32 v2, 0
	v_mov_b32_e32 v3, v2
	;; [unrolled: 1-line block ×4, first 2 shown]
	ds_write_b128 v1, v[2:5]
.LBB182_13:
	s_or_b64 exec, exec, s[14:15]
	s_waitcnt lgkmcnt(0)
	s_barrier
	s_and_saveexec_b64 s[6:7], s[0:1]
	s_cbranch_execz .LBB182_15
; %bb.14:
	v_lshlrev_b32_e32 v74, 4, v0
	ds_read_b128 v[12:15], v49
	ds_read_b128 v[16:19], v74 offset:4096
	ds_read_b128 v[8:11], v74 offset:4112
	;; [unrolled: 1-line block ×5, first 2 shown]
	s_waitcnt lgkmcnt(4)
	v_mul_f64 v[24:25], v[16:17], v[14:15]
	v_fmac_f64_e32 v[24:25], v[18:19], v[12:13]
	v_add_f64 v[32:33], v[24:25], 0
	ds_read_b128 v[24:27], v49 offset:512
	ds_read_b128 v[28:31], v49 offset:768
	s_waitcnt lgkmcnt(2)
	v_mul_f64 v[34:35], v[8:9], v[22:23]
	v_fmac_f64_e32 v[34:35], v[10:11], v[20:21]
	v_add_f64 v[32:33], v[32:33], v[34:35]
	s_waitcnt lgkmcnt(1)
	v_mul_f64 v[34:35], v[4:5], v[26:27]
	v_fmac_f64_e32 v[34:35], v[6:7], v[24:25]
	v_add_f64 v[50:51], v[32:33], v[34:35]
	ds_read_b128 v[32:35], v49 offset:1024
	ds_read_b128 v[36:39], v74 offset:4160
	ds_read_b128 v[40:43], v74 offset:4176
	ds_read_b128 v[44:47], v49 offset:1280
	s_waitcnt lgkmcnt(4)
	v_mul_f64 v[52:53], v[0:1], v[30:31]
	v_fmac_f64_e32 v[52:53], v[2:3], v[28:29]
	v_add_f64 v[50:51], v[50:51], v[52:53]
	s_waitcnt lgkmcnt(2)
	v_mul_f64 v[52:53], v[36:37], v[34:35]
	v_fmac_f64_e32 v[52:53], v[38:39], v[32:33]
	v_add_f64 v[50:51], v[50:51], v[52:53]
	s_waitcnt lgkmcnt(0)
	v_mul_f64 v[52:53], v[40:41], v[46:47]
	v_fmac_f64_e32 v[52:53], v[42:43], v[44:45]
	v_mul_f64 v[14:15], v[18:19], v[14:15]
	v_add_f64 v[54:55], v[50:51], v[52:53]
	ds_read_b128 v[50:53], v49 offset:1536
	v_fma_f64 v[56:57], v[16:17], v[12:13], -v[14:15]
	ds_read_b128 v[12:15], v74 offset:4192
	v_mul_f64 v[10:11], v[10:11], v[22:23]
	v_fma_f64 v[58:59], v[8:9], v[20:21], -v[10:11]
	ds_read_b128 v[8:11], v74 offset:4208
	ds_read_b128 v[16:19], v49 offset:1792
	v_mul_f64 v[6:7], v[6:7], v[26:27]
	v_mul_f64 v[2:3], v[2:3], v[30:31]
	v_fma_f64 v[60:61], v[4:5], v[24:25], -v[6:7]
	ds_read_b128 v[4:7], v49 offset:2048
	v_fma_f64 v[64:65], v[0:1], v[28:29], -v[2:3]
	ds_read_b128 v[0:3], v74 offset:4224
	s_waitcnt lgkmcnt(4)
	v_mul_f64 v[20:21], v[12:13], v[52:53]
	v_fmac_f64_e32 v[20:21], v[14:15], v[50:51]
	s_waitcnt lgkmcnt(2)
	v_mul_f64 v[62:63], v[8:9], v[18:19]
	v_add_f64 v[54:55], v[54:55], v[20:21]
	v_fmac_f64_e32 v[62:63], v[10:11], v[16:17]
	s_waitcnt lgkmcnt(0)
	v_mul_f64 v[30:31], v[0:1], v[6:7]
	v_mul_f64 v[20:21], v[38:39], v[34:35]
	v_add_f64 v[28:29], v[54:55], v[62:63]
	v_fmac_f64_e32 v[30:31], v[2:3], v[4:5]
	v_fma_f64 v[66:67], v[36:37], v[32:33], -v[20:21]
	ds_read_b128 v[20:23], v74 offset:4240
	ds_read_b128 v[24:27], v49 offset:2304
	v_add_f64 v[36:37], v[28:29], v[30:31]
	v_mul_f64 v[28:29], v[42:43], v[46:47]
	v_mul_f64 v[14:15], v[14:15], v[52:53]
	v_fma_f64 v[54:55], v[40:41], v[44:45], -v[28:29]
	v_fma_f64 v[50:51], v[12:13], v[50:51], -v[14:15]
	ds_read_b128 v[12:15], v74 offset:4256
	ds_read_b128 v[28:31], v74 offset:4272
	;; [unrolled: 1-line block ×3, first 2 shown]
	v_mul_f64 v[10:11], v[10:11], v[18:19]
	v_fma_f64 v[52:53], v[8:9], v[16:17], -v[10:11]
	ds_read_b128 v[8:11], v49 offset:2816
	v_mul_f64 v[2:3], v[2:3], v[6:7]
	v_fma_f64 v[62:63], v[0:1], v[4:5], -v[2:3]
	ds_read_b128 v[0:3], v49 offset:3072
	ds_read_b128 v[4:7], v74 offset:4288
	v_add_f64 v[56:57], v[56:57], 0
	s_waitcnt lgkmcnt(6)
	v_mul_f64 v[38:39], v[20:21], v[26:27]
	v_add_f64 v[56:57], v[56:57], v[58:59]
	v_fmac_f64_e32 v[38:39], v[22:23], v[24:25]
	s_waitcnt lgkmcnt(3)
	v_mul_f64 v[18:19], v[12:13], v[34:35]
	v_add_f64 v[56:57], v[56:57], v[60:61]
	v_add_f64 v[16:17], v[36:37], v[38:39]
	v_fmac_f64_e32 v[18:19], v[14:15], v[32:33]
	v_add_f64 v[56:57], v[56:57], v[64:65]
	v_add_f64 v[36:37], v[16:17], v[18:19]
	s_waitcnt lgkmcnt(2)
	v_mul_f64 v[38:39], v[28:29], v[10:11]
	v_mul_f64 v[16:17], v[22:23], v[26:27]
	v_add_f64 v[56:57], v[56:57], v[66:67]
	v_fmac_f64_e32 v[38:39], v[30:31], v[8:9]
	v_fma_f64 v[68:69], v[20:21], v[24:25], -v[16:17]
	ds_read_b128 v[16:19], v74 offset:4304
	ds_read_b128 v[20:23], v49 offset:3328
	s_waitcnt lgkmcnt(2)
	v_mul_f64 v[26:27], v[4:5], v[2:3]
	v_add_f64 v[54:55], v[56:57], v[54:55]
	v_add_f64 v[24:25], v[36:37], v[38:39]
	v_fmac_f64_e32 v[26:27], v[6:7], v[0:1]
	s_load_dwordx2 s[0:1], s[4:5], 0x60
	v_add_f64 v[50:51], v[54:55], v[50:51]
	v_add_f64 v[70:71], v[24:25], v[26:27]
	ds_read_b128 v[24:27], v49 offset:3584
	ds_read_b128 v[36:39], v74 offset:4320
	v_add_f64 v[50:51], v[50:51], v[52:53]
	v_add_f64 v[50:51], v[50:51], v[62:63]
	v_mul_f64 v[14:15], v[14:15], v[34:35]
	ds_read_b128 v[40:43], v74 offset:4336
	ds_read_b128 v[44:47], v49 offset:3840
	v_add_f64 v[50:51], v[50:51], v[68:69]
	v_fma_f64 v[12:13], v[12:13], v[32:33], -v[14:15]
	v_mul_f64 v[10:11], v[30:31], v[10:11]
	s_waitcnt lgkmcnt(0)
	v_mul_f64 v[72:73], v[16:17], v[22:23]
	v_add_f64 v[12:13], v[50:51], v[12:13]
	v_fma_f64 v[8:9], v[28:29], v[8:9], -v[10:11]
	v_mul_f64 v[2:3], v[6:7], v[2:3]
	v_fmac_f64_e32 v[72:73], v[18:19], v[20:21]
	s_lshl_b64 s[0:1], s[0:1], 4
	v_add_f64 v[8:9], v[12:13], v[8:9]
	v_fma_f64 v[0:1], v[4:5], v[0:1], -v[2:3]
	v_mul_f64 v[2:3], v[18:19], v[22:23]
	v_add_f64 v[70:71], v[70:71], v[72:73]
	v_mul_f64 v[72:73], v[36:37], v[26:27]
	s_add_u32 s4, s12, s0
	v_add_f64 v[0:1], v[8:9], v[0:1]
	v_fma_f64 v[2:3], v[16:17], v[20:21], -v[2:3]
	v_fmac_f64_e32 v[72:73], v[38:39], v[24:25]
	s_addc_u32 s5, s13, s1
	s_mul_i32 s0, s16, s3
	s_mul_hi_u32 s1, s16, s2
	v_add_f64 v[0:1], v[0:1], v[2:3]
	v_mul_f64 v[2:3], v[38:39], v[26:27]
	v_add_f64 v[70:71], v[70:71], v[72:73]
	v_mul_f64 v[72:73], v[40:41], v[46:47]
	s_add_i32 s0, s1, s0
	s_mul_i32 s17, s17, s2
	v_fma_f64 v[2:3], v[36:37], v[24:25], -v[2:3]
	v_fmac_f64_e32 v[72:73], v[42:43], v[44:45]
	s_add_i32 s1, s0, s17
	s_mul_i32 s0, s16, s2
	v_add_f64 v[0:1], v[0:1], v[2:3]
	v_mul_f64 v[2:3], v[42:43], v[46:47]
	v_add_f64 v[70:71], v[70:71], v[72:73]
	s_lshl_b64 s[0:1], s[0:1], 4
	v_fma_f64 v[2:3], v[40:41], v[44:45], -v[2:3]
	s_add_u32 s4, s4, s0
	v_add_f64 v[0:1], v[0:1], v[2:3]
	v_mul_f64 v[2:3], s[8:9], v[70:71]
	v_mul_f64 v[4:5], s[10:11], v[70:71]
	s_addc_u32 s5, s5, s1
	v_fmac_f64_e32 v[2:3], s[10:11], v[0:1]
	v_fma_f64 v[0:1], s[8:9], v[0:1], -v[4:5]
	v_mad_u64_u32 v[4:5], s[0:1], v48, s2, 0
	v_mov_b32_e32 v6, v5
	v_mad_u64_u32 v[6:7], s[0:1], v48, s3, v[6:7]
	v_mov_b32_e32 v5, v6
	v_lshlrev_b64 v[4:5], 4, v[4:5]
	v_mov_b32_e32 v6, s5
	v_add_co_u32_e32 v4, vcc, s4, v4
	v_addc_co_u32_e32 v5, vcc, v6, v5, vcc
	v_add_co_u32_e32 v4, vcc, v4, v49
	v_addc_co_u32_e32 v5, vcc, 0, v5, vcc
	global_store_dwordx4 v[4:5], v[0:3], off
.LBB182_15:
	s_endpgm
	.section	.rodata,"a",@progbits
	.p2align	6, 0x0
	.amdhsa_kernel _ZL23rocblas_trmm_lTx_kernelILi16ELb0E19rocblas_complex_numIdEPKS1_KS3_KPS1_Ev13rocblas_fill_17rocblas_diagonal_iiT2_lPT3_llSB_llPT4_lli
		.amdhsa_group_segment_fixed_size 8192
		.amdhsa_private_segment_fixed_size 0
		.amdhsa_kernarg_size 108
		.amdhsa_user_sgpr_count 6
		.amdhsa_user_sgpr_private_segment_buffer 1
		.amdhsa_user_sgpr_dispatch_ptr 0
		.amdhsa_user_sgpr_queue_ptr 0
		.amdhsa_user_sgpr_kernarg_segment_ptr 1
		.amdhsa_user_sgpr_dispatch_id 0
		.amdhsa_user_sgpr_flat_scratch_init 0
		.amdhsa_user_sgpr_kernarg_preload_length 0
		.amdhsa_user_sgpr_kernarg_preload_offset 0
		.amdhsa_user_sgpr_private_segment_size 0
		.amdhsa_uses_dynamic_stack 0
		.amdhsa_system_sgpr_private_segment_wavefront_offset 0
		.amdhsa_system_sgpr_workgroup_id_x 1
		.amdhsa_system_sgpr_workgroup_id_y 0
		.amdhsa_system_sgpr_workgroup_id_z 1
		.amdhsa_system_sgpr_workgroup_info 0
		.amdhsa_system_vgpr_workitem_id 1
		.amdhsa_next_free_vgpr 75
		.amdhsa_next_free_sgpr 36
		.amdhsa_accum_offset 76
		.amdhsa_reserve_vcc 1
		.amdhsa_reserve_flat_scratch 0
		.amdhsa_float_round_mode_32 0
		.amdhsa_float_round_mode_16_64 0
		.amdhsa_float_denorm_mode_32 3
		.amdhsa_float_denorm_mode_16_64 3
		.amdhsa_dx10_clamp 1
		.amdhsa_ieee_mode 1
		.amdhsa_fp16_overflow 0
		.amdhsa_tg_split 0
		.amdhsa_exception_fp_ieee_invalid_op 0
		.amdhsa_exception_fp_denorm_src 0
		.amdhsa_exception_fp_ieee_div_zero 0
		.amdhsa_exception_fp_ieee_overflow 0
		.amdhsa_exception_fp_ieee_underflow 0
		.amdhsa_exception_fp_ieee_inexact 0
		.amdhsa_exception_int_div_zero 0
	.end_amdhsa_kernel
	.section	.text._ZL23rocblas_trmm_lTx_kernelILi16ELb0E19rocblas_complex_numIdEPKS1_KS3_KPS1_Ev13rocblas_fill_17rocblas_diagonal_iiT2_lPT3_llSB_llPT4_lli,"axG",@progbits,_ZL23rocblas_trmm_lTx_kernelILi16ELb0E19rocblas_complex_numIdEPKS1_KS3_KPS1_Ev13rocblas_fill_17rocblas_diagonal_iiT2_lPT3_llSB_llPT4_lli,comdat
.Lfunc_end182:
	.size	_ZL23rocblas_trmm_lTx_kernelILi16ELb0E19rocblas_complex_numIdEPKS1_KS3_KPS1_Ev13rocblas_fill_17rocblas_diagonal_iiT2_lPT3_llSB_llPT4_lli, .Lfunc_end182-_ZL23rocblas_trmm_lTx_kernelILi16ELb0E19rocblas_complex_numIdEPKS1_KS3_KPS1_Ev13rocblas_fill_17rocblas_diagonal_iiT2_lPT3_llSB_llPT4_lli
                                        ; -- End function
	.section	.AMDGPU.csdata,"",@progbits
; Kernel info:
; codeLenInByte = 1904
; NumSgprs: 40
; NumVgprs: 75
; NumAgprs: 0
; TotalNumVgprs: 75
; ScratchSize: 0
; MemoryBound: 0
; FloatMode: 240
; IeeeMode: 1
; LDSByteSize: 8192 bytes/workgroup (compile time only)
; SGPRBlocks: 4
; VGPRBlocks: 9
; NumSGPRsForWavesPerEU: 40
; NumVGPRsForWavesPerEU: 75
; AccumOffset: 76
; Occupancy: 6
; WaveLimiterHint : 1
; COMPUTE_PGM_RSRC2:SCRATCH_EN: 0
; COMPUTE_PGM_RSRC2:USER_SGPR: 6
; COMPUTE_PGM_RSRC2:TRAP_HANDLER: 0
; COMPUTE_PGM_RSRC2:TGID_X_EN: 1
; COMPUTE_PGM_RSRC2:TGID_Y_EN: 0
; COMPUTE_PGM_RSRC2:TGID_Z_EN: 1
; COMPUTE_PGM_RSRC2:TIDIG_COMP_CNT: 1
; COMPUTE_PGM_RSRC3_GFX90A:ACCUM_OFFSET: 18
; COMPUTE_PGM_RSRC3_GFX90A:TG_SPLIT: 0
	.section	.text._ZL23rocblas_trmm_lTx_kernelILi16ELb0E19rocblas_complex_numIdES1_KPKS1_KPS1_Ev13rocblas_fill_17rocblas_diagonal_iiT2_lPT3_llSB_llPT4_lli,"axG",@progbits,_ZL23rocblas_trmm_lTx_kernelILi16ELb0E19rocblas_complex_numIdES1_KPKS1_KPS1_Ev13rocblas_fill_17rocblas_diagonal_iiT2_lPT3_llSB_llPT4_lli,comdat
	.globl	_ZL23rocblas_trmm_lTx_kernelILi16ELb0E19rocblas_complex_numIdES1_KPKS1_KPS1_Ev13rocblas_fill_17rocblas_diagonal_iiT2_lPT3_llSB_llPT4_lli ; -- Begin function _ZL23rocblas_trmm_lTx_kernelILi16ELb0E19rocblas_complex_numIdES1_KPKS1_KPS1_Ev13rocblas_fill_17rocblas_diagonal_iiT2_lPT3_llSB_llPT4_lli
	.p2align	8
	.type	_ZL23rocblas_trmm_lTx_kernelILi16ELb0E19rocblas_complex_numIdES1_KPKS1_KPS1_Ev13rocblas_fill_17rocblas_diagonal_iiT2_lPT3_llSB_llPT4_lli,@function
_ZL23rocblas_trmm_lTx_kernelILi16ELb0E19rocblas_complex_numIdES1_KPKS1_KPS1_Ev13rocblas_fill_17rocblas_diagonal_iiT2_lPT3_llSB_llPT4_lli: ; @_ZL23rocblas_trmm_lTx_kernelILi16ELb0E19rocblas_complex_numIdES1_KPKS1_KPS1_Ev13rocblas_fill_17rocblas_diagonal_iiT2_lPT3_llSB_llPT4_lli
; %bb.0:
	s_load_dwordx4 s[24:27], s[4:5], 0x10
	s_waitcnt lgkmcnt(0)
	v_cmp_neq_f64_e64 s[2:3], s[24:25], 0
	v_cmp_neq_f64_e64 s[8:9], s[26:27], 0
	s_or_b64 s[2:3], s[2:3], s[8:9]
	s_andn2_b64 vcc, exec, s[2:3]
	s_cbranch_vccnz .LBB183_15
; %bb.1:
	s_load_dwordx4 s[28:31], s[4:5], 0x0
	s_load_dwordx16 s[8:23], s[4:5], 0x28
	s_mov_b32 s0, s7
	s_mov_b32 s1, 0
	s_lshl_b64 s[2:3], s[0:1], 3
	v_and_b32_e32 v1, 0x3ff, v0
	s_waitcnt lgkmcnt(0)
	s_add_u32 s8, s8, s2
	s_addc_u32 s9, s9, s3
	s_load_dwordx2 s[34:35], s[8:9], 0x0
	s_add_u32 s8, s14, s2
	s_addc_u32 s9, s15, s3
	s_add_u32 s2, s20, s2
	s_addc_u32 s3, s21, s3
	s_load_dwordx2 s[14:15], s[8:9], 0x0
	v_bfe_u32 v48, v0, 10, 10
	s_load_dwordx2 s[8:9], s[2:3], 0x0
	s_mov_b32 s2, s1
	s_mov_b32 s3, s1
	;; [unrolled: 1-line block ×3, first 2 shown]
	v_pk_mov_b32 v[6:7], s[2:3], s[2:3] op_sel:[0,1]
	v_lshlrev_b32_e32 v0, 4, v48
	v_pk_mov_b32 v[4:5], s[0:1], s[0:1] op_sel:[0,1]
	v_cmp_gt_i32_e64 s[0:1], s30, v48
	v_cmp_gt_i32_e32 vcc, s30, v1
	v_add_lshl_u32 v2, v0, v1, 4
	s_and_b64 s[0:1], s[0:1], vcc
	v_lshlrev_b32_e32 v49, 4, v1
	ds_write_b128 v2, v[4:7]
	ds_write_b128 v2, v[4:7] offset:4096
	s_waitcnt lgkmcnt(0)
	s_barrier
	s_and_saveexec_b64 s[2:3], s[0:1]
	s_cbranch_execz .LBB183_3
; %bb.2:
	s_lshl_b64 s[0:1], s[12:13], 4
	s_add_u32 s7, s34, s0
	s_addc_u32 s12, s35, s1
	v_mad_u64_u32 v[4:5], s[0:1], v48, s10, 0
	v_mov_b32_e32 v6, v5
	v_mad_u64_u32 v[6:7], s[0:1], v48, s11, v[6:7]
	v_mov_b32_e32 v5, v6
	v_lshlrev_b64 v[4:5], 4, v[4:5]
	v_mov_b32_e32 v3, s12
	v_add_co_u32_e64 v4, s[0:1], s7, v4
	v_addc_co_u32_e64 v3, s[0:1], v3, v5, s[0:1]
	v_add_co_u32_e64 v4, s[0:1], v4, v49
	v_addc_co_u32_e64 v5, s[0:1], 0, v3, s[0:1]
	global_load_dwordx4 v[4:7], v[4:5], off
	v_add_lshl_u32 v3, v49, v48, 4
	s_waitcnt vmcnt(0)
	ds_write2_b64 v3, v[4:5], v[6:7] offset1:1
.LBB183_3:
	s_or_b64 exec, exec, s[2:3]
	s_add_i32 s0, s31, -1
	s_ashr_i32 s1, s0, 31
	s_lshr_b32 s1, s1, 28
	s_add_i32 s0, s0, s1
	s_ashr_i32 s1, s0, 4
	s_and_b32 s0, s0, -16
	s_sub_i32 s0, s31, s0
	s_cmp_ge_i32 s6, s1
	s_cselect_b32 s0, s0, 16
	s_lshl_b32 s10, s6, 4
	v_cmp_gt_i32_e64 s[0:1], s0, v48
	s_ashr_i32 s11, s10, 31
	s_and_b64 s[0:1], vcc, s[0:1]
	s_and_saveexec_b64 s[2:3], s[0:1]
	s_cbranch_execz .LBB183_5
; %bb.4:
	s_lshl_b64 s[6:7], s[18:19], 4
	s_add_u32 s12, s14, s6
	s_addc_u32 s13, s15, s7
	s_mul_i32 s6, s10, s17
	s_mul_hi_u32 s7, s10, s16
	s_add_i32 s6, s7, s6
	s_mul_i32 s7, s11, s16
	s_add_i32 s7, s6, s7
	s_mul_i32 s6, s10, s16
	s_lshl_b64 s[6:7], s[6:7], 4
	s_add_u32 s12, s12, s6
	s_addc_u32 s13, s13, s7
	v_mad_u64_u32 v[4:5], s[6:7], v48, s16, 0
	v_mov_b32_e32 v6, v5
	v_mad_u64_u32 v[6:7], s[6:7], v48, s17, v[6:7]
	v_mov_b32_e32 v5, v6
	v_lshlrev_b64 v[4:5], 4, v[4:5]
	v_mov_b32_e32 v3, s13
	v_add_co_u32_e32 v4, vcc, s12, v4
	v_addc_co_u32_e32 v3, vcc, v3, v5, vcc
	v_add_co_u32_e32 v4, vcc, v4, v49
	v_addc_co_u32_e32 v5, vcc, 0, v3, vcc
	global_load_dwordx4 v[4:7], v[4:5], off
	v_add_u32_e32 v3, 0x1000, v2
	s_waitcnt vmcnt(0)
	ds_write2_b64 v3, v[4:5], v[6:7] offset1:1
.LBB183_5:
	s_or_b64 exec, exec, s[2:3]
	s_cmpk_eq_i32 s29, 0x84
	s_cselect_b64 s[2:3], -1, 0
	v_cmp_eq_u32_e32 vcc, v48, v1
	s_and_b64 s[6:7], vcc, s[2:3]
	s_and_saveexec_b64 s[2:3], s[6:7]
	s_cbranch_execz .LBB183_7
; %bb.6:
	v_mov_b32_e32 v4, 0
	v_mov_b32_e32 v5, 0x3ff00000
	;; [unrolled: 1-line block ×4, first 2 shown]
	ds_write_b128 v2, v[4:7]
.LBB183_7:
	s_or_b64 exec, exec, s[2:3]
	s_cmpk_lg_i32 s28, 0x7a
	s_waitcnt lgkmcnt(0)
	s_barrier
	s_cbranch_scc0 .LBB183_9
; %bb.8:
	v_cmp_lt_u32_e32 vcc, v1, v48
	s_and_b64 s[2:3], vcc, exec
	s_cbranch_execz .LBB183_10
	s_branch .LBB183_11
.LBB183_9:
	s_mov_b64 s[2:3], 0
.LBB183_10:
	v_cmp_gt_u32_e32 vcc, v1, v48
	s_andn2_b64 s[2:3], s[2:3], exec
	s_and_b64 s[6:7], vcc, exec
	s_or_b64 s[2:3], s[2:3], s[6:7]
.LBB183_11:
	s_and_saveexec_b64 s[6:7], s[2:3]
	s_cbranch_execz .LBB183_13
; %bb.12:
	v_mov_b32_e32 v4, 0
	v_mov_b32_e32 v5, v4
	v_mov_b32_e32 v6, v4
	v_mov_b32_e32 v7, v4
	ds_write_b128 v2, v[4:7]
.LBB183_13:
	s_or_b64 exec, exec, s[6:7]
	s_waitcnt lgkmcnt(0)
	s_barrier
	s_and_saveexec_b64 s[2:3], s[0:1]
	s_cbranch_execz .LBB183_15
; %bb.14:
	v_lshlrev_b32_e32 v74, 4, v0
	ds_read_b128 v[12:15], v49
	ds_read_b128 v[16:19], v74 offset:4096
	ds_read_b128 v[8:11], v74 offset:4112
	;; [unrolled: 1-line block ×5, first 2 shown]
	s_waitcnt lgkmcnt(4)
	v_mul_f64 v[24:25], v[16:17], v[14:15]
	v_fmac_f64_e32 v[24:25], v[18:19], v[12:13]
	v_add_f64 v[32:33], v[24:25], 0
	ds_read_b128 v[24:27], v49 offset:512
	ds_read_b128 v[28:31], v49 offset:768
	s_waitcnt lgkmcnt(2)
	v_mul_f64 v[34:35], v[8:9], v[22:23]
	v_fmac_f64_e32 v[34:35], v[10:11], v[20:21]
	v_add_f64 v[32:33], v[32:33], v[34:35]
	s_waitcnt lgkmcnt(1)
	v_mul_f64 v[34:35], v[4:5], v[26:27]
	v_fmac_f64_e32 v[34:35], v[6:7], v[24:25]
	v_add_f64 v[50:51], v[32:33], v[34:35]
	ds_read_b128 v[32:35], v49 offset:1024
	ds_read_b128 v[36:39], v74 offset:4160
	;; [unrolled: 1-line block ×4, first 2 shown]
	s_waitcnt lgkmcnt(4)
	v_mul_f64 v[52:53], v[0:1], v[30:31]
	v_fmac_f64_e32 v[52:53], v[2:3], v[28:29]
	v_add_f64 v[50:51], v[50:51], v[52:53]
	s_waitcnt lgkmcnt(2)
	v_mul_f64 v[52:53], v[36:37], v[34:35]
	v_fmac_f64_e32 v[52:53], v[38:39], v[32:33]
	v_add_f64 v[50:51], v[50:51], v[52:53]
	s_waitcnt lgkmcnt(0)
	v_mul_f64 v[52:53], v[40:41], v[46:47]
	v_fmac_f64_e32 v[52:53], v[42:43], v[44:45]
	v_mul_f64 v[14:15], v[18:19], v[14:15]
	v_add_f64 v[54:55], v[50:51], v[52:53]
	ds_read_b128 v[50:53], v49 offset:1536
	v_fma_f64 v[56:57], v[16:17], v[12:13], -v[14:15]
	ds_read_b128 v[12:15], v74 offset:4192
	v_mul_f64 v[10:11], v[10:11], v[22:23]
	v_fma_f64 v[58:59], v[8:9], v[20:21], -v[10:11]
	ds_read_b128 v[8:11], v74 offset:4208
	ds_read_b128 v[16:19], v49 offset:1792
	v_mul_f64 v[6:7], v[6:7], v[26:27]
	v_mul_f64 v[2:3], v[2:3], v[30:31]
	v_fma_f64 v[60:61], v[4:5], v[24:25], -v[6:7]
	ds_read_b128 v[4:7], v49 offset:2048
	v_fma_f64 v[64:65], v[0:1], v[28:29], -v[2:3]
	ds_read_b128 v[0:3], v74 offset:4224
	s_waitcnt lgkmcnt(4)
	v_mul_f64 v[20:21], v[12:13], v[52:53]
	v_fmac_f64_e32 v[20:21], v[14:15], v[50:51]
	s_waitcnt lgkmcnt(2)
	v_mul_f64 v[62:63], v[8:9], v[18:19]
	v_add_f64 v[54:55], v[54:55], v[20:21]
	v_fmac_f64_e32 v[62:63], v[10:11], v[16:17]
	s_waitcnt lgkmcnt(0)
	v_mul_f64 v[30:31], v[0:1], v[6:7]
	v_mul_f64 v[20:21], v[38:39], v[34:35]
	v_add_f64 v[28:29], v[54:55], v[62:63]
	v_fmac_f64_e32 v[30:31], v[2:3], v[4:5]
	v_fma_f64 v[66:67], v[36:37], v[32:33], -v[20:21]
	ds_read_b128 v[20:23], v74 offset:4240
	ds_read_b128 v[24:27], v49 offset:2304
	v_add_f64 v[36:37], v[28:29], v[30:31]
	v_mul_f64 v[28:29], v[42:43], v[46:47]
	v_mul_f64 v[14:15], v[14:15], v[52:53]
	v_fma_f64 v[54:55], v[40:41], v[44:45], -v[28:29]
	v_fma_f64 v[50:51], v[12:13], v[50:51], -v[14:15]
	ds_read_b128 v[12:15], v74 offset:4256
	ds_read_b128 v[28:31], v74 offset:4272
	;; [unrolled: 1-line block ×3, first 2 shown]
	v_mul_f64 v[10:11], v[10:11], v[18:19]
	v_fma_f64 v[52:53], v[8:9], v[16:17], -v[10:11]
	ds_read_b128 v[8:11], v49 offset:2816
	v_mul_f64 v[2:3], v[2:3], v[6:7]
	v_fma_f64 v[62:63], v[0:1], v[4:5], -v[2:3]
	ds_read_b128 v[0:3], v49 offset:3072
	ds_read_b128 v[4:7], v74 offset:4288
	v_add_f64 v[56:57], v[56:57], 0
	s_waitcnt lgkmcnt(6)
	v_mul_f64 v[38:39], v[20:21], v[26:27]
	v_add_f64 v[56:57], v[56:57], v[58:59]
	v_fmac_f64_e32 v[38:39], v[22:23], v[24:25]
	s_waitcnt lgkmcnt(3)
	v_mul_f64 v[18:19], v[12:13], v[34:35]
	v_add_f64 v[56:57], v[56:57], v[60:61]
	v_add_f64 v[16:17], v[36:37], v[38:39]
	v_fmac_f64_e32 v[18:19], v[14:15], v[32:33]
	v_add_f64 v[56:57], v[56:57], v[64:65]
	v_add_f64 v[36:37], v[16:17], v[18:19]
	s_waitcnt lgkmcnt(2)
	v_mul_f64 v[38:39], v[28:29], v[10:11]
	v_mul_f64 v[16:17], v[22:23], v[26:27]
	v_add_f64 v[56:57], v[56:57], v[66:67]
	v_fmac_f64_e32 v[38:39], v[30:31], v[8:9]
	v_fma_f64 v[68:69], v[20:21], v[24:25], -v[16:17]
	ds_read_b128 v[16:19], v74 offset:4304
	ds_read_b128 v[20:23], v49 offset:3328
	s_waitcnt lgkmcnt(2)
	v_mul_f64 v[26:27], v[4:5], v[2:3]
	v_add_f64 v[54:55], v[56:57], v[54:55]
	v_add_f64 v[24:25], v[36:37], v[38:39]
	v_fmac_f64_e32 v[26:27], v[6:7], v[0:1]
	s_load_dwordx2 s[0:1], s[4:5], 0x68
	v_add_f64 v[50:51], v[54:55], v[50:51]
	v_add_f64 v[70:71], v[24:25], v[26:27]
	ds_read_b128 v[24:27], v49 offset:3584
	ds_read_b128 v[36:39], v74 offset:4320
	v_add_f64 v[50:51], v[50:51], v[52:53]
	v_add_f64 v[50:51], v[50:51], v[62:63]
	v_mul_f64 v[14:15], v[14:15], v[34:35]
	ds_read_b128 v[40:43], v74 offset:4336
	ds_read_b128 v[44:47], v49 offset:3840
	v_add_f64 v[50:51], v[50:51], v[68:69]
	v_fma_f64 v[12:13], v[12:13], v[32:33], -v[14:15]
	v_mul_f64 v[10:11], v[30:31], v[10:11]
	s_waitcnt lgkmcnt(0)
	v_mul_f64 v[72:73], v[16:17], v[22:23]
	v_add_f64 v[12:13], v[50:51], v[12:13]
	v_fma_f64 v[8:9], v[28:29], v[8:9], -v[10:11]
	v_mul_f64 v[2:3], v[6:7], v[2:3]
	v_fmac_f64_e32 v[72:73], v[18:19], v[20:21]
	s_lshl_b64 s[0:1], s[0:1], 4
	v_add_f64 v[8:9], v[12:13], v[8:9]
	v_fma_f64 v[0:1], v[4:5], v[0:1], -v[2:3]
	v_mul_f64 v[2:3], v[18:19], v[22:23]
	v_add_f64 v[70:71], v[70:71], v[72:73]
	v_mul_f64 v[72:73], v[36:37], v[26:27]
	s_add_u32 s2, s8, s0
	v_add_f64 v[0:1], v[8:9], v[0:1]
	v_fma_f64 v[2:3], v[16:17], v[20:21], -v[2:3]
	v_fmac_f64_e32 v[72:73], v[38:39], v[24:25]
	s_addc_u32 s3, s9, s1
	s_mul_i32 s0, s10, s23
	s_mul_hi_u32 s1, s10, s22
	v_add_f64 v[0:1], v[0:1], v[2:3]
	v_mul_f64 v[2:3], v[38:39], v[26:27]
	v_add_f64 v[70:71], v[70:71], v[72:73]
	v_mul_f64 v[72:73], v[40:41], v[46:47]
	s_add_i32 s0, s1, s0
	s_mul_i32 s11, s11, s22
	v_fma_f64 v[2:3], v[36:37], v[24:25], -v[2:3]
	v_fmac_f64_e32 v[72:73], v[42:43], v[44:45]
	s_add_i32 s1, s0, s11
	s_mul_i32 s0, s10, s22
	v_add_f64 v[0:1], v[0:1], v[2:3]
	v_mul_f64 v[2:3], v[42:43], v[46:47]
	v_add_f64 v[70:71], v[70:71], v[72:73]
	s_lshl_b64 s[0:1], s[0:1], 4
	v_fma_f64 v[2:3], v[40:41], v[44:45], -v[2:3]
	s_add_u32 s2, s2, s0
	v_add_f64 v[0:1], v[0:1], v[2:3]
	v_mul_f64 v[2:3], s[24:25], v[70:71]
	v_mul_f64 v[4:5], s[26:27], v[70:71]
	s_addc_u32 s3, s3, s1
	v_fmac_f64_e32 v[2:3], s[26:27], v[0:1]
	v_fma_f64 v[0:1], s[24:25], v[0:1], -v[4:5]
	v_mad_u64_u32 v[4:5], s[0:1], v48, s22, 0
	v_mov_b32_e32 v6, v5
	v_mad_u64_u32 v[6:7], s[0:1], v48, s23, v[6:7]
	v_mov_b32_e32 v5, v6
	v_lshlrev_b64 v[4:5], 4, v[4:5]
	v_mov_b32_e32 v6, s3
	v_add_co_u32_e32 v4, vcc, s2, v4
	v_addc_co_u32_e32 v5, vcc, v6, v5, vcc
	v_add_co_u32_e32 v4, vcc, v4, v49
	v_addc_co_u32_e32 v5, vcc, 0, v5, vcc
	global_store_dwordx4 v[4:5], v[0:3], off
.LBB183_15:
	s_endpgm
	.section	.rodata,"a",@progbits
	.p2align	6, 0x0
	.amdhsa_kernel _ZL23rocblas_trmm_lTx_kernelILi16ELb0E19rocblas_complex_numIdES1_KPKS1_KPS1_Ev13rocblas_fill_17rocblas_diagonal_iiT2_lPT3_llSB_llPT4_lli
		.amdhsa_group_segment_fixed_size 8192
		.amdhsa_private_segment_fixed_size 0
		.amdhsa_kernarg_size 116
		.amdhsa_user_sgpr_count 6
		.amdhsa_user_sgpr_private_segment_buffer 1
		.amdhsa_user_sgpr_dispatch_ptr 0
		.amdhsa_user_sgpr_queue_ptr 0
		.amdhsa_user_sgpr_kernarg_segment_ptr 1
		.amdhsa_user_sgpr_dispatch_id 0
		.amdhsa_user_sgpr_flat_scratch_init 0
		.amdhsa_user_sgpr_kernarg_preload_length 0
		.amdhsa_user_sgpr_kernarg_preload_offset 0
		.amdhsa_user_sgpr_private_segment_size 0
		.amdhsa_uses_dynamic_stack 0
		.amdhsa_system_sgpr_private_segment_wavefront_offset 0
		.amdhsa_system_sgpr_workgroup_id_x 1
		.amdhsa_system_sgpr_workgroup_id_y 0
		.amdhsa_system_sgpr_workgroup_id_z 1
		.amdhsa_system_sgpr_workgroup_info 0
		.amdhsa_system_vgpr_workitem_id 1
		.amdhsa_next_free_vgpr 75
		.amdhsa_next_free_sgpr 36
		.amdhsa_accum_offset 76
		.amdhsa_reserve_vcc 1
		.amdhsa_reserve_flat_scratch 0
		.amdhsa_float_round_mode_32 0
		.amdhsa_float_round_mode_16_64 0
		.amdhsa_float_denorm_mode_32 3
		.amdhsa_float_denorm_mode_16_64 3
		.amdhsa_dx10_clamp 1
		.amdhsa_ieee_mode 1
		.amdhsa_fp16_overflow 0
		.amdhsa_tg_split 0
		.amdhsa_exception_fp_ieee_invalid_op 0
		.amdhsa_exception_fp_denorm_src 0
		.amdhsa_exception_fp_ieee_div_zero 0
		.amdhsa_exception_fp_ieee_overflow 0
		.amdhsa_exception_fp_ieee_underflow 0
		.amdhsa_exception_fp_ieee_inexact 0
		.amdhsa_exception_int_div_zero 0
	.end_amdhsa_kernel
	.section	.text._ZL23rocblas_trmm_lTx_kernelILi16ELb0E19rocblas_complex_numIdES1_KPKS1_KPS1_Ev13rocblas_fill_17rocblas_diagonal_iiT2_lPT3_llSB_llPT4_lli,"axG",@progbits,_ZL23rocblas_trmm_lTx_kernelILi16ELb0E19rocblas_complex_numIdES1_KPKS1_KPS1_Ev13rocblas_fill_17rocblas_diagonal_iiT2_lPT3_llSB_llPT4_lli,comdat
.Lfunc_end183:
	.size	_ZL23rocblas_trmm_lTx_kernelILi16ELb0E19rocblas_complex_numIdES1_KPKS1_KPS1_Ev13rocblas_fill_17rocblas_diagonal_iiT2_lPT3_llSB_llPT4_lli, .Lfunc_end183-_ZL23rocblas_trmm_lTx_kernelILi16ELb0E19rocblas_complex_numIdES1_KPKS1_KPS1_Ev13rocblas_fill_17rocblas_diagonal_iiT2_lPT3_llSB_llPT4_lli
                                        ; -- End function
	.section	.AMDGPU.csdata,"",@progbits
; Kernel info:
; codeLenInByte = 1864
; NumSgprs: 40
; NumVgprs: 75
; NumAgprs: 0
; TotalNumVgprs: 75
; ScratchSize: 0
; MemoryBound: 0
; FloatMode: 240
; IeeeMode: 1
; LDSByteSize: 8192 bytes/workgroup (compile time only)
; SGPRBlocks: 4
; VGPRBlocks: 9
; NumSGPRsForWavesPerEU: 40
; NumVGPRsForWavesPerEU: 75
; AccumOffset: 76
; Occupancy: 6
; WaveLimiterHint : 1
; COMPUTE_PGM_RSRC2:SCRATCH_EN: 0
; COMPUTE_PGM_RSRC2:USER_SGPR: 6
; COMPUTE_PGM_RSRC2:TRAP_HANDLER: 0
; COMPUTE_PGM_RSRC2:TGID_X_EN: 1
; COMPUTE_PGM_RSRC2:TGID_Y_EN: 0
; COMPUTE_PGM_RSRC2:TGID_Z_EN: 1
; COMPUTE_PGM_RSRC2:TIDIG_COMP_CNT: 1
; COMPUTE_PGM_RSRC3_GFX90A:ACCUM_OFFSET: 18
; COMPUTE_PGM_RSRC3_GFX90A:TG_SPLIT: 0
	.section	.text._ZL23rocblas_trmm_lTx_kernelILi16ELb1E19rocblas_complex_numIdEPKS1_KS3_KPS1_Ev13rocblas_fill_17rocblas_diagonal_iiT2_lPT3_llSB_llPT4_lli,"axG",@progbits,_ZL23rocblas_trmm_lTx_kernelILi16ELb1E19rocblas_complex_numIdEPKS1_KS3_KPS1_Ev13rocblas_fill_17rocblas_diagonal_iiT2_lPT3_llSB_llPT4_lli,comdat
	.globl	_ZL23rocblas_trmm_lTx_kernelILi16ELb1E19rocblas_complex_numIdEPKS1_KS3_KPS1_Ev13rocblas_fill_17rocblas_diagonal_iiT2_lPT3_llSB_llPT4_lli ; -- Begin function _ZL23rocblas_trmm_lTx_kernelILi16ELb1E19rocblas_complex_numIdEPKS1_KS3_KPS1_Ev13rocblas_fill_17rocblas_diagonal_iiT2_lPT3_llSB_llPT4_lli
	.p2align	8
	.type	_ZL23rocblas_trmm_lTx_kernelILi16ELb1E19rocblas_complex_numIdEPKS1_KS3_KPS1_Ev13rocblas_fill_17rocblas_diagonal_iiT2_lPT3_llSB_llPT4_lli,@function
_ZL23rocblas_trmm_lTx_kernelILi16ELb1E19rocblas_complex_numIdEPKS1_KS3_KPS1_Ev13rocblas_fill_17rocblas_diagonal_iiT2_lPT3_llSB_llPT4_lli: ; @_ZL23rocblas_trmm_lTx_kernelILi16ELb1E19rocblas_complex_numIdEPKS1_KS3_KPS1_Ev13rocblas_fill_17rocblas_diagonal_iiT2_lPT3_llSB_llPT4_lli
; %bb.0:
	s_load_dwordx16 s[8:23], s[4:5], 0x10
	s_waitcnt lgkmcnt(0)
	s_mul_i32 s0, s7, s11
	s_mul_hi_u32 s1, s7, s10
	s_add_i32 s1, s1, s0
	s_mul_i32 s0, s7, s10
	s_lshl_b64 s[0:1], s[0:1], 4
	s_add_u32 s0, s8, s0
	s_addc_u32 s1, s9, s1
	s_load_dwordx4 s[8:11], s[0:1], 0x0
	s_waitcnt lgkmcnt(0)
	v_cmp_neq_f64_e64 s[0:1], s[8:9], 0
	v_cmp_neq_f64_e64 s[2:3], s[10:11], 0
	s_or_b64 s[0:1], s[0:1], s[2:3]
	s_andn2_b64 vcc, exec, s[0:1]
	s_cbranch_vccnz .LBB184_15
; %bb.1:
	s_mov_b32 s28, s7
	s_mov_b32 s29, 0
	s_load_dwordx4 s[24:27], s[4:5], 0x0
	s_load_dwordx4 s[0:3], s[4:5], 0x50
	s_lshl_b64 s[30:31], s[28:29], 3
	s_add_u32 s12, s12, s30
	s_addc_u32 s13, s13, s31
	s_load_dwordx2 s[34:35], s[12:13], 0x0
	s_add_u32 s12, s18, s30
	s_addc_u32 s13, s19, s31
	s_waitcnt lgkmcnt(0)
	s_add_u32 s0, s0, s30
	s_addc_u32 s1, s1, s31
	s_load_dwordx2 s[18:19], s[12:13], 0x0
	v_and_b32_e32 v2, 0x3ff, v0
	s_load_dwordx2 s[12:13], s[0:1], 0x0
	v_bfe_u32 v48, v0, 10, 10
	s_mov_b32 s28, s29
	v_lshlrev_b32_e32 v0, 4, v48
	s_mov_b32 s30, s29
	s_mov_b32 s31, s29
	v_pk_mov_b32 v[4:5], s[28:29], s[28:29] op_sel:[0,1]
	v_cmp_gt_i32_e64 s[0:1], s26, v48
	v_cmp_gt_i32_e32 vcc, s26, v2
	v_add_lshl_u32 v1, v0, v2, 4
	v_pk_mov_b32 v[6:7], s[30:31], s[30:31] op_sel:[0,1]
	s_and_b64 s[0:1], s[0:1], vcc
	v_lshlrev_b32_e32 v49, 4, v2
	ds_write_b128 v1, v[4:7]
	ds_write_b128 v1, v[4:7] offset:4096
	s_waitcnt lgkmcnt(0)
	s_barrier
	s_and_saveexec_b64 s[28:29], s[0:1]
	s_cbranch_execz .LBB184_3
; %bb.2:
	s_lshl_b64 s[0:1], s[16:17], 4
	s_add_u32 s7, s34, s0
	s_addc_u32 s16, s35, s1
	v_mad_u64_u32 v[4:5], s[0:1], v48, s14, 0
	v_mov_b32_e32 v6, v5
	v_mad_u64_u32 v[6:7], s[0:1], v48, s15, v[6:7]
	v_mov_b32_e32 v5, v6
	v_lshlrev_b64 v[4:5], 4, v[4:5]
	v_mov_b32_e32 v3, s16
	v_add_co_u32_e64 v4, s[0:1], s7, v4
	v_addc_co_u32_e64 v3, s[0:1], v3, v5, s[0:1]
	v_add_co_u32_e64 v4, s[0:1], v4, v49
	v_addc_co_u32_e64 v5, s[0:1], 0, v3, s[0:1]
	global_load_dwordx4 v[4:7], v[4:5], off
	v_add_lshl_u32 v3, v49, v48, 4
	s_waitcnt vmcnt(0)
	v_xor_b32_e32 v7, 0x80000000, v7
	ds_write_b128 v3, v[4:7]
.LBB184_3:
	s_or_b64 exec, exec, s[28:29]
	s_add_i32 s0, s27, -1
	s_ashr_i32 s1, s0, 31
	s_lshr_b32 s1, s1, 28
	s_add_i32 s0, s0, s1
	s_ashr_i32 s1, s0, 4
	s_and_b32 s0, s0, -16
	s_sub_i32 s0, s27, s0
	s_cmp_ge_i32 s6, s1
	s_cselect_b32 s0, s0, 16
	s_lshl_b32 s16, s6, 4
	v_cmp_gt_i32_e64 s[0:1], s0, v48
	s_ashr_i32 s17, s16, 31
	s_and_b64 s[0:1], vcc, s[0:1]
	s_and_saveexec_b64 s[6:7], s[0:1]
	s_cbranch_execz .LBB184_5
; %bb.4:
	s_lshl_b64 s[14:15], s[22:23], 4
	s_add_u32 s18, s18, s14
	s_addc_u32 s19, s19, s15
	s_mul_i32 s14, s16, s21
	s_mul_hi_u32 s15, s16, s20
	s_add_i32 s14, s15, s14
	s_mul_i32 s15, s17, s20
	s_add_i32 s15, s14, s15
	s_mul_i32 s14, s16, s20
	s_lshl_b64 s[14:15], s[14:15], 4
	s_add_u32 s18, s18, s14
	s_addc_u32 s19, s19, s15
	v_mad_u64_u32 v[4:5], s[14:15], v48, s20, 0
	v_mov_b32_e32 v6, v5
	v_mad_u64_u32 v[6:7], s[14:15], v48, s21, v[6:7]
	v_mov_b32_e32 v5, v6
	v_lshlrev_b64 v[4:5], 4, v[4:5]
	v_mov_b32_e32 v3, s19
	v_add_co_u32_e32 v4, vcc, s18, v4
	v_addc_co_u32_e32 v3, vcc, v3, v5, vcc
	v_add_co_u32_e32 v4, vcc, v4, v49
	v_addc_co_u32_e32 v5, vcc, 0, v3, vcc
	global_load_dwordx4 v[4:7], v[4:5], off
	v_add_u32_e32 v3, 0x1000, v1
	s_waitcnt vmcnt(0)
	ds_write2_b64 v3, v[4:5], v[6:7] offset1:1
.LBB184_5:
	s_or_b64 exec, exec, s[6:7]
	s_cmpk_eq_i32 s25, 0x84
	s_cselect_b64 s[6:7], -1, 0
	v_cmp_eq_u32_e32 vcc, v48, v2
	s_and_b64 s[14:15], vcc, s[6:7]
	s_and_saveexec_b64 s[6:7], s[14:15]
	s_cbranch_execz .LBB184_7
; %bb.6:
	v_mov_b32_e32 v4, 0
	v_mov_b32_e32 v5, 0x3ff00000
	;; [unrolled: 1-line block ×4, first 2 shown]
	ds_write_b128 v1, v[4:7]
.LBB184_7:
	s_or_b64 exec, exec, s[6:7]
	s_cmpk_lg_i32 s24, 0x7a
	s_waitcnt lgkmcnt(0)
	s_barrier
	s_cbranch_scc0 .LBB184_9
; %bb.8:
	v_cmp_lt_u32_e32 vcc, v2, v48
	s_and_b64 s[6:7], vcc, exec
	s_cbranch_execz .LBB184_10
	s_branch .LBB184_11
.LBB184_9:
	s_mov_b64 s[6:7], 0
.LBB184_10:
	v_cmp_gt_u32_e32 vcc, v2, v48
	s_andn2_b64 s[6:7], s[6:7], exec
	s_and_b64 s[14:15], vcc, exec
	s_or_b64 s[6:7], s[6:7], s[14:15]
.LBB184_11:
	s_and_saveexec_b64 s[14:15], s[6:7]
	s_cbranch_execz .LBB184_13
; %bb.12:
	v_mov_b32_e32 v2, 0
	v_mov_b32_e32 v3, v2
	;; [unrolled: 1-line block ×4, first 2 shown]
	ds_write_b128 v1, v[2:5]
.LBB184_13:
	s_or_b64 exec, exec, s[14:15]
	s_waitcnt lgkmcnt(0)
	s_barrier
	s_and_saveexec_b64 s[6:7], s[0:1]
	s_cbranch_execz .LBB184_15
; %bb.14:
	v_lshlrev_b32_e32 v74, 4, v0
	ds_read_b128 v[12:15], v49
	ds_read_b128 v[16:19], v74 offset:4096
	ds_read_b128 v[8:11], v74 offset:4112
	;; [unrolled: 1-line block ×5, first 2 shown]
	s_waitcnt lgkmcnt(4)
	v_mul_f64 v[24:25], v[16:17], v[14:15]
	v_fmac_f64_e32 v[24:25], v[18:19], v[12:13]
	v_add_f64 v[32:33], v[24:25], 0
	ds_read_b128 v[24:27], v49 offset:512
	ds_read_b128 v[28:31], v49 offset:768
	s_waitcnt lgkmcnt(2)
	v_mul_f64 v[34:35], v[8:9], v[22:23]
	v_fmac_f64_e32 v[34:35], v[10:11], v[20:21]
	v_add_f64 v[32:33], v[32:33], v[34:35]
	s_waitcnt lgkmcnt(1)
	v_mul_f64 v[34:35], v[4:5], v[26:27]
	v_fmac_f64_e32 v[34:35], v[6:7], v[24:25]
	v_add_f64 v[50:51], v[32:33], v[34:35]
	ds_read_b128 v[32:35], v49 offset:1024
	ds_read_b128 v[36:39], v74 offset:4160
	;; [unrolled: 1-line block ×4, first 2 shown]
	s_waitcnt lgkmcnt(4)
	v_mul_f64 v[52:53], v[0:1], v[30:31]
	v_fmac_f64_e32 v[52:53], v[2:3], v[28:29]
	v_add_f64 v[50:51], v[50:51], v[52:53]
	s_waitcnt lgkmcnt(2)
	v_mul_f64 v[52:53], v[36:37], v[34:35]
	v_fmac_f64_e32 v[52:53], v[38:39], v[32:33]
	v_add_f64 v[50:51], v[50:51], v[52:53]
	s_waitcnt lgkmcnt(0)
	v_mul_f64 v[52:53], v[40:41], v[46:47]
	v_fmac_f64_e32 v[52:53], v[42:43], v[44:45]
	v_mul_f64 v[14:15], v[18:19], v[14:15]
	v_add_f64 v[54:55], v[50:51], v[52:53]
	ds_read_b128 v[50:53], v49 offset:1536
	v_fma_f64 v[56:57], v[16:17], v[12:13], -v[14:15]
	ds_read_b128 v[12:15], v74 offset:4192
	v_mul_f64 v[10:11], v[10:11], v[22:23]
	v_fma_f64 v[58:59], v[8:9], v[20:21], -v[10:11]
	ds_read_b128 v[8:11], v74 offset:4208
	ds_read_b128 v[16:19], v49 offset:1792
	v_mul_f64 v[6:7], v[6:7], v[26:27]
	v_mul_f64 v[2:3], v[2:3], v[30:31]
	v_fma_f64 v[60:61], v[4:5], v[24:25], -v[6:7]
	ds_read_b128 v[4:7], v49 offset:2048
	v_fma_f64 v[64:65], v[0:1], v[28:29], -v[2:3]
	ds_read_b128 v[0:3], v74 offset:4224
	s_waitcnt lgkmcnt(4)
	v_mul_f64 v[20:21], v[12:13], v[52:53]
	v_fmac_f64_e32 v[20:21], v[14:15], v[50:51]
	s_waitcnt lgkmcnt(2)
	v_mul_f64 v[62:63], v[8:9], v[18:19]
	v_add_f64 v[54:55], v[54:55], v[20:21]
	v_fmac_f64_e32 v[62:63], v[10:11], v[16:17]
	s_waitcnt lgkmcnt(0)
	v_mul_f64 v[30:31], v[0:1], v[6:7]
	v_mul_f64 v[20:21], v[38:39], v[34:35]
	v_add_f64 v[28:29], v[54:55], v[62:63]
	v_fmac_f64_e32 v[30:31], v[2:3], v[4:5]
	v_fma_f64 v[66:67], v[36:37], v[32:33], -v[20:21]
	ds_read_b128 v[20:23], v74 offset:4240
	ds_read_b128 v[24:27], v49 offset:2304
	v_add_f64 v[36:37], v[28:29], v[30:31]
	v_mul_f64 v[28:29], v[42:43], v[46:47]
	v_mul_f64 v[14:15], v[14:15], v[52:53]
	v_fma_f64 v[54:55], v[40:41], v[44:45], -v[28:29]
	v_fma_f64 v[50:51], v[12:13], v[50:51], -v[14:15]
	ds_read_b128 v[12:15], v74 offset:4256
	ds_read_b128 v[28:31], v74 offset:4272
	;; [unrolled: 1-line block ×3, first 2 shown]
	v_mul_f64 v[10:11], v[10:11], v[18:19]
	v_fma_f64 v[52:53], v[8:9], v[16:17], -v[10:11]
	ds_read_b128 v[8:11], v49 offset:2816
	v_mul_f64 v[2:3], v[2:3], v[6:7]
	v_fma_f64 v[62:63], v[0:1], v[4:5], -v[2:3]
	ds_read_b128 v[0:3], v49 offset:3072
	ds_read_b128 v[4:7], v74 offset:4288
	v_add_f64 v[56:57], v[56:57], 0
	s_waitcnt lgkmcnt(6)
	v_mul_f64 v[38:39], v[20:21], v[26:27]
	v_add_f64 v[56:57], v[56:57], v[58:59]
	v_fmac_f64_e32 v[38:39], v[22:23], v[24:25]
	s_waitcnt lgkmcnt(3)
	v_mul_f64 v[18:19], v[12:13], v[34:35]
	v_add_f64 v[56:57], v[56:57], v[60:61]
	v_add_f64 v[16:17], v[36:37], v[38:39]
	v_fmac_f64_e32 v[18:19], v[14:15], v[32:33]
	v_add_f64 v[56:57], v[56:57], v[64:65]
	v_add_f64 v[36:37], v[16:17], v[18:19]
	s_waitcnt lgkmcnt(2)
	v_mul_f64 v[38:39], v[28:29], v[10:11]
	v_mul_f64 v[16:17], v[22:23], v[26:27]
	v_add_f64 v[56:57], v[56:57], v[66:67]
	v_fmac_f64_e32 v[38:39], v[30:31], v[8:9]
	v_fma_f64 v[68:69], v[20:21], v[24:25], -v[16:17]
	ds_read_b128 v[16:19], v74 offset:4304
	ds_read_b128 v[20:23], v49 offset:3328
	s_waitcnt lgkmcnt(2)
	v_mul_f64 v[26:27], v[4:5], v[2:3]
	v_add_f64 v[54:55], v[56:57], v[54:55]
	v_add_f64 v[24:25], v[36:37], v[38:39]
	v_fmac_f64_e32 v[26:27], v[6:7], v[0:1]
	s_load_dwordx2 s[0:1], s[4:5], 0x60
	v_add_f64 v[50:51], v[54:55], v[50:51]
	v_add_f64 v[70:71], v[24:25], v[26:27]
	ds_read_b128 v[24:27], v49 offset:3584
	ds_read_b128 v[36:39], v74 offset:4320
	v_add_f64 v[50:51], v[50:51], v[52:53]
	v_add_f64 v[50:51], v[50:51], v[62:63]
	v_mul_f64 v[14:15], v[14:15], v[34:35]
	ds_read_b128 v[40:43], v74 offset:4336
	ds_read_b128 v[44:47], v49 offset:3840
	v_add_f64 v[50:51], v[50:51], v[68:69]
	v_fma_f64 v[12:13], v[12:13], v[32:33], -v[14:15]
	v_mul_f64 v[10:11], v[30:31], v[10:11]
	s_waitcnt lgkmcnt(0)
	v_mul_f64 v[72:73], v[16:17], v[22:23]
	v_add_f64 v[12:13], v[50:51], v[12:13]
	v_fma_f64 v[8:9], v[28:29], v[8:9], -v[10:11]
	v_mul_f64 v[2:3], v[6:7], v[2:3]
	v_fmac_f64_e32 v[72:73], v[18:19], v[20:21]
	s_lshl_b64 s[0:1], s[0:1], 4
	v_add_f64 v[8:9], v[12:13], v[8:9]
	v_fma_f64 v[0:1], v[4:5], v[0:1], -v[2:3]
	v_mul_f64 v[2:3], v[18:19], v[22:23]
	v_add_f64 v[70:71], v[70:71], v[72:73]
	v_mul_f64 v[72:73], v[36:37], v[26:27]
	s_add_u32 s4, s12, s0
	v_add_f64 v[0:1], v[8:9], v[0:1]
	v_fma_f64 v[2:3], v[16:17], v[20:21], -v[2:3]
	v_fmac_f64_e32 v[72:73], v[38:39], v[24:25]
	s_addc_u32 s5, s13, s1
	s_mul_i32 s0, s16, s3
	s_mul_hi_u32 s1, s16, s2
	v_add_f64 v[0:1], v[0:1], v[2:3]
	v_mul_f64 v[2:3], v[38:39], v[26:27]
	v_add_f64 v[70:71], v[70:71], v[72:73]
	v_mul_f64 v[72:73], v[40:41], v[46:47]
	s_add_i32 s0, s1, s0
	s_mul_i32 s17, s17, s2
	v_fma_f64 v[2:3], v[36:37], v[24:25], -v[2:3]
	v_fmac_f64_e32 v[72:73], v[42:43], v[44:45]
	s_add_i32 s1, s0, s17
	s_mul_i32 s0, s16, s2
	v_add_f64 v[0:1], v[0:1], v[2:3]
	v_mul_f64 v[2:3], v[42:43], v[46:47]
	v_add_f64 v[70:71], v[70:71], v[72:73]
	s_lshl_b64 s[0:1], s[0:1], 4
	v_fma_f64 v[2:3], v[40:41], v[44:45], -v[2:3]
	s_add_u32 s4, s4, s0
	v_add_f64 v[0:1], v[0:1], v[2:3]
	v_mul_f64 v[2:3], s[8:9], v[70:71]
	v_mul_f64 v[4:5], s[10:11], v[70:71]
	s_addc_u32 s5, s5, s1
	v_fmac_f64_e32 v[2:3], s[10:11], v[0:1]
	v_fma_f64 v[0:1], s[8:9], v[0:1], -v[4:5]
	v_mad_u64_u32 v[4:5], s[0:1], v48, s2, 0
	v_mov_b32_e32 v6, v5
	v_mad_u64_u32 v[6:7], s[0:1], v48, s3, v[6:7]
	v_mov_b32_e32 v5, v6
	v_lshlrev_b64 v[4:5], 4, v[4:5]
	v_mov_b32_e32 v6, s5
	v_add_co_u32_e32 v4, vcc, s4, v4
	v_addc_co_u32_e32 v5, vcc, v6, v5, vcc
	v_add_co_u32_e32 v4, vcc, v4, v49
	v_addc_co_u32_e32 v5, vcc, 0, v5, vcc
	global_store_dwordx4 v[4:5], v[0:3], off
.LBB184_15:
	s_endpgm
	.section	.rodata,"a",@progbits
	.p2align	6, 0x0
	.amdhsa_kernel _ZL23rocblas_trmm_lTx_kernelILi16ELb1E19rocblas_complex_numIdEPKS1_KS3_KPS1_Ev13rocblas_fill_17rocblas_diagonal_iiT2_lPT3_llSB_llPT4_lli
		.amdhsa_group_segment_fixed_size 8192
		.amdhsa_private_segment_fixed_size 0
		.amdhsa_kernarg_size 108
		.amdhsa_user_sgpr_count 6
		.amdhsa_user_sgpr_private_segment_buffer 1
		.amdhsa_user_sgpr_dispatch_ptr 0
		.amdhsa_user_sgpr_queue_ptr 0
		.amdhsa_user_sgpr_kernarg_segment_ptr 1
		.amdhsa_user_sgpr_dispatch_id 0
		.amdhsa_user_sgpr_flat_scratch_init 0
		.amdhsa_user_sgpr_kernarg_preload_length 0
		.amdhsa_user_sgpr_kernarg_preload_offset 0
		.amdhsa_user_sgpr_private_segment_size 0
		.amdhsa_uses_dynamic_stack 0
		.amdhsa_system_sgpr_private_segment_wavefront_offset 0
		.amdhsa_system_sgpr_workgroup_id_x 1
		.amdhsa_system_sgpr_workgroup_id_y 0
		.amdhsa_system_sgpr_workgroup_id_z 1
		.amdhsa_system_sgpr_workgroup_info 0
		.amdhsa_system_vgpr_workitem_id 1
		.amdhsa_next_free_vgpr 75
		.amdhsa_next_free_sgpr 36
		.amdhsa_accum_offset 76
		.amdhsa_reserve_vcc 1
		.amdhsa_reserve_flat_scratch 0
		.amdhsa_float_round_mode_32 0
		.amdhsa_float_round_mode_16_64 0
		.amdhsa_float_denorm_mode_32 3
		.amdhsa_float_denorm_mode_16_64 3
		.amdhsa_dx10_clamp 1
		.amdhsa_ieee_mode 1
		.amdhsa_fp16_overflow 0
		.amdhsa_tg_split 0
		.amdhsa_exception_fp_ieee_invalid_op 0
		.amdhsa_exception_fp_denorm_src 0
		.amdhsa_exception_fp_ieee_div_zero 0
		.amdhsa_exception_fp_ieee_overflow 0
		.amdhsa_exception_fp_ieee_underflow 0
		.amdhsa_exception_fp_ieee_inexact 0
		.amdhsa_exception_int_div_zero 0
	.end_amdhsa_kernel
	.section	.text._ZL23rocblas_trmm_lTx_kernelILi16ELb1E19rocblas_complex_numIdEPKS1_KS3_KPS1_Ev13rocblas_fill_17rocblas_diagonal_iiT2_lPT3_llSB_llPT4_lli,"axG",@progbits,_ZL23rocblas_trmm_lTx_kernelILi16ELb1E19rocblas_complex_numIdEPKS1_KS3_KPS1_Ev13rocblas_fill_17rocblas_diagonal_iiT2_lPT3_llSB_llPT4_lli,comdat
.Lfunc_end184:
	.size	_ZL23rocblas_trmm_lTx_kernelILi16ELb1E19rocblas_complex_numIdEPKS1_KS3_KPS1_Ev13rocblas_fill_17rocblas_diagonal_iiT2_lPT3_llSB_llPT4_lli, .Lfunc_end184-_ZL23rocblas_trmm_lTx_kernelILi16ELb1E19rocblas_complex_numIdEPKS1_KS3_KPS1_Ev13rocblas_fill_17rocblas_diagonal_iiT2_lPT3_llSB_llPT4_lli
                                        ; -- End function
	.section	.AMDGPU.csdata,"",@progbits
; Kernel info:
; codeLenInByte = 1912
; NumSgprs: 40
; NumVgprs: 75
; NumAgprs: 0
; TotalNumVgprs: 75
; ScratchSize: 0
; MemoryBound: 0
; FloatMode: 240
; IeeeMode: 1
; LDSByteSize: 8192 bytes/workgroup (compile time only)
; SGPRBlocks: 4
; VGPRBlocks: 9
; NumSGPRsForWavesPerEU: 40
; NumVGPRsForWavesPerEU: 75
; AccumOffset: 76
; Occupancy: 6
; WaveLimiterHint : 1
; COMPUTE_PGM_RSRC2:SCRATCH_EN: 0
; COMPUTE_PGM_RSRC2:USER_SGPR: 6
; COMPUTE_PGM_RSRC2:TRAP_HANDLER: 0
; COMPUTE_PGM_RSRC2:TGID_X_EN: 1
; COMPUTE_PGM_RSRC2:TGID_Y_EN: 0
; COMPUTE_PGM_RSRC2:TGID_Z_EN: 1
; COMPUTE_PGM_RSRC2:TIDIG_COMP_CNT: 1
; COMPUTE_PGM_RSRC3_GFX90A:ACCUM_OFFSET: 18
; COMPUTE_PGM_RSRC3_GFX90A:TG_SPLIT: 0
	.section	.text._ZL23rocblas_trmm_lTx_kernelILi16ELb1E19rocblas_complex_numIdES1_KPKS1_KPS1_Ev13rocblas_fill_17rocblas_diagonal_iiT2_lPT3_llSB_llPT4_lli,"axG",@progbits,_ZL23rocblas_trmm_lTx_kernelILi16ELb1E19rocblas_complex_numIdES1_KPKS1_KPS1_Ev13rocblas_fill_17rocblas_diagonal_iiT2_lPT3_llSB_llPT4_lli,comdat
	.globl	_ZL23rocblas_trmm_lTx_kernelILi16ELb1E19rocblas_complex_numIdES1_KPKS1_KPS1_Ev13rocblas_fill_17rocblas_diagonal_iiT2_lPT3_llSB_llPT4_lli ; -- Begin function _ZL23rocblas_trmm_lTx_kernelILi16ELb1E19rocblas_complex_numIdES1_KPKS1_KPS1_Ev13rocblas_fill_17rocblas_diagonal_iiT2_lPT3_llSB_llPT4_lli
	.p2align	8
	.type	_ZL23rocblas_trmm_lTx_kernelILi16ELb1E19rocblas_complex_numIdES1_KPKS1_KPS1_Ev13rocblas_fill_17rocblas_diagonal_iiT2_lPT3_llSB_llPT4_lli,@function
_ZL23rocblas_trmm_lTx_kernelILi16ELb1E19rocblas_complex_numIdES1_KPKS1_KPS1_Ev13rocblas_fill_17rocblas_diagonal_iiT2_lPT3_llSB_llPT4_lli: ; @_ZL23rocblas_trmm_lTx_kernelILi16ELb1E19rocblas_complex_numIdES1_KPKS1_KPS1_Ev13rocblas_fill_17rocblas_diagonal_iiT2_lPT3_llSB_llPT4_lli
; %bb.0:
	s_load_dwordx4 s[24:27], s[4:5], 0x10
	s_waitcnt lgkmcnt(0)
	v_cmp_neq_f64_e64 s[2:3], s[24:25], 0
	v_cmp_neq_f64_e64 s[8:9], s[26:27], 0
	s_or_b64 s[2:3], s[2:3], s[8:9]
	s_andn2_b64 vcc, exec, s[2:3]
	s_cbranch_vccnz .LBB185_15
; %bb.1:
	s_load_dwordx4 s[28:31], s[4:5], 0x0
	s_load_dwordx16 s[8:23], s[4:5], 0x28
	s_mov_b32 s0, s7
	s_mov_b32 s1, 0
	s_lshl_b64 s[2:3], s[0:1], 3
	v_and_b32_e32 v1, 0x3ff, v0
	s_waitcnt lgkmcnt(0)
	s_add_u32 s8, s8, s2
	s_addc_u32 s9, s9, s3
	s_load_dwordx2 s[34:35], s[8:9], 0x0
	s_add_u32 s8, s14, s2
	s_addc_u32 s9, s15, s3
	s_add_u32 s2, s20, s2
	s_addc_u32 s3, s21, s3
	s_load_dwordx2 s[14:15], s[8:9], 0x0
	v_bfe_u32 v48, v0, 10, 10
	s_load_dwordx2 s[8:9], s[2:3], 0x0
	s_mov_b32 s2, s1
	s_mov_b32 s3, s1
	;; [unrolled: 1-line block ×3, first 2 shown]
	v_pk_mov_b32 v[6:7], s[2:3], s[2:3] op_sel:[0,1]
	v_lshlrev_b32_e32 v0, 4, v48
	v_pk_mov_b32 v[4:5], s[0:1], s[0:1] op_sel:[0,1]
	v_cmp_gt_i32_e64 s[0:1], s30, v48
	v_cmp_gt_i32_e32 vcc, s30, v1
	v_add_lshl_u32 v2, v0, v1, 4
	s_and_b64 s[0:1], s[0:1], vcc
	v_lshlrev_b32_e32 v49, 4, v1
	ds_write_b128 v2, v[4:7]
	ds_write_b128 v2, v[4:7] offset:4096
	s_waitcnt lgkmcnt(0)
	s_barrier
	s_and_saveexec_b64 s[2:3], s[0:1]
	s_cbranch_execz .LBB185_3
; %bb.2:
	s_lshl_b64 s[0:1], s[12:13], 4
	s_add_u32 s7, s34, s0
	s_addc_u32 s12, s35, s1
	v_mad_u64_u32 v[4:5], s[0:1], v48, s10, 0
	v_mov_b32_e32 v6, v5
	v_mad_u64_u32 v[6:7], s[0:1], v48, s11, v[6:7]
	v_mov_b32_e32 v5, v6
	v_lshlrev_b64 v[4:5], 4, v[4:5]
	v_mov_b32_e32 v3, s12
	v_add_co_u32_e64 v4, s[0:1], s7, v4
	v_addc_co_u32_e64 v3, s[0:1], v3, v5, s[0:1]
	v_add_co_u32_e64 v4, s[0:1], v4, v49
	v_addc_co_u32_e64 v5, s[0:1], 0, v3, s[0:1]
	global_load_dwordx4 v[4:7], v[4:5], off
	v_add_lshl_u32 v3, v49, v48, 4
	s_waitcnt vmcnt(0)
	v_xor_b32_e32 v7, 0x80000000, v7
	ds_write_b128 v3, v[4:7]
.LBB185_3:
	s_or_b64 exec, exec, s[2:3]
	s_add_i32 s0, s31, -1
	s_ashr_i32 s1, s0, 31
	s_lshr_b32 s1, s1, 28
	s_add_i32 s0, s0, s1
	s_ashr_i32 s1, s0, 4
	s_and_b32 s0, s0, -16
	s_sub_i32 s0, s31, s0
	s_cmp_ge_i32 s6, s1
	s_cselect_b32 s0, s0, 16
	s_lshl_b32 s10, s6, 4
	v_cmp_gt_i32_e64 s[0:1], s0, v48
	s_ashr_i32 s11, s10, 31
	s_and_b64 s[0:1], vcc, s[0:1]
	s_and_saveexec_b64 s[2:3], s[0:1]
	s_cbranch_execz .LBB185_5
; %bb.4:
	s_lshl_b64 s[6:7], s[18:19], 4
	s_add_u32 s12, s14, s6
	s_addc_u32 s13, s15, s7
	s_mul_i32 s6, s10, s17
	s_mul_hi_u32 s7, s10, s16
	s_add_i32 s6, s7, s6
	s_mul_i32 s7, s11, s16
	s_add_i32 s7, s6, s7
	s_mul_i32 s6, s10, s16
	s_lshl_b64 s[6:7], s[6:7], 4
	s_add_u32 s12, s12, s6
	s_addc_u32 s13, s13, s7
	v_mad_u64_u32 v[4:5], s[6:7], v48, s16, 0
	v_mov_b32_e32 v6, v5
	v_mad_u64_u32 v[6:7], s[6:7], v48, s17, v[6:7]
	v_mov_b32_e32 v5, v6
	v_lshlrev_b64 v[4:5], 4, v[4:5]
	v_mov_b32_e32 v3, s13
	v_add_co_u32_e32 v4, vcc, s12, v4
	v_addc_co_u32_e32 v3, vcc, v3, v5, vcc
	v_add_co_u32_e32 v4, vcc, v4, v49
	v_addc_co_u32_e32 v5, vcc, 0, v3, vcc
	global_load_dwordx4 v[4:7], v[4:5], off
	v_add_u32_e32 v3, 0x1000, v2
	s_waitcnt vmcnt(0)
	ds_write2_b64 v3, v[4:5], v[6:7] offset1:1
.LBB185_5:
	s_or_b64 exec, exec, s[2:3]
	s_cmpk_eq_i32 s29, 0x84
	s_cselect_b64 s[2:3], -1, 0
	v_cmp_eq_u32_e32 vcc, v48, v1
	s_and_b64 s[6:7], vcc, s[2:3]
	s_and_saveexec_b64 s[2:3], s[6:7]
	s_cbranch_execz .LBB185_7
; %bb.6:
	v_mov_b32_e32 v4, 0
	v_mov_b32_e32 v5, 0x3ff00000
	;; [unrolled: 1-line block ×4, first 2 shown]
	ds_write_b128 v2, v[4:7]
.LBB185_7:
	s_or_b64 exec, exec, s[2:3]
	s_cmpk_lg_i32 s28, 0x7a
	s_waitcnt lgkmcnt(0)
	s_barrier
	s_cbranch_scc0 .LBB185_9
; %bb.8:
	v_cmp_lt_u32_e32 vcc, v1, v48
	s_and_b64 s[2:3], vcc, exec
	s_cbranch_execz .LBB185_10
	s_branch .LBB185_11
.LBB185_9:
	s_mov_b64 s[2:3], 0
.LBB185_10:
	v_cmp_gt_u32_e32 vcc, v1, v48
	s_andn2_b64 s[2:3], s[2:3], exec
	s_and_b64 s[6:7], vcc, exec
	s_or_b64 s[2:3], s[2:3], s[6:7]
.LBB185_11:
	s_and_saveexec_b64 s[6:7], s[2:3]
	s_cbranch_execz .LBB185_13
; %bb.12:
	v_mov_b32_e32 v4, 0
	v_mov_b32_e32 v5, v4
	;; [unrolled: 1-line block ×4, first 2 shown]
	ds_write_b128 v2, v[4:7]
.LBB185_13:
	s_or_b64 exec, exec, s[6:7]
	s_waitcnt lgkmcnt(0)
	s_barrier
	s_and_saveexec_b64 s[2:3], s[0:1]
	s_cbranch_execz .LBB185_15
; %bb.14:
	v_lshlrev_b32_e32 v74, 4, v0
	ds_read_b128 v[12:15], v49
	ds_read_b128 v[16:19], v74 offset:4096
	ds_read_b128 v[8:11], v74 offset:4112
	;; [unrolled: 1-line block ×5, first 2 shown]
	s_waitcnt lgkmcnt(4)
	v_mul_f64 v[24:25], v[16:17], v[14:15]
	v_fmac_f64_e32 v[24:25], v[18:19], v[12:13]
	v_add_f64 v[32:33], v[24:25], 0
	ds_read_b128 v[24:27], v49 offset:512
	ds_read_b128 v[28:31], v49 offset:768
	s_waitcnt lgkmcnt(2)
	v_mul_f64 v[34:35], v[8:9], v[22:23]
	v_fmac_f64_e32 v[34:35], v[10:11], v[20:21]
	v_add_f64 v[32:33], v[32:33], v[34:35]
	s_waitcnt lgkmcnt(1)
	v_mul_f64 v[34:35], v[4:5], v[26:27]
	v_fmac_f64_e32 v[34:35], v[6:7], v[24:25]
	v_add_f64 v[50:51], v[32:33], v[34:35]
	ds_read_b128 v[32:35], v49 offset:1024
	ds_read_b128 v[36:39], v74 offset:4160
	;; [unrolled: 1-line block ×4, first 2 shown]
	s_waitcnt lgkmcnt(4)
	v_mul_f64 v[52:53], v[0:1], v[30:31]
	v_fmac_f64_e32 v[52:53], v[2:3], v[28:29]
	v_add_f64 v[50:51], v[50:51], v[52:53]
	s_waitcnt lgkmcnt(2)
	v_mul_f64 v[52:53], v[36:37], v[34:35]
	v_fmac_f64_e32 v[52:53], v[38:39], v[32:33]
	v_add_f64 v[50:51], v[50:51], v[52:53]
	s_waitcnt lgkmcnt(0)
	v_mul_f64 v[52:53], v[40:41], v[46:47]
	v_fmac_f64_e32 v[52:53], v[42:43], v[44:45]
	v_mul_f64 v[14:15], v[18:19], v[14:15]
	v_add_f64 v[54:55], v[50:51], v[52:53]
	ds_read_b128 v[50:53], v49 offset:1536
	v_fma_f64 v[56:57], v[16:17], v[12:13], -v[14:15]
	ds_read_b128 v[12:15], v74 offset:4192
	v_mul_f64 v[10:11], v[10:11], v[22:23]
	v_fma_f64 v[58:59], v[8:9], v[20:21], -v[10:11]
	ds_read_b128 v[8:11], v74 offset:4208
	ds_read_b128 v[16:19], v49 offset:1792
	v_mul_f64 v[6:7], v[6:7], v[26:27]
	v_mul_f64 v[2:3], v[2:3], v[30:31]
	v_fma_f64 v[60:61], v[4:5], v[24:25], -v[6:7]
	ds_read_b128 v[4:7], v49 offset:2048
	v_fma_f64 v[64:65], v[0:1], v[28:29], -v[2:3]
	ds_read_b128 v[0:3], v74 offset:4224
	s_waitcnt lgkmcnt(4)
	v_mul_f64 v[20:21], v[12:13], v[52:53]
	v_fmac_f64_e32 v[20:21], v[14:15], v[50:51]
	s_waitcnt lgkmcnt(2)
	v_mul_f64 v[62:63], v[8:9], v[18:19]
	v_add_f64 v[54:55], v[54:55], v[20:21]
	v_fmac_f64_e32 v[62:63], v[10:11], v[16:17]
	s_waitcnt lgkmcnt(0)
	v_mul_f64 v[30:31], v[0:1], v[6:7]
	v_mul_f64 v[20:21], v[38:39], v[34:35]
	v_add_f64 v[28:29], v[54:55], v[62:63]
	v_fmac_f64_e32 v[30:31], v[2:3], v[4:5]
	v_fma_f64 v[66:67], v[36:37], v[32:33], -v[20:21]
	ds_read_b128 v[20:23], v74 offset:4240
	ds_read_b128 v[24:27], v49 offset:2304
	v_add_f64 v[36:37], v[28:29], v[30:31]
	v_mul_f64 v[28:29], v[42:43], v[46:47]
	v_mul_f64 v[14:15], v[14:15], v[52:53]
	v_fma_f64 v[54:55], v[40:41], v[44:45], -v[28:29]
	v_fma_f64 v[50:51], v[12:13], v[50:51], -v[14:15]
	ds_read_b128 v[12:15], v74 offset:4256
	ds_read_b128 v[28:31], v74 offset:4272
	ds_read_b128 v[32:35], v49 offset:2560
	v_mul_f64 v[10:11], v[10:11], v[18:19]
	v_fma_f64 v[52:53], v[8:9], v[16:17], -v[10:11]
	ds_read_b128 v[8:11], v49 offset:2816
	v_mul_f64 v[2:3], v[2:3], v[6:7]
	v_fma_f64 v[62:63], v[0:1], v[4:5], -v[2:3]
	ds_read_b128 v[0:3], v49 offset:3072
	ds_read_b128 v[4:7], v74 offset:4288
	v_add_f64 v[56:57], v[56:57], 0
	s_waitcnt lgkmcnt(6)
	v_mul_f64 v[38:39], v[20:21], v[26:27]
	v_add_f64 v[56:57], v[56:57], v[58:59]
	v_fmac_f64_e32 v[38:39], v[22:23], v[24:25]
	s_waitcnt lgkmcnt(3)
	v_mul_f64 v[18:19], v[12:13], v[34:35]
	v_add_f64 v[56:57], v[56:57], v[60:61]
	v_add_f64 v[16:17], v[36:37], v[38:39]
	v_fmac_f64_e32 v[18:19], v[14:15], v[32:33]
	v_add_f64 v[56:57], v[56:57], v[64:65]
	v_add_f64 v[36:37], v[16:17], v[18:19]
	s_waitcnt lgkmcnt(2)
	v_mul_f64 v[38:39], v[28:29], v[10:11]
	v_mul_f64 v[16:17], v[22:23], v[26:27]
	v_add_f64 v[56:57], v[56:57], v[66:67]
	v_fmac_f64_e32 v[38:39], v[30:31], v[8:9]
	v_fma_f64 v[68:69], v[20:21], v[24:25], -v[16:17]
	ds_read_b128 v[16:19], v74 offset:4304
	ds_read_b128 v[20:23], v49 offset:3328
	s_waitcnt lgkmcnt(2)
	v_mul_f64 v[26:27], v[4:5], v[2:3]
	v_add_f64 v[54:55], v[56:57], v[54:55]
	v_add_f64 v[24:25], v[36:37], v[38:39]
	v_fmac_f64_e32 v[26:27], v[6:7], v[0:1]
	s_load_dwordx2 s[0:1], s[4:5], 0x68
	v_add_f64 v[50:51], v[54:55], v[50:51]
	v_add_f64 v[70:71], v[24:25], v[26:27]
	ds_read_b128 v[24:27], v49 offset:3584
	ds_read_b128 v[36:39], v74 offset:4320
	v_add_f64 v[50:51], v[50:51], v[52:53]
	v_add_f64 v[50:51], v[50:51], v[62:63]
	v_mul_f64 v[14:15], v[14:15], v[34:35]
	ds_read_b128 v[40:43], v74 offset:4336
	ds_read_b128 v[44:47], v49 offset:3840
	v_add_f64 v[50:51], v[50:51], v[68:69]
	v_fma_f64 v[12:13], v[12:13], v[32:33], -v[14:15]
	v_mul_f64 v[10:11], v[30:31], v[10:11]
	s_waitcnt lgkmcnt(0)
	v_mul_f64 v[72:73], v[16:17], v[22:23]
	v_add_f64 v[12:13], v[50:51], v[12:13]
	v_fma_f64 v[8:9], v[28:29], v[8:9], -v[10:11]
	v_mul_f64 v[2:3], v[6:7], v[2:3]
	v_fmac_f64_e32 v[72:73], v[18:19], v[20:21]
	s_lshl_b64 s[0:1], s[0:1], 4
	v_add_f64 v[8:9], v[12:13], v[8:9]
	v_fma_f64 v[0:1], v[4:5], v[0:1], -v[2:3]
	v_mul_f64 v[2:3], v[18:19], v[22:23]
	v_add_f64 v[70:71], v[70:71], v[72:73]
	v_mul_f64 v[72:73], v[36:37], v[26:27]
	s_add_u32 s2, s8, s0
	v_add_f64 v[0:1], v[8:9], v[0:1]
	v_fma_f64 v[2:3], v[16:17], v[20:21], -v[2:3]
	v_fmac_f64_e32 v[72:73], v[38:39], v[24:25]
	s_addc_u32 s3, s9, s1
	s_mul_i32 s0, s10, s23
	s_mul_hi_u32 s1, s10, s22
	v_add_f64 v[0:1], v[0:1], v[2:3]
	v_mul_f64 v[2:3], v[38:39], v[26:27]
	v_add_f64 v[70:71], v[70:71], v[72:73]
	v_mul_f64 v[72:73], v[40:41], v[46:47]
	s_add_i32 s0, s1, s0
	s_mul_i32 s11, s11, s22
	v_fma_f64 v[2:3], v[36:37], v[24:25], -v[2:3]
	v_fmac_f64_e32 v[72:73], v[42:43], v[44:45]
	s_add_i32 s1, s0, s11
	s_mul_i32 s0, s10, s22
	v_add_f64 v[0:1], v[0:1], v[2:3]
	v_mul_f64 v[2:3], v[42:43], v[46:47]
	v_add_f64 v[70:71], v[70:71], v[72:73]
	s_lshl_b64 s[0:1], s[0:1], 4
	v_fma_f64 v[2:3], v[40:41], v[44:45], -v[2:3]
	s_add_u32 s2, s2, s0
	v_add_f64 v[0:1], v[0:1], v[2:3]
	v_mul_f64 v[2:3], s[24:25], v[70:71]
	v_mul_f64 v[4:5], s[26:27], v[70:71]
	s_addc_u32 s3, s3, s1
	v_fmac_f64_e32 v[2:3], s[26:27], v[0:1]
	v_fma_f64 v[0:1], s[24:25], v[0:1], -v[4:5]
	v_mad_u64_u32 v[4:5], s[0:1], v48, s22, 0
	v_mov_b32_e32 v6, v5
	v_mad_u64_u32 v[6:7], s[0:1], v48, s23, v[6:7]
	v_mov_b32_e32 v5, v6
	v_lshlrev_b64 v[4:5], 4, v[4:5]
	v_mov_b32_e32 v6, s3
	v_add_co_u32_e32 v4, vcc, s2, v4
	v_addc_co_u32_e32 v5, vcc, v6, v5, vcc
	v_add_co_u32_e32 v4, vcc, v4, v49
	v_addc_co_u32_e32 v5, vcc, 0, v5, vcc
	global_store_dwordx4 v[4:5], v[0:3], off
.LBB185_15:
	s_endpgm
	.section	.rodata,"a",@progbits
	.p2align	6, 0x0
	.amdhsa_kernel _ZL23rocblas_trmm_lTx_kernelILi16ELb1E19rocblas_complex_numIdES1_KPKS1_KPS1_Ev13rocblas_fill_17rocblas_diagonal_iiT2_lPT3_llSB_llPT4_lli
		.amdhsa_group_segment_fixed_size 8192
		.amdhsa_private_segment_fixed_size 0
		.amdhsa_kernarg_size 116
		.amdhsa_user_sgpr_count 6
		.amdhsa_user_sgpr_private_segment_buffer 1
		.amdhsa_user_sgpr_dispatch_ptr 0
		.amdhsa_user_sgpr_queue_ptr 0
		.amdhsa_user_sgpr_kernarg_segment_ptr 1
		.amdhsa_user_sgpr_dispatch_id 0
		.amdhsa_user_sgpr_flat_scratch_init 0
		.amdhsa_user_sgpr_kernarg_preload_length 0
		.amdhsa_user_sgpr_kernarg_preload_offset 0
		.amdhsa_user_sgpr_private_segment_size 0
		.amdhsa_uses_dynamic_stack 0
		.amdhsa_system_sgpr_private_segment_wavefront_offset 0
		.amdhsa_system_sgpr_workgroup_id_x 1
		.amdhsa_system_sgpr_workgroup_id_y 0
		.amdhsa_system_sgpr_workgroup_id_z 1
		.amdhsa_system_sgpr_workgroup_info 0
		.amdhsa_system_vgpr_workitem_id 1
		.amdhsa_next_free_vgpr 75
		.amdhsa_next_free_sgpr 36
		.amdhsa_accum_offset 76
		.amdhsa_reserve_vcc 1
		.amdhsa_reserve_flat_scratch 0
		.amdhsa_float_round_mode_32 0
		.amdhsa_float_round_mode_16_64 0
		.amdhsa_float_denorm_mode_32 3
		.amdhsa_float_denorm_mode_16_64 3
		.amdhsa_dx10_clamp 1
		.amdhsa_ieee_mode 1
		.amdhsa_fp16_overflow 0
		.amdhsa_tg_split 0
		.amdhsa_exception_fp_ieee_invalid_op 0
		.amdhsa_exception_fp_denorm_src 0
		.amdhsa_exception_fp_ieee_div_zero 0
		.amdhsa_exception_fp_ieee_overflow 0
		.amdhsa_exception_fp_ieee_underflow 0
		.amdhsa_exception_fp_ieee_inexact 0
		.amdhsa_exception_int_div_zero 0
	.end_amdhsa_kernel
	.section	.text._ZL23rocblas_trmm_lTx_kernelILi16ELb1E19rocblas_complex_numIdES1_KPKS1_KPS1_Ev13rocblas_fill_17rocblas_diagonal_iiT2_lPT3_llSB_llPT4_lli,"axG",@progbits,_ZL23rocblas_trmm_lTx_kernelILi16ELb1E19rocblas_complex_numIdES1_KPKS1_KPS1_Ev13rocblas_fill_17rocblas_diagonal_iiT2_lPT3_llSB_llPT4_lli,comdat
.Lfunc_end185:
	.size	_ZL23rocblas_trmm_lTx_kernelILi16ELb1E19rocblas_complex_numIdES1_KPKS1_KPS1_Ev13rocblas_fill_17rocblas_diagonal_iiT2_lPT3_llSB_llPT4_lli, .Lfunc_end185-_ZL23rocblas_trmm_lTx_kernelILi16ELb1E19rocblas_complex_numIdES1_KPKS1_KPS1_Ev13rocblas_fill_17rocblas_diagonal_iiT2_lPT3_llSB_llPT4_lli
                                        ; -- End function
	.section	.AMDGPU.csdata,"",@progbits
; Kernel info:
; codeLenInByte = 1872
; NumSgprs: 40
; NumVgprs: 75
; NumAgprs: 0
; TotalNumVgprs: 75
; ScratchSize: 0
; MemoryBound: 0
; FloatMode: 240
; IeeeMode: 1
; LDSByteSize: 8192 bytes/workgroup (compile time only)
; SGPRBlocks: 4
; VGPRBlocks: 9
; NumSGPRsForWavesPerEU: 40
; NumVGPRsForWavesPerEU: 75
; AccumOffset: 76
; Occupancy: 6
; WaveLimiterHint : 1
; COMPUTE_PGM_RSRC2:SCRATCH_EN: 0
; COMPUTE_PGM_RSRC2:USER_SGPR: 6
; COMPUTE_PGM_RSRC2:TRAP_HANDLER: 0
; COMPUTE_PGM_RSRC2:TGID_X_EN: 1
; COMPUTE_PGM_RSRC2:TGID_Y_EN: 0
; COMPUTE_PGM_RSRC2:TGID_Z_EN: 1
; COMPUTE_PGM_RSRC2:TIDIG_COMP_CNT: 1
; COMPUTE_PGM_RSRC3_GFX90A:ACCUM_OFFSET: 18
; COMPUTE_PGM_RSRC3_GFX90A:TG_SPLIT: 0
	.section	.text._ZL23rocblas_trmm_rNx_kernelILi16E19rocblas_complex_numIdEPKS1_KS3_KPS1_Ev13rocblas_fill_17rocblas_diagonal_iiT1_lPT2_llSB_llPT3_lli,"axG",@progbits,_ZL23rocblas_trmm_rNx_kernelILi16E19rocblas_complex_numIdEPKS1_KS3_KPS1_Ev13rocblas_fill_17rocblas_diagonal_iiT1_lPT2_llSB_llPT3_lli,comdat
	.globl	_ZL23rocblas_trmm_rNx_kernelILi16E19rocblas_complex_numIdEPKS1_KS3_KPS1_Ev13rocblas_fill_17rocblas_diagonal_iiT1_lPT2_llSB_llPT3_lli ; -- Begin function _ZL23rocblas_trmm_rNx_kernelILi16E19rocblas_complex_numIdEPKS1_KS3_KPS1_Ev13rocblas_fill_17rocblas_diagonal_iiT1_lPT2_llSB_llPT3_lli
	.p2align	8
	.type	_ZL23rocblas_trmm_rNx_kernelILi16E19rocblas_complex_numIdEPKS1_KS3_KPS1_Ev13rocblas_fill_17rocblas_diagonal_iiT1_lPT2_llSB_llPT3_lli,@function
_ZL23rocblas_trmm_rNx_kernelILi16E19rocblas_complex_numIdEPKS1_KS3_KPS1_Ev13rocblas_fill_17rocblas_diagonal_iiT1_lPT2_llSB_llPT3_lli: ; @_ZL23rocblas_trmm_rNx_kernelILi16E19rocblas_complex_numIdEPKS1_KS3_KPS1_Ev13rocblas_fill_17rocblas_diagonal_iiT1_lPT2_llSB_llPT3_lli
; %bb.0:
	s_load_dwordx16 s[8:23], s[4:5], 0x10
	s_waitcnt lgkmcnt(0)
	s_mul_i32 s0, s7, s11
	s_mul_hi_u32 s1, s7, s10
	s_add_i32 s1, s1, s0
	s_mul_i32 s0, s7, s10
	s_lshl_b64 s[0:1], s[0:1], 4
	s_add_u32 s0, s8, s0
	s_addc_u32 s1, s9, s1
	s_load_dwordx4 s[8:11], s[0:1], 0x0
	s_waitcnt lgkmcnt(0)
	v_cmp_neq_f64_e64 s[0:1], s[8:9], 0
	v_cmp_neq_f64_e64 s[2:3], s[10:11], 0
	s_or_b64 s[0:1], s[0:1], s[2:3]
	s_andn2_b64 vcc, exec, s[0:1]
	s_cbranch_vccnz .LBB186_15
; %bb.1:
	s_load_dwordx4 s[24:27], s[4:5], 0x0
	s_load_dwordx4 s[0:3], s[4:5], 0x50
	s_mov_b32 s28, s7
	s_mov_b32 s29, 0
	s_lshl_b64 s[36:37], s[28:29], 3
	s_add_u32 s18, s18, s36
	s_addc_u32 s19, s19, s37
	s_waitcnt lgkmcnt(0)
	s_add_u32 s0, s0, s36
	s_addc_u32 s1, s1, s37
	s_load_dwordx2 s[34:35], s[18:19], 0x0
	v_and_b32_e32 v2, 0x3ff, v0
	s_load_dwordx2 s[18:19], s[0:1], 0x0
	v_bfe_u32 v48, v0, 10, 10
	s_mov_b32 s28, s29
	v_lshlrev_b32_e32 v0, 4, v48
	s_mov_b32 s30, s29
	s_mov_b32 s31, s29
	v_pk_mov_b32 v[4:5], s[28:29], s[28:29] op_sel:[0,1]
	v_cmp_gt_i32_e32 vcc, s27, v48
	v_cmp_gt_i32_e64 s[0:1], s27, v2
	v_add_lshl_u32 v1, v0, v2, 4
	v_pk_mov_b32 v[6:7], s[30:31], s[30:31] op_sel:[0,1]
	s_and_b64 s[0:1], vcc, s[0:1]
	v_lshlrev_b32_e32 v49, 4, v2
	ds_write_b128 v1, v[4:7]
	ds_write_b128 v1, v[4:7] offset:4096
	s_and_saveexec_b64 s[28:29], s[0:1]
	s_cbranch_execz .LBB186_3
; %bb.2:
	s_add_u32 s0, s12, s36
	s_addc_u32 s1, s13, s37
	s_load_dwordx2 s[0:1], s[0:1], 0x0
	v_mad_u64_u32 v[4:5], s[12:13], v48, s14, 0
	s_lshl_b64 s[12:13], s[16:17], 4
	v_mov_b32_e32 v6, v5
	s_waitcnt lgkmcnt(0)
	s_add_u32 s7, s0, s12
	s_addc_u32 s12, s1, s13
	v_mad_u64_u32 v[6:7], s[0:1], v48, s15, v[6:7]
	v_mov_b32_e32 v5, v6
	v_lshlrev_b64 v[4:5], 4, v[4:5]
	v_mov_b32_e32 v3, s12
	v_add_co_u32_e64 v4, s[0:1], s7, v4
	v_addc_co_u32_e64 v3, s[0:1], v3, v5, s[0:1]
	v_add_co_u32_e64 v4, s[0:1], v4, v49
	v_addc_co_u32_e64 v5, s[0:1], 0, v3, s[0:1]
	global_load_dwordx4 v[4:7], v[4:5], off
	s_waitcnt vmcnt(0)
	ds_write2_b64 v1, v[4:5], v[6:7] offset1:1
.LBB186_3:
	s_or_b64 exec, exec, s[28:29]
	s_add_i32 s0, s26, -1
	s_ashr_i32 s1, s0, 31
	s_lshr_b32 s1, s1, 28
	s_add_i32 s0, s0, s1
	s_ashr_i32 s1, s0, 4
	s_and_b32 s0, s0, -16
	s_sub_i32 s0, s26, s0
	s_cmp_ge_i32 s6, s1
	s_cselect_b32 s0, s0, 16
	s_lshl_b32 s6, s6, 4
	v_cmp_gt_i32_e64 s[0:1], s0, v2
	s_ashr_i32 s7, s6, 31
	s_and_b64 s[0:1], vcc, s[0:1]
	s_and_saveexec_b64 s[12:13], s[0:1]
	s_cbranch_execz .LBB186_5
; %bb.4:
	s_lshl_b64 s[14:15], s[22:23], 4
	s_waitcnt lgkmcnt(0)
	s_add_u32 s16, s34, s14
	s_addc_u32 s17, s35, s15
	s_lshl_b64 s[14:15], s[6:7], 4
	s_add_u32 s16, s16, s14
	s_addc_u32 s17, s17, s15
	v_mad_u64_u32 v[4:5], s[14:15], v48, s20, 0
	v_mov_b32_e32 v6, v5
	v_mad_u64_u32 v[6:7], s[14:15], v48, s21, v[6:7]
	v_mov_b32_e32 v5, v6
	v_lshlrev_b64 v[4:5], 4, v[4:5]
	v_mov_b32_e32 v3, s17
	v_add_co_u32_e32 v4, vcc, s16, v4
	v_addc_co_u32_e32 v3, vcc, v3, v5, vcc
	v_add_co_u32_e32 v4, vcc, v4, v49
	v_addc_co_u32_e32 v5, vcc, 0, v3, vcc
	global_load_dwordx4 v[4:7], v[4:5], off
	v_add_u32_e32 v3, 0x1000, v1
	s_waitcnt vmcnt(0)
	ds_write2_b64 v3, v[4:5], v[6:7] offset1:1
.LBB186_5:
	s_or_b64 exec, exec, s[12:13]
	s_cmpk_eq_i32 s25, 0x84
	s_cselect_b64 s[12:13], -1, 0
	v_cmp_eq_u32_e32 vcc, v48, v2
	s_and_b64 s[14:15], vcc, s[12:13]
	s_and_saveexec_b64 s[12:13], s[14:15]
	s_cbranch_execz .LBB186_7
; %bb.6:
	v_mov_b32_e32 v4, 0
	v_mov_b32_e32 v5, 0x3ff00000
	;; [unrolled: 1-line block ×4, first 2 shown]
	ds_write_b128 v1, v[4:7]
.LBB186_7:
	s_or_b64 exec, exec, s[12:13]
	s_cmpk_lg_i32 s24, 0x79
	s_cbranch_scc0 .LBB186_9
; %bb.8:
	v_cmp_lt_u32_e32 vcc, v2, v48
	s_and_b64 s[12:13], vcc, exec
	s_cbranch_execz .LBB186_10
	s_branch .LBB186_11
.LBB186_9:
	s_mov_b64 s[12:13], 0
.LBB186_10:
	v_cmp_gt_u32_e32 vcc, v2, v48
	s_andn2_b64 s[12:13], s[12:13], exec
	s_and_b64 s[14:15], vcc, exec
	s_or_b64 s[12:13], s[12:13], s[14:15]
.LBB186_11:
	s_and_saveexec_b64 s[14:15], s[12:13]
	s_cbranch_execz .LBB186_13
; %bb.12:
	v_mov_b32_e32 v2, 0
	v_mov_b32_e32 v3, v2
	v_mov_b32_e32 v4, v2
	v_mov_b32_e32 v5, v2
	ds_write_b128 v1, v[2:5]
.LBB186_13:
	s_or_b64 exec, exec, s[14:15]
	s_waitcnt lgkmcnt(0)
	s_barrier
	s_and_saveexec_b64 s[12:13], s[0:1]
	s_cbranch_execz .LBB186_15
; %bb.14:
	v_lshlrev_b32_e32 v74, 4, v0
	ds_read_b128 v[12:15], v49 offset:4096
	ds_read_b128 v[16:19], v74
	ds_read_b128 v[8:11], v74 offset:16
	ds_read_b128 v[4:7], v74 offset:32
	;; [unrolled: 1-line block ×4, first 2 shown]
	s_waitcnt lgkmcnt(4)
	v_mul_f64 v[24:25], v[16:17], v[14:15]
	v_fmac_f64_e32 v[24:25], v[18:19], v[12:13]
	v_add_f64 v[32:33], v[24:25], 0
	ds_read_b128 v[24:27], v49 offset:4608
	ds_read_b128 v[28:31], v49 offset:4864
	s_waitcnt lgkmcnt(2)
	v_mul_f64 v[34:35], v[8:9], v[22:23]
	v_fmac_f64_e32 v[34:35], v[10:11], v[20:21]
	v_add_f64 v[32:33], v[32:33], v[34:35]
	s_waitcnt lgkmcnt(1)
	v_mul_f64 v[34:35], v[4:5], v[26:27]
	v_fmac_f64_e32 v[34:35], v[6:7], v[24:25]
	v_add_f64 v[50:51], v[32:33], v[34:35]
	ds_read_b128 v[32:35], v49 offset:5120
	ds_read_b128 v[36:39], v74 offset:64
	;; [unrolled: 1-line block ×4, first 2 shown]
	s_waitcnt lgkmcnt(4)
	v_mul_f64 v[52:53], v[0:1], v[30:31]
	v_fmac_f64_e32 v[52:53], v[2:3], v[28:29]
	v_add_f64 v[50:51], v[50:51], v[52:53]
	s_waitcnt lgkmcnt(2)
	v_mul_f64 v[52:53], v[36:37], v[34:35]
	v_fmac_f64_e32 v[52:53], v[38:39], v[32:33]
	v_add_f64 v[50:51], v[50:51], v[52:53]
	s_waitcnt lgkmcnt(0)
	v_mul_f64 v[52:53], v[40:41], v[46:47]
	v_fmac_f64_e32 v[52:53], v[42:43], v[44:45]
	v_mul_f64 v[14:15], v[18:19], v[14:15]
	v_add_f64 v[54:55], v[50:51], v[52:53]
	ds_read_b128 v[50:53], v49 offset:5632
	v_fma_f64 v[56:57], v[16:17], v[12:13], -v[14:15]
	ds_read_b128 v[12:15], v74 offset:96
	v_mul_f64 v[10:11], v[10:11], v[22:23]
	v_fma_f64 v[58:59], v[8:9], v[20:21], -v[10:11]
	ds_read_b128 v[8:11], v74 offset:112
	ds_read_b128 v[16:19], v49 offset:5888
	v_mul_f64 v[6:7], v[6:7], v[26:27]
	v_mul_f64 v[2:3], v[2:3], v[30:31]
	v_fma_f64 v[60:61], v[4:5], v[24:25], -v[6:7]
	ds_read_b128 v[4:7], v49 offset:6144
	v_fma_f64 v[64:65], v[0:1], v[28:29], -v[2:3]
	ds_read_b128 v[0:3], v74 offset:128
	s_waitcnt lgkmcnt(4)
	v_mul_f64 v[20:21], v[12:13], v[52:53]
	v_fmac_f64_e32 v[20:21], v[14:15], v[50:51]
	s_waitcnt lgkmcnt(2)
	v_mul_f64 v[62:63], v[8:9], v[18:19]
	v_add_f64 v[54:55], v[54:55], v[20:21]
	v_fmac_f64_e32 v[62:63], v[10:11], v[16:17]
	s_waitcnt lgkmcnt(0)
	v_mul_f64 v[30:31], v[0:1], v[6:7]
	v_mul_f64 v[20:21], v[38:39], v[34:35]
	v_add_f64 v[28:29], v[54:55], v[62:63]
	v_fmac_f64_e32 v[30:31], v[2:3], v[4:5]
	v_fma_f64 v[66:67], v[36:37], v[32:33], -v[20:21]
	ds_read_b128 v[20:23], v74 offset:144
	ds_read_b128 v[24:27], v49 offset:6400
	v_add_f64 v[36:37], v[28:29], v[30:31]
	v_mul_f64 v[28:29], v[42:43], v[46:47]
	v_mul_f64 v[14:15], v[14:15], v[52:53]
	v_fma_f64 v[54:55], v[40:41], v[44:45], -v[28:29]
	v_fma_f64 v[50:51], v[12:13], v[50:51], -v[14:15]
	ds_read_b128 v[12:15], v74 offset:160
	ds_read_b128 v[28:31], v74 offset:176
	;; [unrolled: 1-line block ×3, first 2 shown]
	v_mul_f64 v[10:11], v[10:11], v[18:19]
	v_fma_f64 v[52:53], v[8:9], v[16:17], -v[10:11]
	ds_read_b128 v[8:11], v49 offset:6912
	v_mul_f64 v[2:3], v[2:3], v[6:7]
	v_fma_f64 v[62:63], v[0:1], v[4:5], -v[2:3]
	ds_read_b128 v[0:3], v49 offset:7168
	ds_read_b128 v[4:7], v74 offset:192
	v_add_f64 v[56:57], v[56:57], 0
	s_waitcnt lgkmcnt(6)
	v_mul_f64 v[38:39], v[20:21], v[26:27]
	v_add_f64 v[56:57], v[56:57], v[58:59]
	v_fmac_f64_e32 v[38:39], v[22:23], v[24:25]
	s_waitcnt lgkmcnt(3)
	v_mul_f64 v[18:19], v[12:13], v[34:35]
	v_add_f64 v[56:57], v[56:57], v[60:61]
	v_add_f64 v[16:17], v[36:37], v[38:39]
	v_fmac_f64_e32 v[18:19], v[14:15], v[32:33]
	v_add_f64 v[56:57], v[56:57], v[64:65]
	v_add_f64 v[36:37], v[16:17], v[18:19]
	s_waitcnt lgkmcnt(2)
	v_mul_f64 v[38:39], v[28:29], v[10:11]
	v_mul_f64 v[16:17], v[22:23], v[26:27]
	v_add_f64 v[56:57], v[56:57], v[66:67]
	v_fmac_f64_e32 v[38:39], v[30:31], v[8:9]
	v_fma_f64 v[68:69], v[20:21], v[24:25], -v[16:17]
	ds_read_b128 v[16:19], v74 offset:208
	ds_read_b128 v[20:23], v49 offset:7424
	s_waitcnt lgkmcnt(2)
	v_mul_f64 v[26:27], v[4:5], v[2:3]
	v_add_f64 v[54:55], v[56:57], v[54:55]
	v_add_f64 v[24:25], v[36:37], v[38:39]
	v_fmac_f64_e32 v[26:27], v[6:7], v[0:1]
	v_add_f64 v[50:51], v[54:55], v[50:51]
	v_add_f64 v[70:71], v[24:25], v[26:27]
	ds_read_b128 v[24:27], v49 offset:7680
	ds_read_b128 v[36:39], v74 offset:224
	v_add_f64 v[50:51], v[50:51], v[52:53]
	v_add_f64 v[50:51], v[50:51], v[62:63]
	v_mul_f64 v[14:15], v[14:15], v[34:35]
	ds_read_b128 v[40:43], v74 offset:240
	ds_read_b128 v[44:47], v49 offset:7936
	s_load_dwordx2 s[0:1], s[4:5], 0x60
	v_add_f64 v[50:51], v[50:51], v[68:69]
	v_fma_f64 v[12:13], v[12:13], v[32:33], -v[14:15]
	v_mul_f64 v[10:11], v[30:31], v[10:11]
	s_waitcnt lgkmcnt(0)
	v_mul_f64 v[72:73], v[16:17], v[22:23]
	v_add_f64 v[12:13], v[50:51], v[12:13]
	v_fma_f64 v[8:9], v[28:29], v[8:9], -v[10:11]
	v_mul_f64 v[2:3], v[6:7], v[2:3]
	v_fmac_f64_e32 v[72:73], v[18:19], v[20:21]
	v_add_f64 v[8:9], v[12:13], v[8:9]
	v_fma_f64 v[0:1], v[4:5], v[0:1], -v[2:3]
	v_mul_f64 v[2:3], v[18:19], v[22:23]
	v_add_f64 v[70:71], v[70:71], v[72:73]
	v_mul_f64 v[72:73], v[36:37], v[26:27]
	v_add_f64 v[0:1], v[8:9], v[0:1]
	v_fma_f64 v[2:3], v[16:17], v[20:21], -v[2:3]
	v_fmac_f64_e32 v[72:73], v[38:39], v[24:25]
	v_add_f64 v[0:1], v[0:1], v[2:3]
	v_mul_f64 v[2:3], v[38:39], v[26:27]
	v_add_f64 v[70:71], v[70:71], v[72:73]
	v_mul_f64 v[72:73], v[40:41], v[46:47]
	s_lshl_b64 s[0:1], s[0:1], 4
	v_fma_f64 v[2:3], v[36:37], v[24:25], -v[2:3]
	v_fmac_f64_e32 v[72:73], v[42:43], v[44:45]
	s_add_u32 s4, s18, s0
	v_add_f64 v[0:1], v[0:1], v[2:3]
	v_mul_f64 v[2:3], v[42:43], v[46:47]
	v_add_f64 v[70:71], v[70:71], v[72:73]
	s_addc_u32 s5, s19, s1
	s_lshl_b64 s[0:1], s[6:7], 4
	v_fma_f64 v[2:3], v[40:41], v[44:45], -v[2:3]
	s_add_u32 s4, s4, s0
	v_add_f64 v[0:1], v[0:1], v[2:3]
	v_mul_f64 v[2:3], s[8:9], v[70:71]
	v_mul_f64 v[4:5], s[10:11], v[70:71]
	s_addc_u32 s5, s5, s1
	v_fmac_f64_e32 v[2:3], s[10:11], v[0:1]
	v_fma_f64 v[0:1], s[8:9], v[0:1], -v[4:5]
	v_mad_u64_u32 v[4:5], s[0:1], v48, s2, 0
	v_mov_b32_e32 v6, v5
	v_mad_u64_u32 v[6:7], s[0:1], v48, s3, v[6:7]
	v_mov_b32_e32 v5, v6
	v_lshlrev_b64 v[4:5], 4, v[4:5]
	v_mov_b32_e32 v6, s5
	v_add_co_u32_e32 v4, vcc, s4, v4
	v_addc_co_u32_e32 v5, vcc, v6, v5, vcc
	v_add_co_u32_e32 v4, vcc, v4, v49
	v_addc_co_u32_e32 v5, vcc, 0, v5, vcc
	global_store_dwordx4 v[4:5], v[0:3], off
.LBB186_15:
	s_endpgm
	.section	.rodata,"a",@progbits
	.p2align	6, 0x0
	.amdhsa_kernel _ZL23rocblas_trmm_rNx_kernelILi16E19rocblas_complex_numIdEPKS1_KS3_KPS1_Ev13rocblas_fill_17rocblas_diagonal_iiT1_lPT2_llSB_llPT3_lli
		.amdhsa_group_segment_fixed_size 8192
		.amdhsa_private_segment_fixed_size 0
		.amdhsa_kernarg_size 108
		.amdhsa_user_sgpr_count 6
		.amdhsa_user_sgpr_private_segment_buffer 1
		.amdhsa_user_sgpr_dispatch_ptr 0
		.amdhsa_user_sgpr_queue_ptr 0
		.amdhsa_user_sgpr_kernarg_segment_ptr 1
		.amdhsa_user_sgpr_dispatch_id 0
		.amdhsa_user_sgpr_flat_scratch_init 0
		.amdhsa_user_sgpr_kernarg_preload_length 0
		.amdhsa_user_sgpr_kernarg_preload_offset 0
		.amdhsa_user_sgpr_private_segment_size 0
		.amdhsa_uses_dynamic_stack 0
		.amdhsa_system_sgpr_private_segment_wavefront_offset 0
		.amdhsa_system_sgpr_workgroup_id_x 1
		.amdhsa_system_sgpr_workgroup_id_y 0
		.amdhsa_system_sgpr_workgroup_id_z 1
		.amdhsa_system_sgpr_workgroup_info 0
		.amdhsa_system_vgpr_workitem_id 1
		.amdhsa_next_free_vgpr 75
		.amdhsa_next_free_sgpr 38
		.amdhsa_accum_offset 76
		.amdhsa_reserve_vcc 1
		.amdhsa_reserve_flat_scratch 0
		.amdhsa_float_round_mode_32 0
		.amdhsa_float_round_mode_16_64 0
		.amdhsa_float_denorm_mode_32 3
		.amdhsa_float_denorm_mode_16_64 3
		.amdhsa_dx10_clamp 1
		.amdhsa_ieee_mode 1
		.amdhsa_fp16_overflow 0
		.amdhsa_tg_split 0
		.amdhsa_exception_fp_ieee_invalid_op 0
		.amdhsa_exception_fp_denorm_src 0
		.amdhsa_exception_fp_ieee_div_zero 0
		.amdhsa_exception_fp_ieee_overflow 0
		.amdhsa_exception_fp_ieee_underflow 0
		.amdhsa_exception_fp_ieee_inexact 0
		.amdhsa_exception_int_div_zero 0
	.end_amdhsa_kernel
	.section	.text._ZL23rocblas_trmm_rNx_kernelILi16E19rocblas_complex_numIdEPKS1_KS3_KPS1_Ev13rocblas_fill_17rocblas_diagonal_iiT1_lPT2_llSB_llPT3_lli,"axG",@progbits,_ZL23rocblas_trmm_rNx_kernelILi16E19rocblas_complex_numIdEPKS1_KS3_KPS1_Ev13rocblas_fill_17rocblas_diagonal_iiT1_lPT2_llSB_llPT3_lli,comdat
.Lfunc_end186:
	.size	_ZL23rocblas_trmm_rNx_kernelILi16E19rocblas_complex_numIdEPKS1_KS3_KPS1_Ev13rocblas_fill_17rocblas_diagonal_iiT1_lPT2_llSB_llPT3_lli, .Lfunc_end186-_ZL23rocblas_trmm_rNx_kernelILi16E19rocblas_complex_numIdEPKS1_KS3_KPS1_Ev13rocblas_fill_17rocblas_diagonal_iiT1_lPT2_llSB_llPT3_lli
                                        ; -- End function
	.section	.AMDGPU.csdata,"",@progbits
; Kernel info:
; codeLenInByte = 1840
; NumSgprs: 42
; NumVgprs: 75
; NumAgprs: 0
; TotalNumVgprs: 75
; ScratchSize: 0
; MemoryBound: 0
; FloatMode: 240
; IeeeMode: 1
; LDSByteSize: 8192 bytes/workgroup (compile time only)
; SGPRBlocks: 5
; VGPRBlocks: 9
; NumSGPRsForWavesPerEU: 42
; NumVGPRsForWavesPerEU: 75
; AccumOffset: 76
; Occupancy: 6
; WaveLimiterHint : 1
; COMPUTE_PGM_RSRC2:SCRATCH_EN: 0
; COMPUTE_PGM_RSRC2:USER_SGPR: 6
; COMPUTE_PGM_RSRC2:TRAP_HANDLER: 0
; COMPUTE_PGM_RSRC2:TGID_X_EN: 1
; COMPUTE_PGM_RSRC2:TGID_Y_EN: 0
; COMPUTE_PGM_RSRC2:TGID_Z_EN: 1
; COMPUTE_PGM_RSRC2:TIDIG_COMP_CNT: 1
; COMPUTE_PGM_RSRC3_GFX90A:ACCUM_OFFSET: 18
; COMPUTE_PGM_RSRC3_GFX90A:TG_SPLIT: 0
	.section	.text._ZL23rocblas_trmm_rNx_kernelILi16E19rocblas_complex_numIdES1_KPKS1_KPS1_Ev13rocblas_fill_17rocblas_diagonal_iiT1_lPT2_llSB_llPT3_lli,"axG",@progbits,_ZL23rocblas_trmm_rNx_kernelILi16E19rocblas_complex_numIdES1_KPKS1_KPS1_Ev13rocblas_fill_17rocblas_diagonal_iiT1_lPT2_llSB_llPT3_lli,comdat
	.globl	_ZL23rocblas_trmm_rNx_kernelILi16E19rocblas_complex_numIdES1_KPKS1_KPS1_Ev13rocblas_fill_17rocblas_diagonal_iiT1_lPT2_llSB_llPT3_lli ; -- Begin function _ZL23rocblas_trmm_rNx_kernelILi16E19rocblas_complex_numIdES1_KPKS1_KPS1_Ev13rocblas_fill_17rocblas_diagonal_iiT1_lPT2_llSB_llPT3_lli
	.p2align	8
	.type	_ZL23rocblas_trmm_rNx_kernelILi16E19rocblas_complex_numIdES1_KPKS1_KPS1_Ev13rocblas_fill_17rocblas_diagonal_iiT1_lPT2_llSB_llPT3_lli,@function
_ZL23rocblas_trmm_rNx_kernelILi16E19rocblas_complex_numIdES1_KPKS1_KPS1_Ev13rocblas_fill_17rocblas_diagonal_iiT1_lPT2_llSB_llPT3_lli: ; @_ZL23rocblas_trmm_rNx_kernelILi16E19rocblas_complex_numIdES1_KPKS1_KPS1_Ev13rocblas_fill_17rocblas_diagonal_iiT1_lPT2_llSB_llPT3_lli
; %bb.0:
	s_load_dwordx4 s[24:27], s[4:5], 0x10
	s_waitcnt lgkmcnt(0)
	v_cmp_neq_f64_e64 s[2:3], s[24:25], 0
	v_cmp_neq_f64_e64 s[8:9], s[26:27], 0
	s_or_b64 s[2:3], s[2:3], s[8:9]
	s_andn2_b64 vcc, exec, s[2:3]
	s_cbranch_vccnz .LBB187_15
; %bb.1:
	s_load_dwordx4 s[28:31], s[4:5], 0x0
	s_load_dwordx16 s[8:23], s[4:5], 0x28
	s_mov_b32 s0, s7
	s_mov_b32 s1, 0
	s_lshl_b64 s[36:37], s[0:1], 3
	v_and_b32_e32 v2, 0x3ff, v0
	s_waitcnt lgkmcnt(0)
	s_add_u32 s2, s14, s36
	s_addc_u32 s3, s15, s37
	s_load_dwordx2 s[34:35], s[2:3], 0x0
	s_add_u32 s2, s20, s36
	s_addc_u32 s3, s21, s37
	s_load_dwordx2 s[14:15], s[2:3], 0x0
	s_mov_b32 s2, s1
	s_mov_b32 s3, s1
	v_bfe_u32 v48, v0, 10, 10
	s_mov_b32 s0, s1
	v_pk_mov_b32 v[6:7], s[2:3], s[2:3] op_sel:[0,1]
	v_lshlrev_b32_e32 v0, 4, v48
	v_pk_mov_b32 v[4:5], s[0:1], s[0:1] op_sel:[0,1]
	v_cmp_gt_i32_e32 vcc, s31, v48
	v_cmp_gt_i32_e64 s[0:1], s31, v2
	v_add_lshl_u32 v1, v0, v2, 4
	s_and_b64 s[0:1], vcc, s[0:1]
	v_lshlrev_b32_e32 v49, 4, v2
	ds_write_b128 v1, v[4:7]
	ds_write_b128 v1, v[4:7] offset:4096
	s_and_saveexec_b64 s[2:3], s[0:1]
	s_cbranch_execz .LBB187_3
; %bb.2:
	s_add_u32 s0, s8, s36
	s_addc_u32 s1, s9, s37
	s_load_dwordx2 s[0:1], s[0:1], 0x0
	v_mad_u64_u32 v[4:5], s[8:9], v48, s10, 0
	s_lshl_b64 s[8:9], s[12:13], 4
	v_mov_b32_e32 v6, v5
	s_waitcnt lgkmcnt(0)
	s_add_u32 s7, s0, s8
	s_addc_u32 s8, s1, s9
	v_mad_u64_u32 v[6:7], s[0:1], v48, s11, v[6:7]
	v_mov_b32_e32 v5, v6
	v_lshlrev_b64 v[4:5], 4, v[4:5]
	v_mov_b32_e32 v3, s8
	v_add_co_u32_e64 v4, s[0:1], s7, v4
	v_addc_co_u32_e64 v3, s[0:1], v3, v5, s[0:1]
	v_add_co_u32_e64 v4, s[0:1], v4, v49
	v_addc_co_u32_e64 v5, s[0:1], 0, v3, s[0:1]
	global_load_dwordx4 v[4:7], v[4:5], off
	s_waitcnt vmcnt(0)
	ds_write2_b64 v1, v[4:5], v[6:7] offset1:1
.LBB187_3:
	s_or_b64 exec, exec, s[2:3]
	s_add_i32 s0, s30, -1
	s_ashr_i32 s1, s0, 31
	s_lshr_b32 s1, s1, 28
	s_add_i32 s0, s0, s1
	s_ashr_i32 s1, s0, 4
	s_and_b32 s0, s0, -16
	s_sub_i32 s0, s30, s0
	s_cmp_ge_i32 s6, s1
	s_cselect_b32 s0, s0, 16
	s_lshl_b32 s2, s6, 4
	v_cmp_gt_i32_e64 s[0:1], s0, v2
	s_ashr_i32 s3, s2, 31
	s_and_b64 s[0:1], vcc, s[0:1]
	s_and_saveexec_b64 s[6:7], s[0:1]
	s_cbranch_execz .LBB187_5
; %bb.4:
	s_lshl_b64 s[8:9], s[18:19], 4
	s_waitcnt lgkmcnt(0)
	s_add_u32 s10, s34, s8
	s_addc_u32 s11, s35, s9
	s_lshl_b64 s[8:9], s[2:3], 4
	s_add_u32 s10, s10, s8
	s_addc_u32 s11, s11, s9
	v_mad_u64_u32 v[4:5], s[8:9], v48, s16, 0
	v_mov_b32_e32 v6, v5
	v_mad_u64_u32 v[6:7], s[8:9], v48, s17, v[6:7]
	v_mov_b32_e32 v5, v6
	v_lshlrev_b64 v[4:5], 4, v[4:5]
	v_mov_b32_e32 v3, s11
	v_add_co_u32_e32 v4, vcc, s10, v4
	v_addc_co_u32_e32 v3, vcc, v3, v5, vcc
	v_add_co_u32_e32 v4, vcc, v4, v49
	v_addc_co_u32_e32 v5, vcc, 0, v3, vcc
	global_load_dwordx4 v[4:7], v[4:5], off
	v_add_u32_e32 v3, 0x1000, v1
	s_waitcnt vmcnt(0)
	ds_write2_b64 v3, v[4:5], v[6:7] offset1:1
.LBB187_5:
	s_or_b64 exec, exec, s[6:7]
	s_cmpk_eq_i32 s29, 0x84
	s_cselect_b64 s[6:7], -1, 0
	v_cmp_eq_u32_e32 vcc, v48, v2
	s_and_b64 s[8:9], vcc, s[6:7]
	s_and_saveexec_b64 s[6:7], s[8:9]
	s_cbranch_execz .LBB187_7
; %bb.6:
	v_mov_b32_e32 v4, 0
	v_mov_b32_e32 v5, 0x3ff00000
	;; [unrolled: 1-line block ×4, first 2 shown]
	ds_write_b128 v1, v[4:7]
.LBB187_7:
	s_or_b64 exec, exec, s[6:7]
	s_cmpk_lg_i32 s28, 0x79
	s_cbranch_scc0 .LBB187_9
; %bb.8:
	v_cmp_lt_u32_e32 vcc, v2, v48
	s_and_b64 s[6:7], vcc, exec
	s_cbranch_execz .LBB187_10
	s_branch .LBB187_11
.LBB187_9:
	s_mov_b64 s[6:7], 0
.LBB187_10:
	v_cmp_gt_u32_e32 vcc, v2, v48
	s_andn2_b64 s[6:7], s[6:7], exec
	s_and_b64 s[8:9], vcc, exec
	s_or_b64 s[6:7], s[6:7], s[8:9]
.LBB187_11:
	s_and_saveexec_b64 s[8:9], s[6:7]
	s_cbranch_execz .LBB187_13
; %bb.12:
	v_mov_b32_e32 v2, 0
	v_mov_b32_e32 v3, v2
	;; [unrolled: 1-line block ×4, first 2 shown]
	ds_write_b128 v1, v[2:5]
.LBB187_13:
	s_or_b64 exec, exec, s[8:9]
	s_waitcnt lgkmcnt(0)
	s_barrier
	s_and_saveexec_b64 s[6:7], s[0:1]
	s_cbranch_execz .LBB187_15
; %bb.14:
	v_lshlrev_b32_e32 v74, 4, v0
	ds_read_b128 v[12:15], v49 offset:4096
	ds_read_b128 v[16:19], v74
	ds_read_b128 v[8:11], v74 offset:16
	ds_read_b128 v[4:7], v74 offset:32
	;; [unrolled: 1-line block ×4, first 2 shown]
	s_waitcnt lgkmcnt(4)
	v_mul_f64 v[24:25], v[16:17], v[14:15]
	v_fmac_f64_e32 v[24:25], v[18:19], v[12:13]
	v_add_f64 v[32:33], v[24:25], 0
	ds_read_b128 v[24:27], v49 offset:4608
	ds_read_b128 v[28:31], v49 offset:4864
	s_waitcnt lgkmcnt(2)
	v_mul_f64 v[34:35], v[8:9], v[22:23]
	v_fmac_f64_e32 v[34:35], v[10:11], v[20:21]
	v_add_f64 v[32:33], v[32:33], v[34:35]
	s_waitcnt lgkmcnt(1)
	v_mul_f64 v[34:35], v[4:5], v[26:27]
	v_fmac_f64_e32 v[34:35], v[6:7], v[24:25]
	v_add_f64 v[50:51], v[32:33], v[34:35]
	ds_read_b128 v[32:35], v49 offset:5120
	ds_read_b128 v[36:39], v74 offset:64
	;; [unrolled: 1-line block ×4, first 2 shown]
	s_waitcnt lgkmcnt(4)
	v_mul_f64 v[52:53], v[0:1], v[30:31]
	v_fmac_f64_e32 v[52:53], v[2:3], v[28:29]
	v_add_f64 v[50:51], v[50:51], v[52:53]
	s_waitcnt lgkmcnt(2)
	v_mul_f64 v[52:53], v[36:37], v[34:35]
	v_fmac_f64_e32 v[52:53], v[38:39], v[32:33]
	v_add_f64 v[50:51], v[50:51], v[52:53]
	s_waitcnt lgkmcnt(0)
	v_mul_f64 v[52:53], v[40:41], v[46:47]
	v_fmac_f64_e32 v[52:53], v[42:43], v[44:45]
	v_mul_f64 v[14:15], v[18:19], v[14:15]
	v_add_f64 v[54:55], v[50:51], v[52:53]
	ds_read_b128 v[50:53], v49 offset:5632
	v_fma_f64 v[56:57], v[16:17], v[12:13], -v[14:15]
	ds_read_b128 v[12:15], v74 offset:96
	v_mul_f64 v[10:11], v[10:11], v[22:23]
	v_fma_f64 v[58:59], v[8:9], v[20:21], -v[10:11]
	ds_read_b128 v[8:11], v74 offset:112
	ds_read_b128 v[16:19], v49 offset:5888
	v_mul_f64 v[6:7], v[6:7], v[26:27]
	v_mul_f64 v[2:3], v[2:3], v[30:31]
	v_fma_f64 v[60:61], v[4:5], v[24:25], -v[6:7]
	ds_read_b128 v[4:7], v49 offset:6144
	v_fma_f64 v[64:65], v[0:1], v[28:29], -v[2:3]
	ds_read_b128 v[0:3], v74 offset:128
	s_waitcnt lgkmcnt(4)
	v_mul_f64 v[20:21], v[12:13], v[52:53]
	v_fmac_f64_e32 v[20:21], v[14:15], v[50:51]
	s_waitcnt lgkmcnt(2)
	v_mul_f64 v[62:63], v[8:9], v[18:19]
	v_add_f64 v[54:55], v[54:55], v[20:21]
	v_fmac_f64_e32 v[62:63], v[10:11], v[16:17]
	s_waitcnt lgkmcnt(0)
	v_mul_f64 v[30:31], v[0:1], v[6:7]
	v_mul_f64 v[20:21], v[38:39], v[34:35]
	v_add_f64 v[28:29], v[54:55], v[62:63]
	v_fmac_f64_e32 v[30:31], v[2:3], v[4:5]
	v_fma_f64 v[66:67], v[36:37], v[32:33], -v[20:21]
	ds_read_b128 v[20:23], v74 offset:144
	ds_read_b128 v[24:27], v49 offset:6400
	v_add_f64 v[36:37], v[28:29], v[30:31]
	v_mul_f64 v[28:29], v[42:43], v[46:47]
	v_mul_f64 v[14:15], v[14:15], v[52:53]
	v_fma_f64 v[54:55], v[40:41], v[44:45], -v[28:29]
	v_fma_f64 v[50:51], v[12:13], v[50:51], -v[14:15]
	ds_read_b128 v[12:15], v74 offset:160
	ds_read_b128 v[28:31], v74 offset:176
	;; [unrolled: 1-line block ×3, first 2 shown]
	v_mul_f64 v[10:11], v[10:11], v[18:19]
	v_fma_f64 v[52:53], v[8:9], v[16:17], -v[10:11]
	ds_read_b128 v[8:11], v49 offset:6912
	v_mul_f64 v[2:3], v[2:3], v[6:7]
	v_fma_f64 v[62:63], v[0:1], v[4:5], -v[2:3]
	ds_read_b128 v[0:3], v49 offset:7168
	ds_read_b128 v[4:7], v74 offset:192
	v_add_f64 v[56:57], v[56:57], 0
	s_waitcnt lgkmcnt(6)
	v_mul_f64 v[38:39], v[20:21], v[26:27]
	v_add_f64 v[56:57], v[56:57], v[58:59]
	v_fmac_f64_e32 v[38:39], v[22:23], v[24:25]
	s_waitcnt lgkmcnt(3)
	v_mul_f64 v[18:19], v[12:13], v[34:35]
	v_add_f64 v[56:57], v[56:57], v[60:61]
	v_add_f64 v[16:17], v[36:37], v[38:39]
	v_fmac_f64_e32 v[18:19], v[14:15], v[32:33]
	v_add_f64 v[56:57], v[56:57], v[64:65]
	v_add_f64 v[36:37], v[16:17], v[18:19]
	s_waitcnt lgkmcnt(2)
	v_mul_f64 v[38:39], v[28:29], v[10:11]
	v_mul_f64 v[16:17], v[22:23], v[26:27]
	v_add_f64 v[56:57], v[56:57], v[66:67]
	v_fmac_f64_e32 v[38:39], v[30:31], v[8:9]
	v_fma_f64 v[68:69], v[20:21], v[24:25], -v[16:17]
	ds_read_b128 v[16:19], v74 offset:208
	ds_read_b128 v[20:23], v49 offset:7424
	s_waitcnt lgkmcnt(2)
	v_mul_f64 v[26:27], v[4:5], v[2:3]
	v_add_f64 v[54:55], v[56:57], v[54:55]
	v_add_f64 v[24:25], v[36:37], v[38:39]
	v_fmac_f64_e32 v[26:27], v[6:7], v[0:1]
	v_add_f64 v[50:51], v[54:55], v[50:51]
	v_add_f64 v[70:71], v[24:25], v[26:27]
	ds_read_b128 v[24:27], v49 offset:7680
	ds_read_b128 v[36:39], v74 offset:224
	v_add_f64 v[50:51], v[50:51], v[52:53]
	v_add_f64 v[50:51], v[50:51], v[62:63]
	v_mul_f64 v[14:15], v[14:15], v[34:35]
	ds_read_b128 v[40:43], v74 offset:240
	ds_read_b128 v[44:47], v49 offset:7936
	s_load_dwordx2 s[0:1], s[4:5], 0x68
	v_add_f64 v[50:51], v[50:51], v[68:69]
	v_fma_f64 v[12:13], v[12:13], v[32:33], -v[14:15]
	v_mul_f64 v[10:11], v[30:31], v[10:11]
	s_waitcnt lgkmcnt(0)
	v_mul_f64 v[72:73], v[16:17], v[22:23]
	v_add_f64 v[12:13], v[50:51], v[12:13]
	v_fma_f64 v[8:9], v[28:29], v[8:9], -v[10:11]
	v_mul_f64 v[2:3], v[6:7], v[2:3]
	v_fmac_f64_e32 v[72:73], v[18:19], v[20:21]
	v_add_f64 v[8:9], v[12:13], v[8:9]
	v_fma_f64 v[0:1], v[4:5], v[0:1], -v[2:3]
	v_mul_f64 v[2:3], v[18:19], v[22:23]
	v_add_f64 v[70:71], v[70:71], v[72:73]
	v_mul_f64 v[72:73], v[36:37], v[26:27]
	v_add_f64 v[0:1], v[8:9], v[0:1]
	v_fma_f64 v[2:3], v[16:17], v[20:21], -v[2:3]
	v_fmac_f64_e32 v[72:73], v[38:39], v[24:25]
	v_add_f64 v[0:1], v[0:1], v[2:3]
	v_mul_f64 v[2:3], v[38:39], v[26:27]
	v_add_f64 v[70:71], v[70:71], v[72:73]
	v_mul_f64 v[72:73], v[40:41], v[46:47]
	s_lshl_b64 s[0:1], s[0:1], 4
	v_fma_f64 v[2:3], v[36:37], v[24:25], -v[2:3]
	v_fmac_f64_e32 v[72:73], v[42:43], v[44:45]
	s_add_u32 s4, s14, s0
	v_add_f64 v[0:1], v[0:1], v[2:3]
	v_mul_f64 v[2:3], v[42:43], v[46:47]
	v_add_f64 v[70:71], v[70:71], v[72:73]
	s_addc_u32 s5, s15, s1
	s_lshl_b64 s[0:1], s[2:3], 4
	v_fma_f64 v[2:3], v[40:41], v[44:45], -v[2:3]
	s_add_u32 s2, s4, s0
	v_add_f64 v[0:1], v[0:1], v[2:3]
	v_mul_f64 v[2:3], s[24:25], v[70:71]
	v_mul_f64 v[4:5], s[26:27], v[70:71]
	s_addc_u32 s3, s5, s1
	v_fmac_f64_e32 v[2:3], s[26:27], v[0:1]
	v_fma_f64 v[0:1], s[24:25], v[0:1], -v[4:5]
	v_mad_u64_u32 v[4:5], s[0:1], v48, s22, 0
	v_mov_b32_e32 v6, v5
	v_mad_u64_u32 v[6:7], s[0:1], v48, s23, v[6:7]
	v_mov_b32_e32 v5, v6
	v_lshlrev_b64 v[4:5], 4, v[4:5]
	v_mov_b32_e32 v6, s3
	v_add_co_u32_e32 v4, vcc, s2, v4
	v_addc_co_u32_e32 v5, vcc, v6, v5, vcc
	v_add_co_u32_e32 v4, vcc, v4, v49
	v_addc_co_u32_e32 v5, vcc, 0, v5, vcc
	global_store_dwordx4 v[4:5], v[0:3], off
.LBB187_15:
	s_endpgm
	.section	.rodata,"a",@progbits
	.p2align	6, 0x0
	.amdhsa_kernel _ZL23rocblas_trmm_rNx_kernelILi16E19rocblas_complex_numIdES1_KPKS1_KPS1_Ev13rocblas_fill_17rocblas_diagonal_iiT1_lPT2_llSB_llPT3_lli
		.amdhsa_group_segment_fixed_size 8192
		.amdhsa_private_segment_fixed_size 0
		.amdhsa_kernarg_size 116
		.amdhsa_user_sgpr_count 6
		.amdhsa_user_sgpr_private_segment_buffer 1
		.amdhsa_user_sgpr_dispatch_ptr 0
		.amdhsa_user_sgpr_queue_ptr 0
		.amdhsa_user_sgpr_kernarg_segment_ptr 1
		.amdhsa_user_sgpr_dispatch_id 0
		.amdhsa_user_sgpr_flat_scratch_init 0
		.amdhsa_user_sgpr_kernarg_preload_length 0
		.amdhsa_user_sgpr_kernarg_preload_offset 0
		.amdhsa_user_sgpr_private_segment_size 0
		.amdhsa_uses_dynamic_stack 0
		.amdhsa_system_sgpr_private_segment_wavefront_offset 0
		.amdhsa_system_sgpr_workgroup_id_x 1
		.amdhsa_system_sgpr_workgroup_id_y 0
		.amdhsa_system_sgpr_workgroup_id_z 1
		.amdhsa_system_sgpr_workgroup_info 0
		.amdhsa_system_vgpr_workitem_id 1
		.amdhsa_next_free_vgpr 75
		.amdhsa_next_free_sgpr 38
		.amdhsa_accum_offset 76
		.amdhsa_reserve_vcc 1
		.amdhsa_reserve_flat_scratch 0
		.amdhsa_float_round_mode_32 0
		.amdhsa_float_round_mode_16_64 0
		.amdhsa_float_denorm_mode_32 3
		.amdhsa_float_denorm_mode_16_64 3
		.amdhsa_dx10_clamp 1
		.amdhsa_ieee_mode 1
		.amdhsa_fp16_overflow 0
		.amdhsa_tg_split 0
		.amdhsa_exception_fp_ieee_invalid_op 0
		.amdhsa_exception_fp_denorm_src 0
		.amdhsa_exception_fp_ieee_div_zero 0
		.amdhsa_exception_fp_ieee_overflow 0
		.amdhsa_exception_fp_ieee_underflow 0
		.amdhsa_exception_fp_ieee_inexact 0
		.amdhsa_exception_int_div_zero 0
	.end_amdhsa_kernel
	.section	.text._ZL23rocblas_trmm_rNx_kernelILi16E19rocblas_complex_numIdES1_KPKS1_KPS1_Ev13rocblas_fill_17rocblas_diagonal_iiT1_lPT2_llSB_llPT3_lli,"axG",@progbits,_ZL23rocblas_trmm_rNx_kernelILi16E19rocblas_complex_numIdES1_KPKS1_KPS1_Ev13rocblas_fill_17rocblas_diagonal_iiT1_lPT2_llSB_llPT3_lli,comdat
.Lfunc_end187:
	.size	_ZL23rocblas_trmm_rNx_kernelILi16E19rocblas_complex_numIdES1_KPKS1_KPS1_Ev13rocblas_fill_17rocblas_diagonal_iiT1_lPT2_llSB_llPT3_lli, .Lfunc_end187-_ZL23rocblas_trmm_rNx_kernelILi16E19rocblas_complex_numIdES1_KPKS1_KPS1_Ev13rocblas_fill_17rocblas_diagonal_iiT1_lPT2_llSB_llPT3_lli
                                        ; -- End function
	.section	.AMDGPU.csdata,"",@progbits
; Kernel info:
; codeLenInByte = 1800
; NumSgprs: 42
; NumVgprs: 75
; NumAgprs: 0
; TotalNumVgprs: 75
; ScratchSize: 0
; MemoryBound: 0
; FloatMode: 240
; IeeeMode: 1
; LDSByteSize: 8192 bytes/workgroup (compile time only)
; SGPRBlocks: 5
; VGPRBlocks: 9
; NumSGPRsForWavesPerEU: 42
; NumVGPRsForWavesPerEU: 75
; AccumOffset: 76
; Occupancy: 6
; WaveLimiterHint : 1
; COMPUTE_PGM_RSRC2:SCRATCH_EN: 0
; COMPUTE_PGM_RSRC2:USER_SGPR: 6
; COMPUTE_PGM_RSRC2:TRAP_HANDLER: 0
; COMPUTE_PGM_RSRC2:TGID_X_EN: 1
; COMPUTE_PGM_RSRC2:TGID_Y_EN: 0
; COMPUTE_PGM_RSRC2:TGID_Z_EN: 1
; COMPUTE_PGM_RSRC2:TIDIG_COMP_CNT: 1
; COMPUTE_PGM_RSRC3_GFX90A:ACCUM_OFFSET: 18
; COMPUTE_PGM_RSRC3_GFX90A:TG_SPLIT: 0
	.section	.text._ZL23rocblas_trmm_rTx_kernelILi16ELb0E19rocblas_complex_numIdEPKS1_KS3_KPS1_Ev13rocblas_fill_17rocblas_diagonal_iiT2_lPT3_llSB_llPT4_lli,"axG",@progbits,_ZL23rocblas_trmm_rTx_kernelILi16ELb0E19rocblas_complex_numIdEPKS1_KS3_KPS1_Ev13rocblas_fill_17rocblas_diagonal_iiT2_lPT3_llSB_llPT4_lli,comdat
	.globl	_ZL23rocblas_trmm_rTx_kernelILi16ELb0E19rocblas_complex_numIdEPKS1_KS3_KPS1_Ev13rocblas_fill_17rocblas_diagonal_iiT2_lPT3_llSB_llPT4_lli ; -- Begin function _ZL23rocblas_trmm_rTx_kernelILi16ELb0E19rocblas_complex_numIdEPKS1_KS3_KPS1_Ev13rocblas_fill_17rocblas_diagonal_iiT2_lPT3_llSB_llPT4_lli
	.p2align	8
	.type	_ZL23rocblas_trmm_rTx_kernelILi16ELb0E19rocblas_complex_numIdEPKS1_KS3_KPS1_Ev13rocblas_fill_17rocblas_diagonal_iiT2_lPT3_llSB_llPT4_lli,@function
_ZL23rocblas_trmm_rTx_kernelILi16ELb0E19rocblas_complex_numIdEPKS1_KS3_KPS1_Ev13rocblas_fill_17rocblas_diagonal_iiT2_lPT3_llSB_llPT4_lli: ; @_ZL23rocblas_trmm_rTx_kernelILi16ELb0E19rocblas_complex_numIdEPKS1_KS3_KPS1_Ev13rocblas_fill_17rocblas_diagonal_iiT2_lPT3_llSB_llPT4_lli
; %bb.0:
	s_load_dwordx16 s[8:23], s[4:5], 0x10
	s_waitcnt lgkmcnt(0)
	s_mul_i32 s0, s7, s11
	s_mul_hi_u32 s1, s7, s10
	s_add_i32 s1, s1, s0
	s_mul_i32 s0, s7, s10
	s_lshl_b64 s[0:1], s[0:1], 4
	s_add_u32 s0, s8, s0
	s_addc_u32 s1, s9, s1
	s_load_dwordx4 s[8:11], s[0:1], 0x0
	s_waitcnt lgkmcnt(0)
	v_cmp_neq_f64_e64 s[0:1], s[8:9], 0
	v_cmp_neq_f64_e64 s[2:3], s[10:11], 0
	s_or_b64 s[0:1], s[0:1], s[2:3]
	s_andn2_b64 vcc, exec, s[0:1]
	s_cbranch_vccnz .LBB188_15
; %bb.1:
	s_load_dwordx4 s[24:27], s[4:5], 0x0
	s_load_dwordx4 s[0:3], s[4:5], 0x50
	s_mov_b32 s28, s7
	s_mov_b32 s29, 0
	s_lshl_b64 s[36:37], s[28:29], 3
	s_add_u32 s18, s18, s36
	s_addc_u32 s19, s19, s37
	s_waitcnt lgkmcnt(0)
	s_add_u32 s0, s0, s36
	s_addc_u32 s1, s1, s37
	s_load_dwordx2 s[34:35], s[18:19], 0x0
	v_and_b32_e32 v1, 0x3ff, v0
	s_load_dwordx2 s[18:19], s[0:1], 0x0
	v_bfe_u32 v48, v0, 10, 10
	s_mov_b32 s28, s29
	v_lshlrev_b32_e32 v50, 4, v48
	s_mov_b32 s30, s29
	s_mov_b32 s31, s29
	v_pk_mov_b32 v[2:3], s[28:29], s[28:29] op_sel:[0,1]
	v_cmp_gt_i32_e32 vcc, s27, v48
	v_cmp_gt_i32_e64 s[0:1], s27, v1
	v_add_lshl_u32 v0, v50, v1, 4
	v_pk_mov_b32 v[4:5], s[30:31], s[30:31] op_sel:[0,1]
	s_and_b64 s[0:1], vcc, s[0:1]
	v_lshlrev_b32_e32 v49, 4, v1
	ds_write_b128 v0, v[2:5]
	ds_write_b128 v0, v[2:5] offset:4096
	s_and_saveexec_b64 s[28:29], s[0:1]
	s_cbranch_execz .LBB188_3
; %bb.2:
	s_add_u32 s0, s12, s36
	s_addc_u32 s1, s13, s37
	s_load_dwordx2 s[0:1], s[0:1], 0x0
	v_mad_u64_u32 v[2:3], s[12:13], v48, s14, 0
	s_lshl_b64 s[12:13], s[16:17], 4
	v_mov_b32_e32 v4, v3
	s_waitcnt lgkmcnt(0)
	s_add_u32 s7, s0, s12
	s_addc_u32 s12, s1, s13
	v_mad_u64_u32 v[4:5], s[0:1], v48, s15, v[4:5]
	v_mov_b32_e32 v3, v4
	v_lshlrev_b64 v[2:3], 4, v[2:3]
	v_mov_b32_e32 v4, s12
	v_add_co_u32_e64 v2, s[0:1], s7, v2
	v_addc_co_u32_e64 v3, s[0:1], v4, v3, s[0:1]
	v_add_co_u32_e64 v2, s[0:1], v2, v49
	v_addc_co_u32_e64 v3, s[0:1], 0, v3, s[0:1]
	global_load_dwordx4 v[2:5], v[2:3], off
	s_waitcnt vmcnt(0)
	ds_write2_b64 v0, v[2:3], v[4:5] offset1:1
.LBB188_3:
	s_or_b64 exec, exec, s[28:29]
	s_add_i32 s0, s26, -1
	s_ashr_i32 s1, s0, 31
	s_lshr_b32 s1, s1, 28
	s_add_i32 s0, s0, s1
	s_ashr_i32 s1, s0, 4
	s_and_b32 s0, s0, -16
	s_sub_i32 s0, s26, s0
	s_cmp_ge_i32 s6, s1
	s_cselect_b32 s0, s0, 16
	s_lshl_b32 s6, s6, 4
	v_cmp_gt_i32_e64 s[0:1], s0, v1
	s_ashr_i32 s7, s6, 31
	s_and_b64 s[0:1], vcc, s[0:1]
	s_and_saveexec_b64 s[12:13], s[0:1]
	s_cbranch_execz .LBB188_5
; %bb.4:
	s_lshl_b64 s[14:15], s[22:23], 4
	s_waitcnt lgkmcnt(0)
	s_add_u32 s16, s34, s14
	s_addc_u32 s17, s35, s15
	s_lshl_b64 s[14:15], s[6:7], 4
	s_add_u32 s16, s16, s14
	s_addc_u32 s17, s17, s15
	v_mad_u64_u32 v[2:3], s[14:15], v48, s20, 0
	v_mov_b32_e32 v4, v3
	v_mad_u64_u32 v[4:5], s[14:15], v48, s21, v[4:5]
	v_mov_b32_e32 v3, v4
	v_lshlrev_b64 v[2:3], 4, v[2:3]
	v_mov_b32_e32 v4, s17
	v_add_co_u32_e32 v2, vcc, s16, v2
	v_addc_co_u32_e32 v3, vcc, v4, v3, vcc
	v_add_co_u32_e32 v2, vcc, v2, v49
	v_addc_co_u32_e32 v3, vcc, 0, v3, vcc
	global_load_dwordx4 v[2:5], v[2:3], off
	v_add_u32_e32 v6, 0x1000, v0
	s_waitcnt vmcnt(0)
	ds_write2_b64 v6, v[2:3], v[4:5] offset1:1
.LBB188_5:
	s_or_b64 exec, exec, s[12:13]
	s_cmpk_eq_i32 s25, 0x84
	s_cselect_b64 s[12:13], -1, 0
	v_cmp_eq_u32_e32 vcc, v48, v1
	s_and_b64 s[14:15], vcc, s[12:13]
	s_and_saveexec_b64 s[12:13], s[14:15]
	s_cbranch_execz .LBB188_7
; %bb.6:
	v_mov_b32_e32 v2, 0
	v_mov_b32_e32 v3, 0x3ff00000
	;; [unrolled: 1-line block ×4, first 2 shown]
	ds_write_b128 v0, v[2:5]
.LBB188_7:
	s_or_b64 exec, exec, s[12:13]
	s_cmpk_lg_i32 s24, 0x79
	s_cbranch_scc0 .LBB188_9
; %bb.8:
	v_cmp_lt_u32_e32 vcc, v1, v48
	s_and_b64 s[12:13], vcc, exec
	s_cbranch_execz .LBB188_10
	s_branch .LBB188_11
.LBB188_9:
	s_mov_b64 s[12:13], 0
.LBB188_10:
	v_cmp_gt_u32_e32 vcc, v1, v48
	s_andn2_b64 s[12:13], s[12:13], exec
	s_and_b64 s[14:15], vcc, exec
	s_or_b64 s[12:13], s[12:13], s[14:15]
.LBB188_11:
	s_and_saveexec_b64 s[14:15], s[12:13]
	s_cbranch_execz .LBB188_13
; %bb.12:
	v_mov_b32_e32 v2, 0
	v_mov_b32_e32 v3, v2
	;; [unrolled: 1-line block ×4, first 2 shown]
	ds_write_b128 v0, v[2:5]
.LBB188_13:
	s_or_b64 exec, exec, s[14:15]
	s_waitcnt lgkmcnt(0)
	s_barrier
	s_and_saveexec_b64 s[12:13], s[0:1]
	s_cbranch_execz .LBB188_15
; %bb.14:
	ds_read_b128 v[0:3], v50
	ds_read_b128 v[4:7], v50 offset:256
	ds_read_b128 v[8:11], v49 offset:4096
	;; [unrolled: 1-line block ×3, first 2 shown]
	s_load_dwordx2 s[0:1], s[4:5], 0x60
	s_waitcnt lgkmcnt(0)
	v_mul_f64 v[16:17], v[0:1], v[10:11]
	v_fmac_f64_e32 v[16:17], v[2:3], v[8:9]
	v_add_f64 v[34:35], v[16:17], 0
	ds_read_b128 v[16:19], v49 offset:4608
	ds_read_b128 v[20:23], v50 offset:512
	v_mul_f64 v[32:33], v[4:5], v[14:15]
	v_fmac_f64_e32 v[32:33], v[6:7], v[12:13]
	ds_read_b128 v[24:27], v50 offset:768
	ds_read_b128 v[28:31], v49 offset:4864
	v_add_f64 v[32:33], v[34:35], v[32:33]
	s_waitcnt lgkmcnt(2)
	v_mul_f64 v[34:35], v[20:21], v[18:19]
	v_fmac_f64_e32 v[34:35], v[22:23], v[16:17]
	v_add_f64 v[52:53], v[32:33], v[34:35]
	ds_read_b128 v[32:35], v49 offset:5120
	ds_read_b128 v[36:39], v50 offset:1024
	;; [unrolled: 1-line block ×4, first 2 shown]
	s_waitcnt lgkmcnt(4)
	v_mul_f64 v[54:55], v[24:25], v[30:31]
	v_fmac_f64_e32 v[54:55], v[26:27], v[28:29]
	v_add_f64 v[52:53], v[52:53], v[54:55]
	s_waitcnt lgkmcnt(2)
	v_mul_f64 v[54:55], v[36:37], v[34:35]
	v_fmac_f64_e32 v[54:55], v[38:39], v[32:33]
	v_add_f64 v[52:53], v[52:53], v[54:55]
	s_waitcnt lgkmcnt(0)
	v_mul_f64 v[54:55], v[40:41], v[46:47]
	v_fmac_f64_e32 v[54:55], v[42:43], v[44:45]
	v_mul_f64 v[2:3], v[2:3], v[10:11]
	v_add_f64 v[56:57], v[52:53], v[54:55]
	ds_read_b128 v[52:55], v49 offset:5632
	v_fma_f64 v[58:59], v[0:1], v[8:9], -v[2:3]
	ds_read_b128 v[0:3], v50 offset:1536
	v_mul_f64 v[6:7], v[6:7], v[14:15]
	v_fma_f64 v[60:61], v[4:5], v[12:13], -v[6:7]
	ds_read_b128 v[4:7], v50 offset:1792
	ds_read_b128 v[8:11], v49 offset:5888
	v_add_f64 v[58:59], v[58:59], 0
	s_waitcnt lgkmcnt(2)
	v_mul_f64 v[12:13], v[0:1], v[54:55]
	v_fmac_f64_e32 v[12:13], v[2:3], v[52:53]
	v_add_f64 v[56:57], v[56:57], v[12:13]
	v_mul_f64 v[12:13], v[22:23], v[18:19]
	v_fma_f64 v[62:63], v[20:21], v[16:17], -v[12:13]
	v_mul_f64 v[16:17], v[26:27], v[30:31]
	ds_read_b128 v[12:15], v49 offset:6144
	v_fma_f64 v[66:67], v[24:25], v[28:29], -v[16:17]
	ds_read_b128 v[16:19], v50 offset:2048
	s_waitcnt lgkmcnt(2)
	v_mul_f64 v[64:65], v[4:5], v[10:11]
	v_fmac_f64_e32 v[64:65], v[6:7], v[8:9]
	v_mul_f64 v[20:21], v[38:39], v[34:35]
	v_add_f64 v[28:29], v[56:57], v[64:65]
	s_waitcnt lgkmcnt(0)
	v_mul_f64 v[30:31], v[16:17], v[14:15]
	v_fmac_f64_e32 v[30:31], v[18:19], v[12:13]
	v_fma_f64 v[68:69], v[36:37], v[32:33], -v[20:21]
	ds_read_b128 v[20:23], v50 offset:2304
	ds_read_b128 v[24:27], v49 offset:6400
	v_add_f64 v[36:37], v[28:29], v[30:31]
	v_mul_f64 v[28:29], v[42:43], v[46:47]
	v_mul_f64 v[2:3], v[2:3], v[54:55]
	v_fma_f64 v[56:57], v[40:41], v[44:45], -v[28:29]
	v_fma_f64 v[52:53], v[0:1], v[52:53], -v[2:3]
	ds_read_b128 v[0:3], v50 offset:2560
	ds_read_b128 v[28:31], v50 offset:2816
	;; [unrolled: 1-line block ×3, first 2 shown]
	s_waitcnt lgkmcnt(3)
	v_mul_f64 v[38:39], v[20:21], v[26:27]
	v_fmac_f64_e32 v[38:39], v[22:23], v[24:25]
	v_mul_f64 v[6:7], v[6:7], v[10:11]
	v_fma_f64 v[54:55], v[4:5], v[8:9], -v[6:7]
	s_waitcnt lgkmcnt(0)
	v_mul_f64 v[10:11], v[0:1], v[34:35]
	v_add_f64 v[8:9], v[36:37], v[38:39]
	v_fmac_f64_e32 v[10:11], v[2:3], v[32:33]
	ds_read_b128 v[4:7], v49 offset:6912
	v_add_f64 v[36:37], v[8:9], v[10:11]
	v_mul_f64 v[8:9], v[18:19], v[14:15]
	v_add_f64 v[58:59], v[58:59], v[60:61]
	v_fma_f64 v[64:65], v[16:17], v[12:13], -v[8:9]
	ds_read_b128 v[8:11], v49 offset:7168
	ds_read_b128 v[12:15], v50 offset:3072
	v_add_f64 v[58:59], v[58:59], v[62:63]
	v_add_f64 v[58:59], v[58:59], v[66:67]
	;; [unrolled: 1-line block ×4, first 2 shown]
	s_waitcnt lgkmcnt(2)
	v_mul_f64 v[38:39], v[28:29], v[6:7]
	v_mul_f64 v[16:17], v[22:23], v[26:27]
	v_add_f64 v[52:53], v[56:57], v[52:53]
	v_fmac_f64_e32 v[38:39], v[30:31], v[4:5]
	v_fma_f64 v[70:71], v[20:21], v[24:25], -v[16:17]
	ds_read_b128 v[16:19], v50 offset:3328
	ds_read_b128 v[20:23], v49 offset:7424
	s_waitcnt lgkmcnt(2)
	v_mul_f64 v[26:27], v[12:13], v[10:11]
	v_add_f64 v[52:53], v[52:53], v[54:55]
	v_add_f64 v[24:25], v[36:37], v[38:39]
	v_fmac_f64_e32 v[26:27], v[14:15], v[8:9]
	v_add_f64 v[52:53], v[52:53], v[64:65]
	v_mul_f64 v[2:3], v[2:3], v[34:35]
	v_add_f64 v[72:73], v[24:25], v[26:27]
	ds_read_b128 v[24:27], v49 offset:7680
	ds_read_b128 v[36:39], v50 offset:3584
	v_add_f64 v[52:53], v[52:53], v[70:71]
	v_fma_f64 v[0:1], v[0:1], v[32:33], -v[2:3]
	v_mul_f64 v[2:3], v[30:31], v[6:7]
	v_add_f64 v[0:1], v[52:53], v[0:1]
	v_fma_f64 v[2:3], v[28:29], v[4:5], -v[2:3]
	ds_read_b128 v[40:43], v50 offset:3840
	ds_read_b128 v[44:47], v49 offset:7936
	v_add_f64 v[0:1], v[0:1], v[2:3]
	v_mul_f64 v[2:3], v[14:15], v[10:11]
	s_waitcnt lgkmcnt(4)
	v_mul_f64 v[74:75], v[16:17], v[22:23]
	v_fma_f64 v[2:3], v[12:13], v[8:9], -v[2:3]
	v_fmac_f64_e32 v[74:75], v[18:19], v[20:21]
	v_add_f64 v[0:1], v[0:1], v[2:3]
	v_mul_f64 v[2:3], v[18:19], v[22:23]
	v_add_f64 v[50:51], v[72:73], v[74:75]
	s_waitcnt lgkmcnt(2)
	v_mul_f64 v[72:73], v[36:37], v[26:27]
	v_fma_f64 v[2:3], v[16:17], v[20:21], -v[2:3]
	v_fmac_f64_e32 v[72:73], v[38:39], v[24:25]
	v_add_f64 v[0:1], v[0:1], v[2:3]
	v_mul_f64 v[2:3], v[38:39], v[26:27]
	v_add_f64 v[50:51], v[50:51], v[72:73]
	s_waitcnt lgkmcnt(0)
	v_mul_f64 v[72:73], v[40:41], v[46:47]
	s_lshl_b64 s[0:1], s[0:1], 4
	v_fma_f64 v[2:3], v[36:37], v[24:25], -v[2:3]
	v_fmac_f64_e32 v[72:73], v[42:43], v[44:45]
	s_add_u32 s4, s18, s0
	v_add_f64 v[0:1], v[0:1], v[2:3]
	v_mul_f64 v[2:3], v[42:43], v[46:47]
	v_add_f64 v[50:51], v[50:51], v[72:73]
	s_addc_u32 s5, s19, s1
	s_lshl_b64 s[0:1], s[6:7], 4
	v_fma_f64 v[2:3], v[40:41], v[44:45], -v[2:3]
	s_add_u32 s4, s4, s0
	v_add_f64 v[0:1], v[0:1], v[2:3]
	v_mul_f64 v[2:3], s[8:9], v[50:51]
	v_mul_f64 v[4:5], s[10:11], v[50:51]
	s_addc_u32 s5, s5, s1
	v_fmac_f64_e32 v[2:3], s[10:11], v[0:1]
	v_fma_f64 v[0:1], s[8:9], v[0:1], -v[4:5]
	v_mad_u64_u32 v[4:5], s[0:1], v48, s2, 0
	v_mov_b32_e32 v6, v5
	v_mad_u64_u32 v[6:7], s[0:1], v48, s3, v[6:7]
	v_mov_b32_e32 v5, v6
	v_lshlrev_b64 v[4:5], 4, v[4:5]
	v_mov_b32_e32 v6, s5
	v_add_co_u32_e32 v4, vcc, s4, v4
	v_addc_co_u32_e32 v5, vcc, v6, v5, vcc
	v_add_co_u32_e32 v4, vcc, v4, v49
	v_addc_co_u32_e32 v5, vcc, 0, v5, vcc
	global_store_dwordx4 v[4:5], v[0:3], off
.LBB188_15:
	s_endpgm
	.section	.rodata,"a",@progbits
	.p2align	6, 0x0
	.amdhsa_kernel _ZL23rocblas_trmm_rTx_kernelILi16ELb0E19rocblas_complex_numIdEPKS1_KS3_KPS1_Ev13rocblas_fill_17rocblas_diagonal_iiT2_lPT3_llSB_llPT4_lli
		.amdhsa_group_segment_fixed_size 8192
		.amdhsa_private_segment_fixed_size 0
		.amdhsa_kernarg_size 108
		.amdhsa_user_sgpr_count 6
		.amdhsa_user_sgpr_private_segment_buffer 1
		.amdhsa_user_sgpr_dispatch_ptr 0
		.amdhsa_user_sgpr_queue_ptr 0
		.amdhsa_user_sgpr_kernarg_segment_ptr 1
		.amdhsa_user_sgpr_dispatch_id 0
		.amdhsa_user_sgpr_flat_scratch_init 0
		.amdhsa_user_sgpr_kernarg_preload_length 0
		.amdhsa_user_sgpr_kernarg_preload_offset 0
		.amdhsa_user_sgpr_private_segment_size 0
		.amdhsa_uses_dynamic_stack 0
		.amdhsa_system_sgpr_private_segment_wavefront_offset 0
		.amdhsa_system_sgpr_workgroup_id_x 1
		.amdhsa_system_sgpr_workgroup_id_y 0
		.amdhsa_system_sgpr_workgroup_id_z 1
		.amdhsa_system_sgpr_workgroup_info 0
		.amdhsa_system_vgpr_workitem_id 1
		.amdhsa_next_free_vgpr 76
		.amdhsa_next_free_sgpr 38
		.amdhsa_accum_offset 76
		.amdhsa_reserve_vcc 1
		.amdhsa_reserve_flat_scratch 0
		.amdhsa_float_round_mode_32 0
		.amdhsa_float_round_mode_16_64 0
		.amdhsa_float_denorm_mode_32 3
		.amdhsa_float_denorm_mode_16_64 3
		.amdhsa_dx10_clamp 1
		.amdhsa_ieee_mode 1
		.amdhsa_fp16_overflow 0
		.amdhsa_tg_split 0
		.amdhsa_exception_fp_ieee_invalid_op 0
		.amdhsa_exception_fp_denorm_src 0
		.amdhsa_exception_fp_ieee_div_zero 0
		.amdhsa_exception_fp_ieee_overflow 0
		.amdhsa_exception_fp_ieee_underflow 0
		.amdhsa_exception_fp_ieee_inexact 0
		.amdhsa_exception_int_div_zero 0
	.end_amdhsa_kernel
	.section	.text._ZL23rocblas_trmm_rTx_kernelILi16ELb0E19rocblas_complex_numIdEPKS1_KS3_KPS1_Ev13rocblas_fill_17rocblas_diagonal_iiT2_lPT3_llSB_llPT4_lli,"axG",@progbits,_ZL23rocblas_trmm_rTx_kernelILi16ELb0E19rocblas_complex_numIdEPKS1_KS3_KPS1_Ev13rocblas_fill_17rocblas_diagonal_iiT2_lPT3_llSB_llPT4_lli,comdat
.Lfunc_end188:
	.size	_ZL23rocblas_trmm_rTx_kernelILi16ELb0E19rocblas_complex_numIdEPKS1_KS3_KPS1_Ev13rocblas_fill_17rocblas_diagonal_iiT2_lPT3_llSB_llPT4_lli, .Lfunc_end188-_ZL23rocblas_trmm_rTx_kernelILi16ELb0E19rocblas_complex_numIdEPKS1_KS3_KPS1_Ev13rocblas_fill_17rocblas_diagonal_iiT2_lPT3_llSB_llPT4_lli
                                        ; -- End function
	.section	.AMDGPU.csdata,"",@progbits
; Kernel info:
; codeLenInByte = 1840
; NumSgprs: 42
; NumVgprs: 76
; NumAgprs: 0
; TotalNumVgprs: 76
; ScratchSize: 0
; MemoryBound: 0
; FloatMode: 240
; IeeeMode: 1
; LDSByteSize: 8192 bytes/workgroup (compile time only)
; SGPRBlocks: 5
; VGPRBlocks: 9
; NumSGPRsForWavesPerEU: 42
; NumVGPRsForWavesPerEU: 76
; AccumOffset: 76
; Occupancy: 6
; WaveLimiterHint : 1
; COMPUTE_PGM_RSRC2:SCRATCH_EN: 0
; COMPUTE_PGM_RSRC2:USER_SGPR: 6
; COMPUTE_PGM_RSRC2:TRAP_HANDLER: 0
; COMPUTE_PGM_RSRC2:TGID_X_EN: 1
; COMPUTE_PGM_RSRC2:TGID_Y_EN: 0
; COMPUTE_PGM_RSRC2:TGID_Z_EN: 1
; COMPUTE_PGM_RSRC2:TIDIG_COMP_CNT: 1
; COMPUTE_PGM_RSRC3_GFX90A:ACCUM_OFFSET: 18
; COMPUTE_PGM_RSRC3_GFX90A:TG_SPLIT: 0
	.section	.text._ZL23rocblas_trmm_rTx_kernelILi16ELb0E19rocblas_complex_numIdES1_KPKS1_KPS1_Ev13rocblas_fill_17rocblas_diagonal_iiT2_lPT3_llSB_llPT4_lli,"axG",@progbits,_ZL23rocblas_trmm_rTx_kernelILi16ELb0E19rocblas_complex_numIdES1_KPKS1_KPS1_Ev13rocblas_fill_17rocblas_diagonal_iiT2_lPT3_llSB_llPT4_lli,comdat
	.globl	_ZL23rocblas_trmm_rTx_kernelILi16ELb0E19rocblas_complex_numIdES1_KPKS1_KPS1_Ev13rocblas_fill_17rocblas_diagonal_iiT2_lPT3_llSB_llPT4_lli ; -- Begin function _ZL23rocblas_trmm_rTx_kernelILi16ELb0E19rocblas_complex_numIdES1_KPKS1_KPS1_Ev13rocblas_fill_17rocblas_diagonal_iiT2_lPT3_llSB_llPT4_lli
	.p2align	8
	.type	_ZL23rocblas_trmm_rTx_kernelILi16ELb0E19rocblas_complex_numIdES1_KPKS1_KPS1_Ev13rocblas_fill_17rocblas_diagonal_iiT2_lPT3_llSB_llPT4_lli,@function
_ZL23rocblas_trmm_rTx_kernelILi16ELb0E19rocblas_complex_numIdES1_KPKS1_KPS1_Ev13rocblas_fill_17rocblas_diagonal_iiT2_lPT3_llSB_llPT4_lli: ; @_ZL23rocblas_trmm_rTx_kernelILi16ELb0E19rocblas_complex_numIdES1_KPKS1_KPS1_Ev13rocblas_fill_17rocblas_diagonal_iiT2_lPT3_llSB_llPT4_lli
; %bb.0:
	s_load_dwordx4 s[24:27], s[4:5], 0x10
	s_waitcnt lgkmcnt(0)
	v_cmp_neq_f64_e64 s[2:3], s[24:25], 0
	v_cmp_neq_f64_e64 s[8:9], s[26:27], 0
	s_or_b64 s[2:3], s[2:3], s[8:9]
	s_andn2_b64 vcc, exec, s[2:3]
	s_cbranch_vccnz .LBB189_15
; %bb.1:
	s_load_dwordx4 s[28:31], s[4:5], 0x0
	s_load_dwordx16 s[8:23], s[4:5], 0x28
	s_mov_b32 s0, s7
	s_mov_b32 s1, 0
	s_lshl_b64 s[36:37], s[0:1], 3
	v_and_b32_e32 v1, 0x3ff, v0
	s_waitcnt lgkmcnt(0)
	s_add_u32 s2, s14, s36
	s_addc_u32 s3, s15, s37
	s_load_dwordx2 s[34:35], s[2:3], 0x0
	s_add_u32 s2, s20, s36
	s_addc_u32 s3, s21, s37
	s_load_dwordx2 s[14:15], s[2:3], 0x0
	s_mov_b32 s2, s1
	s_mov_b32 s3, s1
	v_bfe_u32 v48, v0, 10, 10
	s_mov_b32 s0, s1
	v_pk_mov_b32 v[4:5], s[2:3], s[2:3] op_sel:[0,1]
	v_lshlrev_b32_e32 v50, 4, v48
	v_pk_mov_b32 v[2:3], s[0:1], s[0:1] op_sel:[0,1]
	v_cmp_gt_i32_e32 vcc, s31, v48
	v_cmp_gt_i32_e64 s[0:1], s31, v1
	v_add_lshl_u32 v0, v50, v1, 4
	s_and_b64 s[0:1], vcc, s[0:1]
	v_lshlrev_b32_e32 v49, 4, v1
	ds_write_b128 v0, v[2:5]
	ds_write_b128 v0, v[2:5] offset:4096
	s_and_saveexec_b64 s[2:3], s[0:1]
	s_cbranch_execz .LBB189_3
; %bb.2:
	s_add_u32 s0, s8, s36
	s_addc_u32 s1, s9, s37
	s_load_dwordx2 s[0:1], s[0:1], 0x0
	v_mad_u64_u32 v[2:3], s[8:9], v48, s10, 0
	s_lshl_b64 s[8:9], s[12:13], 4
	v_mov_b32_e32 v4, v3
	s_waitcnt lgkmcnt(0)
	s_add_u32 s7, s0, s8
	s_addc_u32 s8, s1, s9
	v_mad_u64_u32 v[4:5], s[0:1], v48, s11, v[4:5]
	v_mov_b32_e32 v3, v4
	v_lshlrev_b64 v[2:3], 4, v[2:3]
	v_mov_b32_e32 v4, s8
	v_add_co_u32_e64 v2, s[0:1], s7, v2
	v_addc_co_u32_e64 v3, s[0:1], v4, v3, s[0:1]
	v_add_co_u32_e64 v2, s[0:1], v2, v49
	v_addc_co_u32_e64 v3, s[0:1], 0, v3, s[0:1]
	global_load_dwordx4 v[2:5], v[2:3], off
	s_waitcnt vmcnt(0)
	ds_write2_b64 v0, v[2:3], v[4:5] offset1:1
.LBB189_3:
	s_or_b64 exec, exec, s[2:3]
	s_add_i32 s0, s30, -1
	s_ashr_i32 s1, s0, 31
	s_lshr_b32 s1, s1, 28
	s_add_i32 s0, s0, s1
	s_ashr_i32 s1, s0, 4
	s_and_b32 s0, s0, -16
	s_sub_i32 s0, s30, s0
	s_cmp_ge_i32 s6, s1
	s_cselect_b32 s0, s0, 16
	s_lshl_b32 s2, s6, 4
	v_cmp_gt_i32_e64 s[0:1], s0, v1
	s_ashr_i32 s3, s2, 31
	s_and_b64 s[0:1], vcc, s[0:1]
	s_and_saveexec_b64 s[6:7], s[0:1]
	s_cbranch_execz .LBB189_5
; %bb.4:
	s_lshl_b64 s[8:9], s[18:19], 4
	s_waitcnt lgkmcnt(0)
	s_add_u32 s10, s34, s8
	s_addc_u32 s11, s35, s9
	s_lshl_b64 s[8:9], s[2:3], 4
	s_add_u32 s10, s10, s8
	s_addc_u32 s11, s11, s9
	v_mad_u64_u32 v[2:3], s[8:9], v48, s16, 0
	v_mov_b32_e32 v4, v3
	v_mad_u64_u32 v[4:5], s[8:9], v48, s17, v[4:5]
	v_mov_b32_e32 v3, v4
	v_lshlrev_b64 v[2:3], 4, v[2:3]
	v_mov_b32_e32 v4, s11
	v_add_co_u32_e32 v2, vcc, s10, v2
	v_addc_co_u32_e32 v3, vcc, v4, v3, vcc
	v_add_co_u32_e32 v2, vcc, v2, v49
	v_addc_co_u32_e32 v3, vcc, 0, v3, vcc
	global_load_dwordx4 v[2:5], v[2:3], off
	v_add_u32_e32 v6, 0x1000, v0
	s_waitcnt vmcnt(0)
	ds_write2_b64 v6, v[2:3], v[4:5] offset1:1
.LBB189_5:
	s_or_b64 exec, exec, s[6:7]
	s_cmpk_eq_i32 s29, 0x84
	s_cselect_b64 s[6:7], -1, 0
	v_cmp_eq_u32_e32 vcc, v48, v1
	s_and_b64 s[8:9], vcc, s[6:7]
	s_and_saveexec_b64 s[6:7], s[8:9]
	s_cbranch_execz .LBB189_7
; %bb.6:
	v_mov_b32_e32 v2, 0
	v_mov_b32_e32 v3, 0x3ff00000
	;; [unrolled: 1-line block ×4, first 2 shown]
	ds_write_b128 v0, v[2:5]
.LBB189_7:
	s_or_b64 exec, exec, s[6:7]
	s_cmpk_lg_i32 s28, 0x79
	s_cbranch_scc0 .LBB189_9
; %bb.8:
	v_cmp_lt_u32_e32 vcc, v1, v48
	s_and_b64 s[6:7], vcc, exec
	s_cbranch_execz .LBB189_10
	s_branch .LBB189_11
.LBB189_9:
	s_mov_b64 s[6:7], 0
.LBB189_10:
	v_cmp_gt_u32_e32 vcc, v1, v48
	s_andn2_b64 s[6:7], s[6:7], exec
	s_and_b64 s[8:9], vcc, exec
	s_or_b64 s[6:7], s[6:7], s[8:9]
.LBB189_11:
	s_and_saveexec_b64 s[8:9], s[6:7]
	s_cbranch_execz .LBB189_13
; %bb.12:
	v_mov_b32_e32 v2, 0
	v_mov_b32_e32 v3, v2
	;; [unrolled: 1-line block ×4, first 2 shown]
	ds_write_b128 v0, v[2:5]
.LBB189_13:
	s_or_b64 exec, exec, s[8:9]
	s_waitcnt lgkmcnt(0)
	s_barrier
	s_and_saveexec_b64 s[6:7], s[0:1]
	s_cbranch_execz .LBB189_15
; %bb.14:
	ds_read_b128 v[0:3], v50
	ds_read_b128 v[4:7], v50 offset:256
	ds_read_b128 v[8:11], v49 offset:4096
	;; [unrolled: 1-line block ×3, first 2 shown]
	s_load_dwordx2 s[0:1], s[4:5], 0x68
	s_waitcnt lgkmcnt(0)
	v_mul_f64 v[16:17], v[0:1], v[10:11]
	v_fmac_f64_e32 v[16:17], v[2:3], v[8:9]
	v_add_f64 v[34:35], v[16:17], 0
	ds_read_b128 v[16:19], v49 offset:4608
	ds_read_b128 v[20:23], v50 offset:512
	v_mul_f64 v[32:33], v[4:5], v[14:15]
	v_fmac_f64_e32 v[32:33], v[6:7], v[12:13]
	ds_read_b128 v[24:27], v50 offset:768
	ds_read_b128 v[28:31], v49 offset:4864
	v_add_f64 v[32:33], v[34:35], v[32:33]
	s_waitcnt lgkmcnt(2)
	v_mul_f64 v[34:35], v[20:21], v[18:19]
	v_fmac_f64_e32 v[34:35], v[22:23], v[16:17]
	v_add_f64 v[52:53], v[32:33], v[34:35]
	ds_read_b128 v[32:35], v49 offset:5120
	ds_read_b128 v[36:39], v50 offset:1024
	;; [unrolled: 1-line block ×4, first 2 shown]
	s_waitcnt lgkmcnt(4)
	v_mul_f64 v[54:55], v[24:25], v[30:31]
	v_fmac_f64_e32 v[54:55], v[26:27], v[28:29]
	v_add_f64 v[52:53], v[52:53], v[54:55]
	s_waitcnt lgkmcnt(2)
	v_mul_f64 v[54:55], v[36:37], v[34:35]
	v_fmac_f64_e32 v[54:55], v[38:39], v[32:33]
	v_add_f64 v[52:53], v[52:53], v[54:55]
	s_waitcnt lgkmcnt(0)
	v_mul_f64 v[54:55], v[40:41], v[46:47]
	v_fmac_f64_e32 v[54:55], v[42:43], v[44:45]
	v_mul_f64 v[2:3], v[2:3], v[10:11]
	v_add_f64 v[56:57], v[52:53], v[54:55]
	ds_read_b128 v[52:55], v49 offset:5632
	v_fma_f64 v[58:59], v[0:1], v[8:9], -v[2:3]
	ds_read_b128 v[0:3], v50 offset:1536
	v_mul_f64 v[6:7], v[6:7], v[14:15]
	v_fma_f64 v[60:61], v[4:5], v[12:13], -v[6:7]
	ds_read_b128 v[4:7], v50 offset:1792
	ds_read_b128 v[8:11], v49 offset:5888
	v_add_f64 v[58:59], v[58:59], 0
	s_waitcnt lgkmcnt(2)
	v_mul_f64 v[12:13], v[0:1], v[54:55]
	v_fmac_f64_e32 v[12:13], v[2:3], v[52:53]
	v_add_f64 v[56:57], v[56:57], v[12:13]
	v_mul_f64 v[12:13], v[22:23], v[18:19]
	v_fma_f64 v[62:63], v[20:21], v[16:17], -v[12:13]
	v_mul_f64 v[16:17], v[26:27], v[30:31]
	ds_read_b128 v[12:15], v49 offset:6144
	v_fma_f64 v[66:67], v[24:25], v[28:29], -v[16:17]
	ds_read_b128 v[16:19], v50 offset:2048
	s_waitcnt lgkmcnt(2)
	v_mul_f64 v[64:65], v[4:5], v[10:11]
	v_fmac_f64_e32 v[64:65], v[6:7], v[8:9]
	v_mul_f64 v[20:21], v[38:39], v[34:35]
	v_add_f64 v[28:29], v[56:57], v[64:65]
	s_waitcnt lgkmcnt(0)
	v_mul_f64 v[30:31], v[16:17], v[14:15]
	v_fmac_f64_e32 v[30:31], v[18:19], v[12:13]
	v_fma_f64 v[68:69], v[36:37], v[32:33], -v[20:21]
	ds_read_b128 v[20:23], v50 offset:2304
	ds_read_b128 v[24:27], v49 offset:6400
	v_add_f64 v[36:37], v[28:29], v[30:31]
	v_mul_f64 v[28:29], v[42:43], v[46:47]
	v_mul_f64 v[2:3], v[2:3], v[54:55]
	v_fma_f64 v[56:57], v[40:41], v[44:45], -v[28:29]
	v_fma_f64 v[52:53], v[0:1], v[52:53], -v[2:3]
	ds_read_b128 v[0:3], v50 offset:2560
	ds_read_b128 v[28:31], v50 offset:2816
	;; [unrolled: 1-line block ×3, first 2 shown]
	s_waitcnt lgkmcnt(3)
	v_mul_f64 v[38:39], v[20:21], v[26:27]
	v_fmac_f64_e32 v[38:39], v[22:23], v[24:25]
	v_mul_f64 v[6:7], v[6:7], v[10:11]
	v_fma_f64 v[54:55], v[4:5], v[8:9], -v[6:7]
	s_waitcnt lgkmcnt(0)
	v_mul_f64 v[10:11], v[0:1], v[34:35]
	v_add_f64 v[8:9], v[36:37], v[38:39]
	v_fmac_f64_e32 v[10:11], v[2:3], v[32:33]
	ds_read_b128 v[4:7], v49 offset:6912
	v_add_f64 v[36:37], v[8:9], v[10:11]
	v_mul_f64 v[8:9], v[18:19], v[14:15]
	v_add_f64 v[58:59], v[58:59], v[60:61]
	v_fma_f64 v[64:65], v[16:17], v[12:13], -v[8:9]
	ds_read_b128 v[8:11], v49 offset:7168
	ds_read_b128 v[12:15], v50 offset:3072
	v_add_f64 v[58:59], v[58:59], v[62:63]
	v_add_f64 v[58:59], v[58:59], v[66:67]
	;; [unrolled: 1-line block ×4, first 2 shown]
	s_waitcnt lgkmcnt(2)
	v_mul_f64 v[38:39], v[28:29], v[6:7]
	v_mul_f64 v[16:17], v[22:23], v[26:27]
	v_add_f64 v[52:53], v[56:57], v[52:53]
	v_fmac_f64_e32 v[38:39], v[30:31], v[4:5]
	v_fma_f64 v[70:71], v[20:21], v[24:25], -v[16:17]
	ds_read_b128 v[16:19], v50 offset:3328
	ds_read_b128 v[20:23], v49 offset:7424
	s_waitcnt lgkmcnt(2)
	v_mul_f64 v[26:27], v[12:13], v[10:11]
	v_add_f64 v[52:53], v[52:53], v[54:55]
	v_add_f64 v[24:25], v[36:37], v[38:39]
	v_fmac_f64_e32 v[26:27], v[14:15], v[8:9]
	v_add_f64 v[52:53], v[52:53], v[64:65]
	v_mul_f64 v[2:3], v[2:3], v[34:35]
	v_add_f64 v[72:73], v[24:25], v[26:27]
	ds_read_b128 v[24:27], v49 offset:7680
	ds_read_b128 v[36:39], v50 offset:3584
	v_add_f64 v[52:53], v[52:53], v[70:71]
	v_fma_f64 v[0:1], v[0:1], v[32:33], -v[2:3]
	v_mul_f64 v[2:3], v[30:31], v[6:7]
	v_add_f64 v[0:1], v[52:53], v[0:1]
	v_fma_f64 v[2:3], v[28:29], v[4:5], -v[2:3]
	ds_read_b128 v[40:43], v50 offset:3840
	ds_read_b128 v[44:47], v49 offset:7936
	v_add_f64 v[0:1], v[0:1], v[2:3]
	v_mul_f64 v[2:3], v[14:15], v[10:11]
	s_waitcnt lgkmcnt(4)
	v_mul_f64 v[74:75], v[16:17], v[22:23]
	v_fma_f64 v[2:3], v[12:13], v[8:9], -v[2:3]
	v_fmac_f64_e32 v[74:75], v[18:19], v[20:21]
	v_add_f64 v[0:1], v[0:1], v[2:3]
	v_mul_f64 v[2:3], v[18:19], v[22:23]
	v_add_f64 v[50:51], v[72:73], v[74:75]
	s_waitcnt lgkmcnt(2)
	v_mul_f64 v[72:73], v[36:37], v[26:27]
	v_fma_f64 v[2:3], v[16:17], v[20:21], -v[2:3]
	v_fmac_f64_e32 v[72:73], v[38:39], v[24:25]
	v_add_f64 v[0:1], v[0:1], v[2:3]
	v_mul_f64 v[2:3], v[38:39], v[26:27]
	v_add_f64 v[50:51], v[50:51], v[72:73]
	s_waitcnt lgkmcnt(0)
	v_mul_f64 v[72:73], v[40:41], v[46:47]
	s_lshl_b64 s[0:1], s[0:1], 4
	v_fma_f64 v[2:3], v[36:37], v[24:25], -v[2:3]
	v_fmac_f64_e32 v[72:73], v[42:43], v[44:45]
	s_add_u32 s4, s14, s0
	v_add_f64 v[0:1], v[0:1], v[2:3]
	v_mul_f64 v[2:3], v[42:43], v[46:47]
	v_add_f64 v[50:51], v[50:51], v[72:73]
	s_addc_u32 s5, s15, s1
	s_lshl_b64 s[0:1], s[2:3], 4
	v_fma_f64 v[2:3], v[40:41], v[44:45], -v[2:3]
	s_add_u32 s2, s4, s0
	v_add_f64 v[0:1], v[0:1], v[2:3]
	v_mul_f64 v[2:3], s[24:25], v[50:51]
	v_mul_f64 v[4:5], s[26:27], v[50:51]
	s_addc_u32 s3, s5, s1
	v_fmac_f64_e32 v[2:3], s[26:27], v[0:1]
	v_fma_f64 v[0:1], s[24:25], v[0:1], -v[4:5]
	v_mad_u64_u32 v[4:5], s[0:1], v48, s22, 0
	v_mov_b32_e32 v6, v5
	v_mad_u64_u32 v[6:7], s[0:1], v48, s23, v[6:7]
	v_mov_b32_e32 v5, v6
	v_lshlrev_b64 v[4:5], 4, v[4:5]
	v_mov_b32_e32 v6, s3
	v_add_co_u32_e32 v4, vcc, s2, v4
	v_addc_co_u32_e32 v5, vcc, v6, v5, vcc
	v_add_co_u32_e32 v4, vcc, v4, v49
	v_addc_co_u32_e32 v5, vcc, 0, v5, vcc
	global_store_dwordx4 v[4:5], v[0:3], off
.LBB189_15:
	s_endpgm
	.section	.rodata,"a",@progbits
	.p2align	6, 0x0
	.amdhsa_kernel _ZL23rocblas_trmm_rTx_kernelILi16ELb0E19rocblas_complex_numIdES1_KPKS1_KPS1_Ev13rocblas_fill_17rocblas_diagonal_iiT2_lPT3_llSB_llPT4_lli
		.amdhsa_group_segment_fixed_size 8192
		.amdhsa_private_segment_fixed_size 0
		.amdhsa_kernarg_size 116
		.amdhsa_user_sgpr_count 6
		.amdhsa_user_sgpr_private_segment_buffer 1
		.amdhsa_user_sgpr_dispatch_ptr 0
		.amdhsa_user_sgpr_queue_ptr 0
		.amdhsa_user_sgpr_kernarg_segment_ptr 1
		.amdhsa_user_sgpr_dispatch_id 0
		.amdhsa_user_sgpr_flat_scratch_init 0
		.amdhsa_user_sgpr_kernarg_preload_length 0
		.amdhsa_user_sgpr_kernarg_preload_offset 0
		.amdhsa_user_sgpr_private_segment_size 0
		.amdhsa_uses_dynamic_stack 0
		.amdhsa_system_sgpr_private_segment_wavefront_offset 0
		.amdhsa_system_sgpr_workgroup_id_x 1
		.amdhsa_system_sgpr_workgroup_id_y 0
		.amdhsa_system_sgpr_workgroup_id_z 1
		.amdhsa_system_sgpr_workgroup_info 0
		.amdhsa_system_vgpr_workitem_id 1
		.amdhsa_next_free_vgpr 76
		.amdhsa_next_free_sgpr 38
		.amdhsa_accum_offset 76
		.amdhsa_reserve_vcc 1
		.amdhsa_reserve_flat_scratch 0
		.amdhsa_float_round_mode_32 0
		.amdhsa_float_round_mode_16_64 0
		.amdhsa_float_denorm_mode_32 3
		.amdhsa_float_denorm_mode_16_64 3
		.amdhsa_dx10_clamp 1
		.amdhsa_ieee_mode 1
		.amdhsa_fp16_overflow 0
		.amdhsa_tg_split 0
		.amdhsa_exception_fp_ieee_invalid_op 0
		.amdhsa_exception_fp_denorm_src 0
		.amdhsa_exception_fp_ieee_div_zero 0
		.amdhsa_exception_fp_ieee_overflow 0
		.amdhsa_exception_fp_ieee_underflow 0
		.amdhsa_exception_fp_ieee_inexact 0
		.amdhsa_exception_int_div_zero 0
	.end_amdhsa_kernel
	.section	.text._ZL23rocblas_trmm_rTx_kernelILi16ELb0E19rocblas_complex_numIdES1_KPKS1_KPS1_Ev13rocblas_fill_17rocblas_diagonal_iiT2_lPT3_llSB_llPT4_lli,"axG",@progbits,_ZL23rocblas_trmm_rTx_kernelILi16ELb0E19rocblas_complex_numIdES1_KPKS1_KPS1_Ev13rocblas_fill_17rocblas_diagonal_iiT2_lPT3_llSB_llPT4_lli,comdat
.Lfunc_end189:
	.size	_ZL23rocblas_trmm_rTx_kernelILi16ELb0E19rocblas_complex_numIdES1_KPKS1_KPS1_Ev13rocblas_fill_17rocblas_diagonal_iiT2_lPT3_llSB_llPT4_lli, .Lfunc_end189-_ZL23rocblas_trmm_rTx_kernelILi16ELb0E19rocblas_complex_numIdES1_KPKS1_KPS1_Ev13rocblas_fill_17rocblas_diagonal_iiT2_lPT3_llSB_llPT4_lli
                                        ; -- End function
	.section	.AMDGPU.csdata,"",@progbits
; Kernel info:
; codeLenInByte = 1800
; NumSgprs: 42
; NumVgprs: 76
; NumAgprs: 0
; TotalNumVgprs: 76
; ScratchSize: 0
; MemoryBound: 0
; FloatMode: 240
; IeeeMode: 1
; LDSByteSize: 8192 bytes/workgroup (compile time only)
; SGPRBlocks: 5
; VGPRBlocks: 9
; NumSGPRsForWavesPerEU: 42
; NumVGPRsForWavesPerEU: 76
; AccumOffset: 76
; Occupancy: 6
; WaveLimiterHint : 1
; COMPUTE_PGM_RSRC2:SCRATCH_EN: 0
; COMPUTE_PGM_RSRC2:USER_SGPR: 6
; COMPUTE_PGM_RSRC2:TRAP_HANDLER: 0
; COMPUTE_PGM_RSRC2:TGID_X_EN: 1
; COMPUTE_PGM_RSRC2:TGID_Y_EN: 0
; COMPUTE_PGM_RSRC2:TGID_Z_EN: 1
; COMPUTE_PGM_RSRC2:TIDIG_COMP_CNT: 1
; COMPUTE_PGM_RSRC3_GFX90A:ACCUM_OFFSET: 18
; COMPUTE_PGM_RSRC3_GFX90A:TG_SPLIT: 0
	.section	.text._ZL23rocblas_trmm_rTx_kernelILi16ELb1E19rocblas_complex_numIdEPKS1_KS3_KPS1_Ev13rocblas_fill_17rocblas_diagonal_iiT2_lPT3_llSB_llPT4_lli,"axG",@progbits,_ZL23rocblas_trmm_rTx_kernelILi16ELb1E19rocblas_complex_numIdEPKS1_KS3_KPS1_Ev13rocblas_fill_17rocblas_diagonal_iiT2_lPT3_llSB_llPT4_lli,comdat
	.globl	_ZL23rocblas_trmm_rTx_kernelILi16ELb1E19rocblas_complex_numIdEPKS1_KS3_KPS1_Ev13rocblas_fill_17rocblas_diagonal_iiT2_lPT3_llSB_llPT4_lli ; -- Begin function _ZL23rocblas_trmm_rTx_kernelILi16ELb1E19rocblas_complex_numIdEPKS1_KS3_KPS1_Ev13rocblas_fill_17rocblas_diagonal_iiT2_lPT3_llSB_llPT4_lli
	.p2align	8
	.type	_ZL23rocblas_trmm_rTx_kernelILi16ELb1E19rocblas_complex_numIdEPKS1_KS3_KPS1_Ev13rocblas_fill_17rocblas_diagonal_iiT2_lPT3_llSB_llPT4_lli,@function
_ZL23rocblas_trmm_rTx_kernelILi16ELb1E19rocblas_complex_numIdEPKS1_KS3_KPS1_Ev13rocblas_fill_17rocblas_diagonal_iiT2_lPT3_llSB_llPT4_lli: ; @_ZL23rocblas_trmm_rTx_kernelILi16ELb1E19rocblas_complex_numIdEPKS1_KS3_KPS1_Ev13rocblas_fill_17rocblas_diagonal_iiT2_lPT3_llSB_llPT4_lli
; %bb.0:
	s_load_dwordx16 s[8:23], s[4:5], 0x10
	s_waitcnt lgkmcnt(0)
	s_mul_i32 s0, s7, s11
	s_mul_hi_u32 s1, s7, s10
	s_add_i32 s1, s1, s0
	s_mul_i32 s0, s7, s10
	s_lshl_b64 s[0:1], s[0:1], 4
	s_add_u32 s0, s8, s0
	s_addc_u32 s1, s9, s1
	s_load_dwordx4 s[8:11], s[0:1], 0x0
	s_waitcnt lgkmcnt(0)
	v_cmp_neq_f64_e64 s[0:1], s[8:9], 0
	v_cmp_neq_f64_e64 s[2:3], s[10:11], 0
	s_or_b64 s[0:1], s[0:1], s[2:3]
	s_andn2_b64 vcc, exec, s[0:1]
	s_cbranch_vccnz .LBB190_15
; %bb.1:
	s_load_dwordx4 s[24:27], s[4:5], 0x0
	s_load_dwordx4 s[0:3], s[4:5], 0x50
	s_mov_b32 s28, s7
	s_mov_b32 s29, 0
	s_lshl_b64 s[36:37], s[28:29], 3
	s_add_u32 s18, s18, s36
	s_addc_u32 s19, s19, s37
	s_waitcnt lgkmcnt(0)
	s_add_u32 s0, s0, s36
	s_addc_u32 s1, s1, s37
	s_load_dwordx2 s[34:35], s[18:19], 0x0
	v_and_b32_e32 v1, 0x3ff, v0
	s_load_dwordx2 s[18:19], s[0:1], 0x0
	v_bfe_u32 v48, v0, 10, 10
	s_mov_b32 s28, s29
	v_lshlrev_b32_e32 v50, 4, v48
	s_mov_b32 s30, s29
	s_mov_b32 s31, s29
	v_pk_mov_b32 v[2:3], s[28:29], s[28:29] op_sel:[0,1]
	v_cmp_gt_i32_e32 vcc, s27, v48
	v_cmp_gt_i32_e64 s[0:1], s27, v1
	v_add_lshl_u32 v0, v50, v1, 4
	v_pk_mov_b32 v[4:5], s[30:31], s[30:31] op_sel:[0,1]
	s_and_b64 s[0:1], vcc, s[0:1]
	v_lshlrev_b32_e32 v49, 4, v1
	ds_write_b128 v0, v[2:5]
	ds_write_b128 v0, v[2:5] offset:4096
	s_and_saveexec_b64 s[28:29], s[0:1]
	s_cbranch_execz .LBB190_3
; %bb.2:
	s_add_u32 s0, s12, s36
	s_addc_u32 s1, s13, s37
	s_load_dwordx2 s[0:1], s[0:1], 0x0
	v_mad_u64_u32 v[2:3], s[12:13], v48, s14, 0
	s_lshl_b64 s[12:13], s[16:17], 4
	v_mov_b32_e32 v4, v3
	s_waitcnt lgkmcnt(0)
	s_add_u32 s7, s0, s12
	s_addc_u32 s12, s1, s13
	v_mad_u64_u32 v[4:5], s[0:1], v48, s15, v[4:5]
	v_mov_b32_e32 v3, v4
	v_lshlrev_b64 v[2:3], 4, v[2:3]
	v_mov_b32_e32 v4, s12
	v_add_co_u32_e64 v2, s[0:1], s7, v2
	v_addc_co_u32_e64 v3, s[0:1], v4, v3, s[0:1]
	v_add_co_u32_e64 v2, s[0:1], v2, v49
	v_addc_co_u32_e64 v3, s[0:1], 0, v3, s[0:1]
	global_load_dwordx4 v[2:5], v[2:3], off
	s_waitcnt vmcnt(0)
	v_xor_b32_e32 v5, 0x80000000, v5
	ds_write_b128 v0, v[2:5]
.LBB190_3:
	s_or_b64 exec, exec, s[28:29]
	s_add_i32 s0, s26, -1
	s_ashr_i32 s1, s0, 31
	s_lshr_b32 s1, s1, 28
	s_add_i32 s0, s0, s1
	s_ashr_i32 s1, s0, 4
	s_and_b32 s0, s0, -16
	s_sub_i32 s0, s26, s0
	s_cmp_ge_i32 s6, s1
	s_cselect_b32 s0, s0, 16
	s_lshl_b32 s6, s6, 4
	v_cmp_gt_i32_e64 s[0:1], s0, v1
	s_ashr_i32 s7, s6, 31
	s_and_b64 s[0:1], vcc, s[0:1]
	s_and_saveexec_b64 s[12:13], s[0:1]
	s_cbranch_execz .LBB190_5
; %bb.4:
	s_lshl_b64 s[14:15], s[22:23], 4
	s_waitcnt lgkmcnt(0)
	s_add_u32 s16, s34, s14
	s_addc_u32 s17, s35, s15
	s_lshl_b64 s[14:15], s[6:7], 4
	s_add_u32 s16, s16, s14
	s_addc_u32 s17, s17, s15
	v_mad_u64_u32 v[2:3], s[14:15], v48, s20, 0
	v_mov_b32_e32 v4, v3
	v_mad_u64_u32 v[4:5], s[14:15], v48, s21, v[4:5]
	v_mov_b32_e32 v3, v4
	v_lshlrev_b64 v[2:3], 4, v[2:3]
	v_mov_b32_e32 v4, s17
	v_add_co_u32_e32 v2, vcc, s16, v2
	v_addc_co_u32_e32 v3, vcc, v4, v3, vcc
	v_add_co_u32_e32 v2, vcc, v2, v49
	v_addc_co_u32_e32 v3, vcc, 0, v3, vcc
	global_load_dwordx4 v[2:5], v[2:3], off
	v_add_u32_e32 v6, 0x1000, v0
	s_waitcnt vmcnt(0)
	ds_write2_b64 v6, v[2:3], v[4:5] offset1:1
.LBB190_5:
	s_or_b64 exec, exec, s[12:13]
	s_cmpk_eq_i32 s25, 0x84
	s_cselect_b64 s[12:13], -1, 0
	v_cmp_eq_u32_e32 vcc, v48, v1
	s_and_b64 s[14:15], vcc, s[12:13]
	s_and_saveexec_b64 s[12:13], s[14:15]
	s_cbranch_execz .LBB190_7
; %bb.6:
	v_mov_b32_e32 v2, 0
	v_mov_b32_e32 v3, 0x3ff00000
	;; [unrolled: 1-line block ×4, first 2 shown]
	ds_write_b128 v0, v[2:5]
.LBB190_7:
	s_or_b64 exec, exec, s[12:13]
	s_cmpk_lg_i32 s24, 0x79
	s_cbranch_scc0 .LBB190_9
; %bb.8:
	v_cmp_lt_u32_e32 vcc, v1, v48
	s_and_b64 s[12:13], vcc, exec
	s_cbranch_execz .LBB190_10
	s_branch .LBB190_11
.LBB190_9:
	s_mov_b64 s[12:13], 0
.LBB190_10:
	v_cmp_gt_u32_e32 vcc, v1, v48
	s_andn2_b64 s[12:13], s[12:13], exec
	s_and_b64 s[14:15], vcc, exec
	s_or_b64 s[12:13], s[12:13], s[14:15]
.LBB190_11:
	s_and_saveexec_b64 s[14:15], s[12:13]
	s_cbranch_execz .LBB190_13
; %bb.12:
	v_mov_b32_e32 v2, 0
	v_mov_b32_e32 v3, v2
	v_mov_b32_e32 v4, v2
	v_mov_b32_e32 v5, v2
	ds_write_b128 v0, v[2:5]
.LBB190_13:
	s_or_b64 exec, exec, s[14:15]
	s_waitcnt lgkmcnt(0)
	s_barrier
	s_and_saveexec_b64 s[12:13], s[0:1]
	s_cbranch_execz .LBB190_15
; %bb.14:
	ds_read_b128 v[0:3], v50
	ds_read_b128 v[4:7], v50 offset:256
	ds_read_b128 v[8:11], v49 offset:4096
	;; [unrolled: 1-line block ×3, first 2 shown]
	s_load_dwordx2 s[0:1], s[4:5], 0x60
	s_waitcnt lgkmcnt(0)
	v_mul_f64 v[16:17], v[0:1], v[10:11]
	v_fmac_f64_e32 v[16:17], v[2:3], v[8:9]
	v_add_f64 v[34:35], v[16:17], 0
	ds_read_b128 v[16:19], v49 offset:4608
	ds_read_b128 v[20:23], v50 offset:512
	v_mul_f64 v[32:33], v[4:5], v[14:15]
	v_fmac_f64_e32 v[32:33], v[6:7], v[12:13]
	ds_read_b128 v[24:27], v50 offset:768
	ds_read_b128 v[28:31], v49 offset:4864
	v_add_f64 v[32:33], v[34:35], v[32:33]
	s_waitcnt lgkmcnt(2)
	v_mul_f64 v[34:35], v[20:21], v[18:19]
	v_fmac_f64_e32 v[34:35], v[22:23], v[16:17]
	v_add_f64 v[52:53], v[32:33], v[34:35]
	ds_read_b128 v[32:35], v49 offset:5120
	ds_read_b128 v[36:39], v50 offset:1024
	;; [unrolled: 1-line block ×4, first 2 shown]
	s_waitcnt lgkmcnt(4)
	v_mul_f64 v[54:55], v[24:25], v[30:31]
	v_fmac_f64_e32 v[54:55], v[26:27], v[28:29]
	v_add_f64 v[52:53], v[52:53], v[54:55]
	s_waitcnt lgkmcnt(2)
	v_mul_f64 v[54:55], v[36:37], v[34:35]
	v_fmac_f64_e32 v[54:55], v[38:39], v[32:33]
	v_add_f64 v[52:53], v[52:53], v[54:55]
	s_waitcnt lgkmcnt(0)
	v_mul_f64 v[54:55], v[40:41], v[46:47]
	v_fmac_f64_e32 v[54:55], v[42:43], v[44:45]
	v_mul_f64 v[2:3], v[2:3], v[10:11]
	v_add_f64 v[56:57], v[52:53], v[54:55]
	ds_read_b128 v[52:55], v49 offset:5632
	v_fma_f64 v[58:59], v[0:1], v[8:9], -v[2:3]
	ds_read_b128 v[0:3], v50 offset:1536
	v_mul_f64 v[6:7], v[6:7], v[14:15]
	v_fma_f64 v[60:61], v[4:5], v[12:13], -v[6:7]
	ds_read_b128 v[4:7], v50 offset:1792
	ds_read_b128 v[8:11], v49 offset:5888
	v_add_f64 v[58:59], v[58:59], 0
	s_waitcnt lgkmcnt(2)
	v_mul_f64 v[12:13], v[0:1], v[54:55]
	v_fmac_f64_e32 v[12:13], v[2:3], v[52:53]
	v_add_f64 v[56:57], v[56:57], v[12:13]
	v_mul_f64 v[12:13], v[22:23], v[18:19]
	v_fma_f64 v[62:63], v[20:21], v[16:17], -v[12:13]
	v_mul_f64 v[16:17], v[26:27], v[30:31]
	ds_read_b128 v[12:15], v49 offset:6144
	v_fma_f64 v[66:67], v[24:25], v[28:29], -v[16:17]
	ds_read_b128 v[16:19], v50 offset:2048
	s_waitcnt lgkmcnt(2)
	v_mul_f64 v[64:65], v[4:5], v[10:11]
	v_fmac_f64_e32 v[64:65], v[6:7], v[8:9]
	v_mul_f64 v[20:21], v[38:39], v[34:35]
	v_add_f64 v[28:29], v[56:57], v[64:65]
	s_waitcnt lgkmcnt(0)
	v_mul_f64 v[30:31], v[16:17], v[14:15]
	v_fmac_f64_e32 v[30:31], v[18:19], v[12:13]
	v_fma_f64 v[68:69], v[36:37], v[32:33], -v[20:21]
	ds_read_b128 v[20:23], v50 offset:2304
	ds_read_b128 v[24:27], v49 offset:6400
	v_add_f64 v[36:37], v[28:29], v[30:31]
	v_mul_f64 v[28:29], v[42:43], v[46:47]
	v_mul_f64 v[2:3], v[2:3], v[54:55]
	v_fma_f64 v[56:57], v[40:41], v[44:45], -v[28:29]
	v_fma_f64 v[52:53], v[0:1], v[52:53], -v[2:3]
	ds_read_b128 v[0:3], v50 offset:2560
	ds_read_b128 v[28:31], v50 offset:2816
	;; [unrolled: 1-line block ×3, first 2 shown]
	s_waitcnt lgkmcnt(3)
	v_mul_f64 v[38:39], v[20:21], v[26:27]
	v_fmac_f64_e32 v[38:39], v[22:23], v[24:25]
	v_mul_f64 v[6:7], v[6:7], v[10:11]
	v_fma_f64 v[54:55], v[4:5], v[8:9], -v[6:7]
	s_waitcnt lgkmcnt(0)
	v_mul_f64 v[10:11], v[0:1], v[34:35]
	v_add_f64 v[8:9], v[36:37], v[38:39]
	v_fmac_f64_e32 v[10:11], v[2:3], v[32:33]
	ds_read_b128 v[4:7], v49 offset:6912
	v_add_f64 v[36:37], v[8:9], v[10:11]
	v_mul_f64 v[8:9], v[18:19], v[14:15]
	v_add_f64 v[58:59], v[58:59], v[60:61]
	v_fma_f64 v[64:65], v[16:17], v[12:13], -v[8:9]
	ds_read_b128 v[8:11], v49 offset:7168
	ds_read_b128 v[12:15], v50 offset:3072
	v_add_f64 v[58:59], v[58:59], v[62:63]
	v_add_f64 v[58:59], v[58:59], v[66:67]
	;; [unrolled: 1-line block ×4, first 2 shown]
	s_waitcnt lgkmcnt(2)
	v_mul_f64 v[38:39], v[28:29], v[6:7]
	v_mul_f64 v[16:17], v[22:23], v[26:27]
	v_add_f64 v[52:53], v[56:57], v[52:53]
	v_fmac_f64_e32 v[38:39], v[30:31], v[4:5]
	v_fma_f64 v[70:71], v[20:21], v[24:25], -v[16:17]
	ds_read_b128 v[16:19], v50 offset:3328
	ds_read_b128 v[20:23], v49 offset:7424
	s_waitcnt lgkmcnt(2)
	v_mul_f64 v[26:27], v[12:13], v[10:11]
	v_add_f64 v[52:53], v[52:53], v[54:55]
	v_add_f64 v[24:25], v[36:37], v[38:39]
	v_fmac_f64_e32 v[26:27], v[14:15], v[8:9]
	v_add_f64 v[52:53], v[52:53], v[64:65]
	v_mul_f64 v[2:3], v[2:3], v[34:35]
	v_add_f64 v[72:73], v[24:25], v[26:27]
	ds_read_b128 v[24:27], v49 offset:7680
	ds_read_b128 v[36:39], v50 offset:3584
	v_add_f64 v[52:53], v[52:53], v[70:71]
	v_fma_f64 v[0:1], v[0:1], v[32:33], -v[2:3]
	v_mul_f64 v[2:3], v[30:31], v[6:7]
	v_add_f64 v[0:1], v[52:53], v[0:1]
	v_fma_f64 v[2:3], v[28:29], v[4:5], -v[2:3]
	ds_read_b128 v[40:43], v50 offset:3840
	ds_read_b128 v[44:47], v49 offset:7936
	v_add_f64 v[0:1], v[0:1], v[2:3]
	v_mul_f64 v[2:3], v[14:15], v[10:11]
	s_waitcnt lgkmcnt(4)
	v_mul_f64 v[74:75], v[16:17], v[22:23]
	v_fma_f64 v[2:3], v[12:13], v[8:9], -v[2:3]
	v_fmac_f64_e32 v[74:75], v[18:19], v[20:21]
	v_add_f64 v[0:1], v[0:1], v[2:3]
	v_mul_f64 v[2:3], v[18:19], v[22:23]
	v_add_f64 v[50:51], v[72:73], v[74:75]
	s_waitcnt lgkmcnt(2)
	v_mul_f64 v[72:73], v[36:37], v[26:27]
	v_fma_f64 v[2:3], v[16:17], v[20:21], -v[2:3]
	v_fmac_f64_e32 v[72:73], v[38:39], v[24:25]
	v_add_f64 v[0:1], v[0:1], v[2:3]
	v_mul_f64 v[2:3], v[38:39], v[26:27]
	v_add_f64 v[50:51], v[50:51], v[72:73]
	s_waitcnt lgkmcnt(0)
	v_mul_f64 v[72:73], v[40:41], v[46:47]
	s_lshl_b64 s[0:1], s[0:1], 4
	v_fma_f64 v[2:3], v[36:37], v[24:25], -v[2:3]
	v_fmac_f64_e32 v[72:73], v[42:43], v[44:45]
	s_add_u32 s4, s18, s0
	v_add_f64 v[0:1], v[0:1], v[2:3]
	v_mul_f64 v[2:3], v[42:43], v[46:47]
	v_add_f64 v[50:51], v[50:51], v[72:73]
	s_addc_u32 s5, s19, s1
	s_lshl_b64 s[0:1], s[6:7], 4
	v_fma_f64 v[2:3], v[40:41], v[44:45], -v[2:3]
	s_add_u32 s4, s4, s0
	v_add_f64 v[0:1], v[0:1], v[2:3]
	v_mul_f64 v[2:3], s[8:9], v[50:51]
	v_mul_f64 v[4:5], s[10:11], v[50:51]
	s_addc_u32 s5, s5, s1
	v_fmac_f64_e32 v[2:3], s[10:11], v[0:1]
	v_fma_f64 v[0:1], s[8:9], v[0:1], -v[4:5]
	v_mad_u64_u32 v[4:5], s[0:1], v48, s2, 0
	v_mov_b32_e32 v6, v5
	v_mad_u64_u32 v[6:7], s[0:1], v48, s3, v[6:7]
	v_mov_b32_e32 v5, v6
	v_lshlrev_b64 v[4:5], 4, v[4:5]
	v_mov_b32_e32 v6, s5
	v_add_co_u32_e32 v4, vcc, s4, v4
	v_addc_co_u32_e32 v5, vcc, v6, v5, vcc
	v_add_co_u32_e32 v4, vcc, v4, v49
	v_addc_co_u32_e32 v5, vcc, 0, v5, vcc
	global_store_dwordx4 v[4:5], v[0:3], off
.LBB190_15:
	s_endpgm
	.section	.rodata,"a",@progbits
	.p2align	6, 0x0
	.amdhsa_kernel _ZL23rocblas_trmm_rTx_kernelILi16ELb1E19rocblas_complex_numIdEPKS1_KS3_KPS1_Ev13rocblas_fill_17rocblas_diagonal_iiT2_lPT3_llSB_llPT4_lli
		.amdhsa_group_segment_fixed_size 8192
		.amdhsa_private_segment_fixed_size 0
		.amdhsa_kernarg_size 108
		.amdhsa_user_sgpr_count 6
		.amdhsa_user_sgpr_private_segment_buffer 1
		.amdhsa_user_sgpr_dispatch_ptr 0
		.amdhsa_user_sgpr_queue_ptr 0
		.amdhsa_user_sgpr_kernarg_segment_ptr 1
		.amdhsa_user_sgpr_dispatch_id 0
		.amdhsa_user_sgpr_flat_scratch_init 0
		.amdhsa_user_sgpr_kernarg_preload_length 0
		.amdhsa_user_sgpr_kernarg_preload_offset 0
		.amdhsa_user_sgpr_private_segment_size 0
		.amdhsa_uses_dynamic_stack 0
		.amdhsa_system_sgpr_private_segment_wavefront_offset 0
		.amdhsa_system_sgpr_workgroup_id_x 1
		.amdhsa_system_sgpr_workgroup_id_y 0
		.amdhsa_system_sgpr_workgroup_id_z 1
		.amdhsa_system_sgpr_workgroup_info 0
		.amdhsa_system_vgpr_workitem_id 1
		.amdhsa_next_free_vgpr 76
		.amdhsa_next_free_sgpr 38
		.amdhsa_accum_offset 76
		.amdhsa_reserve_vcc 1
		.amdhsa_reserve_flat_scratch 0
		.amdhsa_float_round_mode_32 0
		.amdhsa_float_round_mode_16_64 0
		.amdhsa_float_denorm_mode_32 3
		.amdhsa_float_denorm_mode_16_64 3
		.amdhsa_dx10_clamp 1
		.amdhsa_ieee_mode 1
		.amdhsa_fp16_overflow 0
		.amdhsa_tg_split 0
		.amdhsa_exception_fp_ieee_invalid_op 0
		.amdhsa_exception_fp_denorm_src 0
		.amdhsa_exception_fp_ieee_div_zero 0
		.amdhsa_exception_fp_ieee_overflow 0
		.amdhsa_exception_fp_ieee_underflow 0
		.amdhsa_exception_fp_ieee_inexact 0
		.amdhsa_exception_int_div_zero 0
	.end_amdhsa_kernel
	.section	.text._ZL23rocblas_trmm_rTx_kernelILi16ELb1E19rocblas_complex_numIdEPKS1_KS3_KPS1_Ev13rocblas_fill_17rocblas_diagonal_iiT2_lPT3_llSB_llPT4_lli,"axG",@progbits,_ZL23rocblas_trmm_rTx_kernelILi16ELb1E19rocblas_complex_numIdEPKS1_KS3_KPS1_Ev13rocblas_fill_17rocblas_diagonal_iiT2_lPT3_llSB_llPT4_lli,comdat
.Lfunc_end190:
	.size	_ZL23rocblas_trmm_rTx_kernelILi16ELb1E19rocblas_complex_numIdEPKS1_KS3_KPS1_Ev13rocblas_fill_17rocblas_diagonal_iiT2_lPT3_llSB_llPT4_lli, .Lfunc_end190-_ZL23rocblas_trmm_rTx_kernelILi16ELb1E19rocblas_complex_numIdEPKS1_KS3_KPS1_Ev13rocblas_fill_17rocblas_diagonal_iiT2_lPT3_llSB_llPT4_lli
                                        ; -- End function
	.section	.AMDGPU.csdata,"",@progbits
; Kernel info:
; codeLenInByte = 1848
; NumSgprs: 42
; NumVgprs: 76
; NumAgprs: 0
; TotalNumVgprs: 76
; ScratchSize: 0
; MemoryBound: 0
; FloatMode: 240
; IeeeMode: 1
; LDSByteSize: 8192 bytes/workgroup (compile time only)
; SGPRBlocks: 5
; VGPRBlocks: 9
; NumSGPRsForWavesPerEU: 42
; NumVGPRsForWavesPerEU: 76
; AccumOffset: 76
; Occupancy: 6
; WaveLimiterHint : 1
; COMPUTE_PGM_RSRC2:SCRATCH_EN: 0
; COMPUTE_PGM_RSRC2:USER_SGPR: 6
; COMPUTE_PGM_RSRC2:TRAP_HANDLER: 0
; COMPUTE_PGM_RSRC2:TGID_X_EN: 1
; COMPUTE_PGM_RSRC2:TGID_Y_EN: 0
; COMPUTE_PGM_RSRC2:TGID_Z_EN: 1
; COMPUTE_PGM_RSRC2:TIDIG_COMP_CNT: 1
; COMPUTE_PGM_RSRC3_GFX90A:ACCUM_OFFSET: 18
; COMPUTE_PGM_RSRC3_GFX90A:TG_SPLIT: 0
	.section	.text._ZL23rocblas_trmm_rTx_kernelILi16ELb1E19rocblas_complex_numIdES1_KPKS1_KPS1_Ev13rocblas_fill_17rocblas_diagonal_iiT2_lPT3_llSB_llPT4_lli,"axG",@progbits,_ZL23rocblas_trmm_rTx_kernelILi16ELb1E19rocblas_complex_numIdES1_KPKS1_KPS1_Ev13rocblas_fill_17rocblas_diagonal_iiT2_lPT3_llSB_llPT4_lli,comdat
	.globl	_ZL23rocblas_trmm_rTx_kernelILi16ELb1E19rocblas_complex_numIdES1_KPKS1_KPS1_Ev13rocblas_fill_17rocblas_diagonal_iiT2_lPT3_llSB_llPT4_lli ; -- Begin function _ZL23rocblas_trmm_rTx_kernelILi16ELb1E19rocblas_complex_numIdES1_KPKS1_KPS1_Ev13rocblas_fill_17rocblas_diagonal_iiT2_lPT3_llSB_llPT4_lli
	.p2align	8
	.type	_ZL23rocblas_trmm_rTx_kernelILi16ELb1E19rocblas_complex_numIdES1_KPKS1_KPS1_Ev13rocblas_fill_17rocblas_diagonal_iiT2_lPT3_llSB_llPT4_lli,@function
_ZL23rocblas_trmm_rTx_kernelILi16ELb1E19rocblas_complex_numIdES1_KPKS1_KPS1_Ev13rocblas_fill_17rocblas_diagonal_iiT2_lPT3_llSB_llPT4_lli: ; @_ZL23rocblas_trmm_rTx_kernelILi16ELb1E19rocblas_complex_numIdES1_KPKS1_KPS1_Ev13rocblas_fill_17rocblas_diagonal_iiT2_lPT3_llSB_llPT4_lli
; %bb.0:
	s_load_dwordx4 s[24:27], s[4:5], 0x10
	s_waitcnt lgkmcnt(0)
	v_cmp_neq_f64_e64 s[2:3], s[24:25], 0
	v_cmp_neq_f64_e64 s[8:9], s[26:27], 0
	s_or_b64 s[2:3], s[2:3], s[8:9]
	s_andn2_b64 vcc, exec, s[2:3]
	s_cbranch_vccnz .LBB191_15
; %bb.1:
	s_load_dwordx4 s[28:31], s[4:5], 0x0
	s_load_dwordx16 s[8:23], s[4:5], 0x28
	s_mov_b32 s0, s7
	s_mov_b32 s1, 0
	s_lshl_b64 s[36:37], s[0:1], 3
	v_and_b32_e32 v1, 0x3ff, v0
	s_waitcnt lgkmcnt(0)
	s_add_u32 s2, s14, s36
	s_addc_u32 s3, s15, s37
	s_load_dwordx2 s[34:35], s[2:3], 0x0
	s_add_u32 s2, s20, s36
	s_addc_u32 s3, s21, s37
	s_load_dwordx2 s[14:15], s[2:3], 0x0
	s_mov_b32 s2, s1
	s_mov_b32 s3, s1
	v_bfe_u32 v48, v0, 10, 10
	s_mov_b32 s0, s1
	v_pk_mov_b32 v[4:5], s[2:3], s[2:3] op_sel:[0,1]
	v_lshlrev_b32_e32 v50, 4, v48
	v_pk_mov_b32 v[2:3], s[0:1], s[0:1] op_sel:[0,1]
	v_cmp_gt_i32_e32 vcc, s31, v48
	v_cmp_gt_i32_e64 s[0:1], s31, v1
	v_add_lshl_u32 v0, v50, v1, 4
	s_and_b64 s[0:1], vcc, s[0:1]
	v_lshlrev_b32_e32 v49, 4, v1
	ds_write_b128 v0, v[2:5]
	ds_write_b128 v0, v[2:5] offset:4096
	s_and_saveexec_b64 s[2:3], s[0:1]
	s_cbranch_execz .LBB191_3
; %bb.2:
	s_add_u32 s0, s8, s36
	s_addc_u32 s1, s9, s37
	s_load_dwordx2 s[0:1], s[0:1], 0x0
	v_mad_u64_u32 v[2:3], s[8:9], v48, s10, 0
	s_lshl_b64 s[8:9], s[12:13], 4
	v_mov_b32_e32 v4, v3
	s_waitcnt lgkmcnt(0)
	s_add_u32 s7, s0, s8
	s_addc_u32 s8, s1, s9
	v_mad_u64_u32 v[4:5], s[0:1], v48, s11, v[4:5]
	v_mov_b32_e32 v3, v4
	v_lshlrev_b64 v[2:3], 4, v[2:3]
	v_mov_b32_e32 v4, s8
	v_add_co_u32_e64 v2, s[0:1], s7, v2
	v_addc_co_u32_e64 v3, s[0:1], v4, v3, s[0:1]
	v_add_co_u32_e64 v2, s[0:1], v2, v49
	v_addc_co_u32_e64 v3, s[0:1], 0, v3, s[0:1]
	global_load_dwordx4 v[2:5], v[2:3], off
	s_waitcnt vmcnt(0)
	v_xor_b32_e32 v5, 0x80000000, v5
	ds_write_b128 v0, v[2:5]
.LBB191_3:
	s_or_b64 exec, exec, s[2:3]
	s_add_i32 s0, s30, -1
	s_ashr_i32 s1, s0, 31
	s_lshr_b32 s1, s1, 28
	s_add_i32 s0, s0, s1
	s_ashr_i32 s1, s0, 4
	s_and_b32 s0, s0, -16
	s_sub_i32 s0, s30, s0
	s_cmp_ge_i32 s6, s1
	s_cselect_b32 s0, s0, 16
	s_lshl_b32 s2, s6, 4
	v_cmp_gt_i32_e64 s[0:1], s0, v1
	s_ashr_i32 s3, s2, 31
	s_and_b64 s[0:1], vcc, s[0:1]
	s_and_saveexec_b64 s[6:7], s[0:1]
	s_cbranch_execz .LBB191_5
; %bb.4:
	s_lshl_b64 s[8:9], s[18:19], 4
	s_waitcnt lgkmcnt(0)
	s_add_u32 s10, s34, s8
	s_addc_u32 s11, s35, s9
	s_lshl_b64 s[8:9], s[2:3], 4
	s_add_u32 s10, s10, s8
	s_addc_u32 s11, s11, s9
	v_mad_u64_u32 v[2:3], s[8:9], v48, s16, 0
	v_mov_b32_e32 v4, v3
	v_mad_u64_u32 v[4:5], s[8:9], v48, s17, v[4:5]
	v_mov_b32_e32 v3, v4
	v_lshlrev_b64 v[2:3], 4, v[2:3]
	v_mov_b32_e32 v4, s11
	v_add_co_u32_e32 v2, vcc, s10, v2
	v_addc_co_u32_e32 v3, vcc, v4, v3, vcc
	v_add_co_u32_e32 v2, vcc, v2, v49
	v_addc_co_u32_e32 v3, vcc, 0, v3, vcc
	global_load_dwordx4 v[2:5], v[2:3], off
	v_add_u32_e32 v6, 0x1000, v0
	s_waitcnt vmcnt(0)
	ds_write2_b64 v6, v[2:3], v[4:5] offset1:1
.LBB191_5:
	s_or_b64 exec, exec, s[6:7]
	s_cmpk_eq_i32 s29, 0x84
	s_cselect_b64 s[6:7], -1, 0
	v_cmp_eq_u32_e32 vcc, v48, v1
	s_and_b64 s[8:9], vcc, s[6:7]
	s_and_saveexec_b64 s[6:7], s[8:9]
	s_cbranch_execz .LBB191_7
; %bb.6:
	v_mov_b32_e32 v2, 0
	v_mov_b32_e32 v3, 0x3ff00000
	;; [unrolled: 1-line block ×4, first 2 shown]
	ds_write_b128 v0, v[2:5]
.LBB191_7:
	s_or_b64 exec, exec, s[6:7]
	s_cmpk_lg_i32 s28, 0x79
	s_cbranch_scc0 .LBB191_9
; %bb.8:
	v_cmp_lt_u32_e32 vcc, v1, v48
	s_and_b64 s[6:7], vcc, exec
	s_cbranch_execz .LBB191_10
	s_branch .LBB191_11
.LBB191_9:
	s_mov_b64 s[6:7], 0
.LBB191_10:
	v_cmp_gt_u32_e32 vcc, v1, v48
	s_andn2_b64 s[6:7], s[6:7], exec
	s_and_b64 s[8:9], vcc, exec
	s_or_b64 s[6:7], s[6:7], s[8:9]
.LBB191_11:
	s_and_saveexec_b64 s[8:9], s[6:7]
	s_cbranch_execz .LBB191_13
; %bb.12:
	v_mov_b32_e32 v2, 0
	v_mov_b32_e32 v3, v2
	;; [unrolled: 1-line block ×4, first 2 shown]
	ds_write_b128 v0, v[2:5]
.LBB191_13:
	s_or_b64 exec, exec, s[8:9]
	s_waitcnt lgkmcnt(0)
	s_barrier
	s_and_saveexec_b64 s[6:7], s[0:1]
	s_cbranch_execz .LBB191_15
; %bb.14:
	ds_read_b128 v[0:3], v50
	ds_read_b128 v[4:7], v50 offset:256
	ds_read_b128 v[8:11], v49 offset:4096
	;; [unrolled: 1-line block ×3, first 2 shown]
	s_load_dwordx2 s[0:1], s[4:5], 0x68
	s_waitcnt lgkmcnt(0)
	v_mul_f64 v[16:17], v[0:1], v[10:11]
	v_fmac_f64_e32 v[16:17], v[2:3], v[8:9]
	v_add_f64 v[34:35], v[16:17], 0
	ds_read_b128 v[16:19], v49 offset:4608
	ds_read_b128 v[20:23], v50 offset:512
	v_mul_f64 v[32:33], v[4:5], v[14:15]
	v_fmac_f64_e32 v[32:33], v[6:7], v[12:13]
	ds_read_b128 v[24:27], v50 offset:768
	ds_read_b128 v[28:31], v49 offset:4864
	v_add_f64 v[32:33], v[34:35], v[32:33]
	s_waitcnt lgkmcnt(2)
	v_mul_f64 v[34:35], v[20:21], v[18:19]
	v_fmac_f64_e32 v[34:35], v[22:23], v[16:17]
	v_add_f64 v[52:53], v[32:33], v[34:35]
	ds_read_b128 v[32:35], v49 offset:5120
	ds_read_b128 v[36:39], v50 offset:1024
	ds_read_b128 v[40:43], v50 offset:1280
	ds_read_b128 v[44:47], v49 offset:5376
	s_waitcnt lgkmcnt(4)
	v_mul_f64 v[54:55], v[24:25], v[30:31]
	v_fmac_f64_e32 v[54:55], v[26:27], v[28:29]
	v_add_f64 v[52:53], v[52:53], v[54:55]
	s_waitcnt lgkmcnt(2)
	v_mul_f64 v[54:55], v[36:37], v[34:35]
	v_fmac_f64_e32 v[54:55], v[38:39], v[32:33]
	v_add_f64 v[52:53], v[52:53], v[54:55]
	s_waitcnt lgkmcnt(0)
	v_mul_f64 v[54:55], v[40:41], v[46:47]
	v_fmac_f64_e32 v[54:55], v[42:43], v[44:45]
	v_mul_f64 v[2:3], v[2:3], v[10:11]
	v_add_f64 v[56:57], v[52:53], v[54:55]
	ds_read_b128 v[52:55], v49 offset:5632
	v_fma_f64 v[58:59], v[0:1], v[8:9], -v[2:3]
	ds_read_b128 v[0:3], v50 offset:1536
	v_mul_f64 v[6:7], v[6:7], v[14:15]
	v_fma_f64 v[60:61], v[4:5], v[12:13], -v[6:7]
	ds_read_b128 v[4:7], v50 offset:1792
	ds_read_b128 v[8:11], v49 offset:5888
	v_add_f64 v[58:59], v[58:59], 0
	s_waitcnt lgkmcnt(2)
	v_mul_f64 v[12:13], v[0:1], v[54:55]
	v_fmac_f64_e32 v[12:13], v[2:3], v[52:53]
	v_add_f64 v[56:57], v[56:57], v[12:13]
	v_mul_f64 v[12:13], v[22:23], v[18:19]
	v_fma_f64 v[62:63], v[20:21], v[16:17], -v[12:13]
	v_mul_f64 v[16:17], v[26:27], v[30:31]
	ds_read_b128 v[12:15], v49 offset:6144
	v_fma_f64 v[66:67], v[24:25], v[28:29], -v[16:17]
	ds_read_b128 v[16:19], v50 offset:2048
	s_waitcnt lgkmcnt(2)
	v_mul_f64 v[64:65], v[4:5], v[10:11]
	v_fmac_f64_e32 v[64:65], v[6:7], v[8:9]
	v_mul_f64 v[20:21], v[38:39], v[34:35]
	v_add_f64 v[28:29], v[56:57], v[64:65]
	s_waitcnt lgkmcnt(0)
	v_mul_f64 v[30:31], v[16:17], v[14:15]
	v_fmac_f64_e32 v[30:31], v[18:19], v[12:13]
	v_fma_f64 v[68:69], v[36:37], v[32:33], -v[20:21]
	ds_read_b128 v[20:23], v50 offset:2304
	ds_read_b128 v[24:27], v49 offset:6400
	v_add_f64 v[36:37], v[28:29], v[30:31]
	v_mul_f64 v[28:29], v[42:43], v[46:47]
	v_mul_f64 v[2:3], v[2:3], v[54:55]
	v_fma_f64 v[56:57], v[40:41], v[44:45], -v[28:29]
	v_fma_f64 v[52:53], v[0:1], v[52:53], -v[2:3]
	ds_read_b128 v[0:3], v50 offset:2560
	ds_read_b128 v[28:31], v50 offset:2816
	ds_read_b128 v[32:35], v49 offset:6656
	s_waitcnt lgkmcnt(3)
	v_mul_f64 v[38:39], v[20:21], v[26:27]
	v_fmac_f64_e32 v[38:39], v[22:23], v[24:25]
	v_mul_f64 v[6:7], v[6:7], v[10:11]
	v_fma_f64 v[54:55], v[4:5], v[8:9], -v[6:7]
	s_waitcnt lgkmcnt(0)
	v_mul_f64 v[10:11], v[0:1], v[34:35]
	v_add_f64 v[8:9], v[36:37], v[38:39]
	v_fmac_f64_e32 v[10:11], v[2:3], v[32:33]
	ds_read_b128 v[4:7], v49 offset:6912
	v_add_f64 v[36:37], v[8:9], v[10:11]
	v_mul_f64 v[8:9], v[18:19], v[14:15]
	v_add_f64 v[58:59], v[58:59], v[60:61]
	v_fma_f64 v[64:65], v[16:17], v[12:13], -v[8:9]
	ds_read_b128 v[8:11], v49 offset:7168
	ds_read_b128 v[12:15], v50 offset:3072
	v_add_f64 v[58:59], v[58:59], v[62:63]
	v_add_f64 v[58:59], v[58:59], v[66:67]
	;; [unrolled: 1-line block ×4, first 2 shown]
	s_waitcnt lgkmcnt(2)
	v_mul_f64 v[38:39], v[28:29], v[6:7]
	v_mul_f64 v[16:17], v[22:23], v[26:27]
	v_add_f64 v[52:53], v[56:57], v[52:53]
	v_fmac_f64_e32 v[38:39], v[30:31], v[4:5]
	v_fma_f64 v[70:71], v[20:21], v[24:25], -v[16:17]
	ds_read_b128 v[16:19], v50 offset:3328
	ds_read_b128 v[20:23], v49 offset:7424
	s_waitcnt lgkmcnt(2)
	v_mul_f64 v[26:27], v[12:13], v[10:11]
	v_add_f64 v[52:53], v[52:53], v[54:55]
	v_add_f64 v[24:25], v[36:37], v[38:39]
	v_fmac_f64_e32 v[26:27], v[14:15], v[8:9]
	v_add_f64 v[52:53], v[52:53], v[64:65]
	v_mul_f64 v[2:3], v[2:3], v[34:35]
	v_add_f64 v[72:73], v[24:25], v[26:27]
	ds_read_b128 v[24:27], v49 offset:7680
	ds_read_b128 v[36:39], v50 offset:3584
	v_add_f64 v[52:53], v[52:53], v[70:71]
	v_fma_f64 v[0:1], v[0:1], v[32:33], -v[2:3]
	v_mul_f64 v[2:3], v[30:31], v[6:7]
	v_add_f64 v[0:1], v[52:53], v[0:1]
	v_fma_f64 v[2:3], v[28:29], v[4:5], -v[2:3]
	ds_read_b128 v[40:43], v50 offset:3840
	ds_read_b128 v[44:47], v49 offset:7936
	v_add_f64 v[0:1], v[0:1], v[2:3]
	v_mul_f64 v[2:3], v[14:15], v[10:11]
	s_waitcnt lgkmcnt(4)
	v_mul_f64 v[74:75], v[16:17], v[22:23]
	v_fma_f64 v[2:3], v[12:13], v[8:9], -v[2:3]
	v_fmac_f64_e32 v[74:75], v[18:19], v[20:21]
	v_add_f64 v[0:1], v[0:1], v[2:3]
	v_mul_f64 v[2:3], v[18:19], v[22:23]
	v_add_f64 v[50:51], v[72:73], v[74:75]
	s_waitcnt lgkmcnt(2)
	v_mul_f64 v[72:73], v[36:37], v[26:27]
	v_fma_f64 v[2:3], v[16:17], v[20:21], -v[2:3]
	v_fmac_f64_e32 v[72:73], v[38:39], v[24:25]
	v_add_f64 v[0:1], v[0:1], v[2:3]
	v_mul_f64 v[2:3], v[38:39], v[26:27]
	v_add_f64 v[50:51], v[50:51], v[72:73]
	s_waitcnt lgkmcnt(0)
	v_mul_f64 v[72:73], v[40:41], v[46:47]
	s_lshl_b64 s[0:1], s[0:1], 4
	v_fma_f64 v[2:3], v[36:37], v[24:25], -v[2:3]
	v_fmac_f64_e32 v[72:73], v[42:43], v[44:45]
	s_add_u32 s4, s14, s0
	v_add_f64 v[0:1], v[0:1], v[2:3]
	v_mul_f64 v[2:3], v[42:43], v[46:47]
	v_add_f64 v[50:51], v[50:51], v[72:73]
	s_addc_u32 s5, s15, s1
	s_lshl_b64 s[0:1], s[2:3], 4
	v_fma_f64 v[2:3], v[40:41], v[44:45], -v[2:3]
	s_add_u32 s2, s4, s0
	v_add_f64 v[0:1], v[0:1], v[2:3]
	v_mul_f64 v[2:3], s[24:25], v[50:51]
	v_mul_f64 v[4:5], s[26:27], v[50:51]
	s_addc_u32 s3, s5, s1
	v_fmac_f64_e32 v[2:3], s[26:27], v[0:1]
	v_fma_f64 v[0:1], s[24:25], v[0:1], -v[4:5]
	v_mad_u64_u32 v[4:5], s[0:1], v48, s22, 0
	v_mov_b32_e32 v6, v5
	v_mad_u64_u32 v[6:7], s[0:1], v48, s23, v[6:7]
	v_mov_b32_e32 v5, v6
	v_lshlrev_b64 v[4:5], 4, v[4:5]
	v_mov_b32_e32 v6, s3
	v_add_co_u32_e32 v4, vcc, s2, v4
	v_addc_co_u32_e32 v5, vcc, v6, v5, vcc
	v_add_co_u32_e32 v4, vcc, v4, v49
	v_addc_co_u32_e32 v5, vcc, 0, v5, vcc
	global_store_dwordx4 v[4:5], v[0:3], off
.LBB191_15:
	s_endpgm
	.section	.rodata,"a",@progbits
	.p2align	6, 0x0
	.amdhsa_kernel _ZL23rocblas_trmm_rTx_kernelILi16ELb1E19rocblas_complex_numIdES1_KPKS1_KPS1_Ev13rocblas_fill_17rocblas_diagonal_iiT2_lPT3_llSB_llPT4_lli
		.amdhsa_group_segment_fixed_size 8192
		.amdhsa_private_segment_fixed_size 0
		.amdhsa_kernarg_size 116
		.amdhsa_user_sgpr_count 6
		.amdhsa_user_sgpr_private_segment_buffer 1
		.amdhsa_user_sgpr_dispatch_ptr 0
		.amdhsa_user_sgpr_queue_ptr 0
		.amdhsa_user_sgpr_kernarg_segment_ptr 1
		.amdhsa_user_sgpr_dispatch_id 0
		.amdhsa_user_sgpr_flat_scratch_init 0
		.amdhsa_user_sgpr_kernarg_preload_length 0
		.amdhsa_user_sgpr_kernarg_preload_offset 0
		.amdhsa_user_sgpr_private_segment_size 0
		.amdhsa_uses_dynamic_stack 0
		.amdhsa_system_sgpr_private_segment_wavefront_offset 0
		.amdhsa_system_sgpr_workgroup_id_x 1
		.amdhsa_system_sgpr_workgroup_id_y 0
		.amdhsa_system_sgpr_workgroup_id_z 1
		.amdhsa_system_sgpr_workgroup_info 0
		.amdhsa_system_vgpr_workitem_id 1
		.amdhsa_next_free_vgpr 76
		.amdhsa_next_free_sgpr 38
		.amdhsa_accum_offset 76
		.amdhsa_reserve_vcc 1
		.amdhsa_reserve_flat_scratch 0
		.amdhsa_float_round_mode_32 0
		.amdhsa_float_round_mode_16_64 0
		.amdhsa_float_denorm_mode_32 3
		.amdhsa_float_denorm_mode_16_64 3
		.amdhsa_dx10_clamp 1
		.amdhsa_ieee_mode 1
		.amdhsa_fp16_overflow 0
		.amdhsa_tg_split 0
		.amdhsa_exception_fp_ieee_invalid_op 0
		.amdhsa_exception_fp_denorm_src 0
		.amdhsa_exception_fp_ieee_div_zero 0
		.amdhsa_exception_fp_ieee_overflow 0
		.amdhsa_exception_fp_ieee_underflow 0
		.amdhsa_exception_fp_ieee_inexact 0
		.amdhsa_exception_int_div_zero 0
	.end_amdhsa_kernel
	.section	.text._ZL23rocblas_trmm_rTx_kernelILi16ELb1E19rocblas_complex_numIdES1_KPKS1_KPS1_Ev13rocblas_fill_17rocblas_diagonal_iiT2_lPT3_llSB_llPT4_lli,"axG",@progbits,_ZL23rocblas_trmm_rTx_kernelILi16ELb1E19rocblas_complex_numIdES1_KPKS1_KPS1_Ev13rocblas_fill_17rocblas_diagonal_iiT2_lPT3_llSB_llPT4_lli,comdat
.Lfunc_end191:
	.size	_ZL23rocblas_trmm_rTx_kernelILi16ELb1E19rocblas_complex_numIdES1_KPKS1_KPS1_Ev13rocblas_fill_17rocblas_diagonal_iiT2_lPT3_llSB_llPT4_lli, .Lfunc_end191-_ZL23rocblas_trmm_rTx_kernelILi16ELb1E19rocblas_complex_numIdES1_KPKS1_KPS1_Ev13rocblas_fill_17rocblas_diagonal_iiT2_lPT3_llSB_llPT4_lli
                                        ; -- End function
	.section	.AMDGPU.csdata,"",@progbits
; Kernel info:
; codeLenInByte = 1808
; NumSgprs: 42
; NumVgprs: 76
; NumAgprs: 0
; TotalNumVgprs: 76
; ScratchSize: 0
; MemoryBound: 0
; FloatMode: 240
; IeeeMode: 1
; LDSByteSize: 8192 bytes/workgroup (compile time only)
; SGPRBlocks: 5
; VGPRBlocks: 9
; NumSGPRsForWavesPerEU: 42
; NumVGPRsForWavesPerEU: 76
; AccumOffset: 76
; Occupancy: 6
; WaveLimiterHint : 1
; COMPUTE_PGM_RSRC2:SCRATCH_EN: 0
; COMPUTE_PGM_RSRC2:USER_SGPR: 6
; COMPUTE_PGM_RSRC2:TRAP_HANDLER: 0
; COMPUTE_PGM_RSRC2:TGID_X_EN: 1
; COMPUTE_PGM_RSRC2:TGID_Y_EN: 0
; COMPUTE_PGM_RSRC2:TGID_Z_EN: 1
; COMPUTE_PGM_RSRC2:TIDIG_COMP_CNT: 1
; COMPUTE_PGM_RSRC3_GFX90A:ACCUM_OFFSET: 18
; COMPUTE_PGM_RSRC3_GFX90A:TG_SPLIT: 0
	.section	.text._ZL44rocblas_set_matrix_zero_if_alpha_zero_kernelILi16ELi16EPKfPKPfEviiT1_lT2_lli,"axG",@progbits,_ZL44rocblas_set_matrix_zero_if_alpha_zero_kernelILi16ELi16EPKfPKPfEviiT1_lT2_lli,comdat
	.globl	_ZL44rocblas_set_matrix_zero_if_alpha_zero_kernelILi16ELi16EPKfPKPfEviiT1_lT2_lli ; -- Begin function _ZL44rocblas_set_matrix_zero_if_alpha_zero_kernelILi16ELi16EPKfPKPfEviiT1_lT2_lli
	.p2align	8
	.type	_ZL44rocblas_set_matrix_zero_if_alpha_zero_kernelILi16ELi16EPKfPKPfEviiT1_lT2_lli,@function
_ZL44rocblas_set_matrix_zero_if_alpha_zero_kernelILi16ELi16EPKfPKPfEviiT1_lT2_lli: ; @_ZL44rocblas_set_matrix_zero_if_alpha_zero_kernelILi16ELi16EPKfPKPfEviiT1_lT2_lli
; %bb.0:
	s_load_dwordx8 s[12:19], s[4:5], 0x8
	s_waitcnt lgkmcnt(0)
	s_mul_i32 s0, s8, s15
	s_mul_hi_u32 s1, s8, s14
	s_add_i32 s1, s1, s0
	s_mul_i32 s0, s8, s14
	s_lshl_b64 s[0:1], s[0:1], 2
	s_add_u32 s0, s12, s0
	s_addc_u32 s1, s13, s1
	s_load_dword s0, s[0:1], 0x0
	s_waitcnt lgkmcnt(0)
	v_cmp_neq_f32_e64 s[0:1], s0, 0
	s_and_b64 vcc, exec, s[0:1]
	s_cbranch_vccnz .LBB192_13
; %bb.1:
	s_load_dwordx2 s[0:1], s[4:5], 0x0
	v_and_b32_e32 v1, 0x3ff, v0
	v_lshl_add_u32 v2, s6, 4, v1
	v_mov_b32_e32 v3, 0
	v_bfe_u32 v0, v0, 10, 10
	s_waitcnt lgkmcnt(0)
	s_ashr_i32 s3, s0, 31
	s_mov_b32 s2, s0
	v_lshl_add_u32 v0, s7, 4, v0
	v_mov_b32_e32 v1, v3
	v_cmp_gt_i64_e32 vcc, s[2:3], v[2:3]
	s_ashr_i32 s3, s1, 31
	s_mov_b32 s2, s1
	v_cmp_gt_i64_e64 s[0:1], s[2:3], v[0:1]
	s_mov_b32 s9, 0
	s_and_b64 s[0:1], vcc, s[0:1]
	s_and_saveexec_b64 s[6:7], s[0:1]
	s_cbranch_execz .LBB192_13
; %bb.2:
	s_load_dword s10, s[4:5], 0x3c
	s_load_dwordx2 s[6:7], s[4:5], 0x28
	s_lshl_b64 s[0:1], s[8:9], 3
	s_add_u32 s4, s16, s0
	s_addc_u32 s5, s17, s1
	s_waitcnt lgkmcnt(0)
	s_lshl_b32 s8, s10, 4
	v_add_co_u32_e32 v6, vcc, s8, v0
	v_addc_co_u32_e64 v7, s[0:1], 0, 0, vcc
	v_mov_b32_e32 v4, s3
	v_cmp_lt_i64_e32 vcc, s[2:3], v[6:7]
	v_cndmask_b32_e32 v8, v4, v7, vcc
	v_mov_b32_e32 v4, s2
	v_cndmask_b32_e32 v5, v4, v6, vcc
	v_cmp_gt_i64_e32 vcc, s[2:3], v[6:7]
	v_cndmask_b32_e64 v4, 0, 1, vcc
	v_add_co_u32_e32 v6, vcc, v6, v4
	v_addc_co_u32_e32 v7, vcc, 0, v7, vcc
	v_sub_co_u32_e32 v5, vcc, v5, v6
	v_subb_co_u32_e32 v7, vcc, v8, v7, vcc
	v_mov_b32_e32 v6, v3
	v_cmp_ne_u64_e32 vcc, 0, v[6:7]
                                        ; implicit-def: $vgpr8_vgpr9
	s_and_saveexec_b64 s[0:1], vcc
	s_xor_b64 s[10:11], exec, s[0:1]
	s_cbranch_execz .LBB192_4
; %bb.3:
	v_cvt_f32_u32_e32 v6, s8
	v_mov_b32_e32 v8, 0x4f800000
	s_sub_u32 s0, 0, s8
	s_subb_u32 s1, 0, 0
	v_mac_f32_e32 v6, 0, v8
	v_rcp_f32_e32 v6, v6
	v_mul_f32_e32 v6, 0x5f7ffffc, v6
	v_mul_f32_e32 v8, 0x2f800000, v6
	v_trunc_f32_e32 v8, v8
	v_madmk_f32 v6, v8, 0xcf800000, v6
	v_cvt_u32_f32_e32 v8, v8
	v_cvt_u32_f32_e32 v6, v6
	v_mul_lo_u32 v9, s0, v8
	v_mul_hi_u32 v11, s0, v6
	v_mul_lo_u32 v10, s1, v6
	v_add_u32_e32 v9, v11, v9
	v_mul_lo_u32 v12, s0, v6
	v_add_u32_e32 v9, v9, v10
	v_mul_hi_u32 v11, v6, v12
	v_mul_lo_u32 v13, v6, v9
	v_mul_hi_u32 v10, v6, v9
	v_add_co_u32_e32 v11, vcc, v11, v13
	v_addc_co_u32_e32 v10, vcc, 0, v10, vcc
	v_mul_hi_u32 v14, v8, v12
	v_mul_lo_u32 v12, v8, v12
	v_add_co_u32_e32 v11, vcc, v11, v12
	v_mul_hi_u32 v13, v8, v9
	v_addc_co_u32_e32 v10, vcc, v10, v14, vcc
	v_addc_co_u32_e32 v11, vcc, 0, v13, vcc
	v_mul_lo_u32 v9, v8, v9
	v_add_co_u32_e32 v9, vcc, v10, v9
	v_addc_co_u32_e32 v10, vcc, 0, v11, vcc
	v_add_co_u32_e32 v6, vcc, v6, v9
	v_addc_co_u32_e32 v8, vcc, v8, v10, vcc
	v_mul_lo_u32 v9, s0, v8
	v_mul_hi_u32 v10, s0, v6
	v_add_u32_e32 v9, v10, v9
	v_mul_lo_u32 v10, s1, v6
	v_add_u32_e32 v9, v9, v10
	v_mul_lo_u32 v11, s0, v6
	v_mul_hi_u32 v12, v8, v11
	v_mul_lo_u32 v13, v8, v11
	v_mul_lo_u32 v15, v6, v9
	v_mul_hi_u32 v11, v6, v11
	v_mul_hi_u32 v14, v6, v9
	v_add_co_u32_e32 v11, vcc, v11, v15
	v_addc_co_u32_e32 v14, vcc, 0, v14, vcc
	v_add_co_u32_e32 v11, vcc, v11, v13
	v_mul_hi_u32 v10, v8, v9
	v_addc_co_u32_e32 v11, vcc, v14, v12, vcc
	v_addc_co_u32_e32 v10, vcc, 0, v10, vcc
	v_mul_lo_u32 v9, v8, v9
	v_add_co_u32_e32 v9, vcc, v11, v9
	v_addc_co_u32_e32 v10, vcc, 0, v10, vcc
	v_add_co_u32_e32 v6, vcc, v6, v9
	v_addc_co_u32_e32 v10, vcc, v8, v10, vcc
	v_mad_u64_u32 v[8:9], s[0:1], v5, v10, 0
	v_mul_hi_u32 v11, v5, v6
	v_add_co_u32_e32 v12, vcc, v11, v8
	v_addc_co_u32_e32 v13, vcc, 0, v9, vcc
	v_mad_u64_u32 v[8:9], s[0:1], v7, v10, 0
	v_mad_u64_u32 v[10:11], s[0:1], v7, v6, 0
	v_add_co_u32_e32 v6, vcc, v12, v10
	v_addc_co_u32_e32 v6, vcc, v13, v11, vcc
	v_addc_co_u32_e32 v9, vcc, 0, v9, vcc
	v_add_co_u32_e32 v12, vcc, v6, v8
	v_addc_co_u32_e32 v13, vcc, 0, v9, vcc
	v_mad_u64_u32 v[8:9], s[0:1], s8, v12, 0
	v_mov_b32_e32 v6, v9
	v_mad_u64_u32 v[10:11], s[0:1], s8, v13, v[6:7]
	v_sub_co_u32_e32 v5, vcc, v5, v8
	v_subb_co_u32_e32 v6, vcc, v7, v10, vcc
	v_subrev_co_u32_e32 v7, vcc, s8, v5
	v_subbrev_co_u32_e32 v8, vcc, 0, v6, vcc
	v_cmp_le_u32_e32 vcc, s8, v7
	v_cndmask_b32_e64 v7, 0, -1, vcc
	v_cmp_eq_u32_e32 vcc, 0, v8
	v_cndmask_b32_e32 v7, -1, v7, vcc
	v_add_co_u32_e32 v8, vcc, 2, v12
	v_addc_co_u32_e32 v9, vcc, 0, v13, vcc
	v_add_co_u32_e32 v10, vcc, 1, v12
	v_cmp_le_u32_e64 s[0:1], s8, v5
	v_addc_co_u32_e32 v11, vcc, 0, v13, vcc
	v_cndmask_b32_e64 v5, 0, -1, s[0:1]
	v_cmp_eq_u32_e64 s[0:1], 0, v6
	v_cmp_ne_u32_e32 vcc, 0, v7
	v_cndmask_b32_e64 v5, -1, v5, s[0:1]
	v_cndmask_b32_e32 v7, v11, v9, vcc
	v_cmp_ne_u32_e64 s[0:1], 0, v5
	v_cndmask_b32_e32 v5, v10, v8, vcc
	v_cndmask_b32_e64 v9, v13, v7, s[0:1]
	v_cndmask_b32_e64 v8, v12, v5, s[0:1]
                                        ; implicit-def: $vgpr5
.LBB192_4:
	s_or_saveexec_b64 s[10:11], s[10:11]
	s_load_dwordx2 s[0:1], s[4:5], 0x0
	s_xor_b64 exec, exec, s[10:11]
	s_cbranch_execz .LBB192_6
; %bb.5:
	v_cvt_f32_u32_e32 v6, s8
	s_sub_i32 s4, 0, s8
	v_mov_b32_e32 v9, 0
	v_rcp_iflag_f32_e32 v6, v6
	v_mul_f32_e32 v6, 0x4f7ffffe, v6
	v_cvt_u32_f32_e32 v6, v6
	v_mul_lo_u32 v7, s4, v6
	v_mul_hi_u32 v7, v6, v7
	v_add_u32_e32 v6, v6, v7
	v_mul_hi_u32 v6, v5, v6
	v_mul_lo_u32 v7, v6, s8
	v_sub_u32_e32 v5, v5, v7
	v_add_u32_e32 v8, 1, v6
	v_subrev_u32_e32 v7, s8, v5
	v_cmp_le_u32_e32 vcc, s8, v5
	v_cndmask_b32_e32 v5, v5, v7, vcc
	v_cndmask_b32_e32 v6, v6, v8, vcc
	v_add_u32_e32 v7, 1, v6
	v_cmp_le_u32_e32 vcc, s8, v5
	v_cndmask_b32_e32 v8, v6, v7, vcc
.LBB192_6:
	s_or_b64 exec, exec, s[10:11]
	v_add_co_u32_e32 v4, vcc, v8, v4
	v_addc_co_u32_e32 v5, vcc, 0, v9, vcc
	v_add_co_u32_e32 v8, vcc, 1, v4
	v_addc_co_u32_e32 v9, vcc, 0, v5, vcc
	v_cmp_lt_u64_e32 vcc, 1, v[8:9]
	s_mov_b64 s[10:11], -1
	v_lshlrev_b64 v[6:7], 2, v[2:3]
	s_and_saveexec_b64 s[4:5], vcc
	s_cbranch_execz .LBB192_10
; %bb.7:
	s_lshl_b64 s[10:11], s[6:7], 2
	s_waitcnt lgkmcnt(0)
	s_add_u32 s10, s0, s10
	s_addc_u32 s11, s1, s11
	v_mov_b32_e32 v2, s11
	v_add_co_u32_e32 v14, vcc, s10, v6
	v_addc_co_u32_e32 v15, vcc, v2, v7, vcc
	v_mov_b32_e32 v3, s9
	v_add_co_u32_e32 v2, vcc, s8, v0
	v_addc_co_u32_e32 v3, vcc, 0, v3, vcc
	v_and_b32_e32 v10, -2, v8
	v_mov_b32_e32 v11, v9
	s_lshl_b64 s[10:11], s[8:9], 1
	v_pk_mov_b32 v[4:5], v[2:3], v[2:3] op_sel:[0,1]
	s_mov_b32 s14, s10
	s_mov_b32 s15, s18
	s_mov_b32 s16, s19
	s_mov_b64 s[12:13], 0
	v_mov_b32_e32 v16, 0
	v_mov_b32_e32 v17, s11
	;; [unrolled: 1-line block ×3, first 2 shown]
	v_pk_mov_b32 v[12:13], v[10:11], v[10:11] op_sel:[0,1]
	v_pk_mov_b32 v[2:3], v[0:1], v[0:1] op_sel:[0,1]
	s_mov_b32 s17, s11
.LBB192_8:                              ; =>This Inner Loop Header: Depth=1
	v_mul_lo_u32 v24, v4, s19
	v_mad_u64_u32 v[20:21], s[20:21], v4, s18, 0
	v_add_co_u32_e32 v4, vcc, s14, v4
	v_mul_lo_u32 v19, v5, s18
	v_addc_co_u32_e32 v5, vcc, v5, v17, vcc
	v_mul_lo_u32 v26, v2, s16
	v_mad_u64_u32 v[22:23], s[20:21], v2, s15, 0
	v_add_co_u32_e32 v2, vcc, s10, v2
	v_mul_lo_u32 v25, v3, s15
	v_addc_co_u32_e32 v3, vcc, v3, v18, vcc
	v_add_co_u32_e32 v12, vcc, -2, v12
	v_addc_co_u32_e32 v13, vcc, -1, v13, vcc
	v_add3_u32 v23, v23, v26, v25
	v_cmp_eq_u64_e32 vcc, 0, v[12:13]
	v_lshlrev_b64 v[22:23], 2, v[22:23]
	v_add3_u32 v21, v21, v24, v19
	s_or_b64 s[12:13], vcc, s[12:13]
	v_add_co_u32_e32 v22, vcc, v14, v22
	v_lshlrev_b64 v[20:21], 2, v[20:21]
	v_addc_co_u32_e32 v23, vcc, v15, v23, vcc
	v_add_co_u32_e32 v20, vcc, v14, v20
	v_addc_co_u32_e32 v21, vcc, v15, v21, vcc
	global_store_dword v[22:23], v16, off
	global_store_dword v[20:21], v16, off
	s_andn2_b64 exec, exec, s[12:13]
	s_cbranch_execnz .LBB192_8
; %bb.9:
	s_or_b64 exec, exec, s[12:13]
	v_mad_u64_u32 v[0:1], s[10:11], v10, s8, v[0:1]
	v_mov_b32_e32 v2, v1
	v_mad_u64_u32 v[2:3], s[10:11], v11, s8, v[2:3]
	v_cmp_ne_u64_e32 vcc, v[8:9], v[10:11]
	v_mov_b32_e32 v1, v2
	s_orn2_b64 s[10:11], vcc, exec
.LBB192_10:
	s_or_b64 exec, exec, s[4:5]
	s_and_b64 exec, exec, s[10:11]
	s_cbranch_execz .LBB192_13
; %bb.11:
	v_mul_lo_u32 v4, v1, s18
	v_mul_lo_u32 v5, v0, s19
	v_mad_u64_u32 v[2:3], s[4:5], v0, s18, 0
	v_add3_u32 v3, v3, v5, v4
	v_lshlrev_b64 v[2:3], 2, v[2:3]
	s_lshl_b64 s[4:5], s[6:7], 2
	v_mov_b32_e32 v4, s5
	v_add_co_u32_e32 v2, vcc, s4, v2
	v_addc_co_u32_e32 v3, vcc, v3, v4, vcc
	v_add_co_u32_e32 v2, vcc, v2, v6
	v_addc_co_u32_e32 v3, vcc, v3, v7, vcc
	s_waitcnt lgkmcnt(0)
	v_mov_b32_e32 v4, s1
	v_add_co_u32_e32 v2, vcc, s0, v2
	s_mul_i32 s0, s19, s8
	s_mul_hi_u32 s1, s18, s8
	s_add_i32 s1, s1, s0
	s_mul_i32 s0, s18, s8
	s_lshl_b64 s[4:5], s[0:1], 2
	v_addc_co_u32_e32 v3, vcc, v4, v3, vcc
	s_mov_b64 s[6:7], 0
	v_mov_b32_e32 v4, 0
	v_mov_b32_e32 v5, s9
	;; [unrolled: 1-line block ×3, first 2 shown]
.LBB192_12:                             ; =>This Inner Loop Header: Depth=1
	v_add_co_u32_e32 v0, vcc, s8, v0
	v_addc_co_u32_e32 v1, vcc, v1, v5, vcc
	global_store_dword v[2:3], v4, off
	v_add_co_u32_e32 v2, vcc, s4, v2
	v_cmp_le_i64_e64 s[0:1], s[2:3], v[0:1]
	s_or_b64 s[6:7], s[0:1], s[6:7]
	v_addc_co_u32_e32 v3, vcc, v3, v6, vcc
	s_andn2_b64 exec, exec, s[6:7]
	s_cbranch_execnz .LBB192_12
.LBB192_13:
	s_endpgm
	.section	.rodata,"a",@progbits
	.p2align	6, 0x0
	.amdhsa_kernel _ZL44rocblas_set_matrix_zero_if_alpha_zero_kernelILi16ELi16EPKfPKPfEviiT1_lT2_lli
		.amdhsa_group_segment_fixed_size 0
		.amdhsa_private_segment_fixed_size 0
		.amdhsa_kernarg_size 312
		.amdhsa_user_sgpr_count 6
		.amdhsa_user_sgpr_private_segment_buffer 1
		.amdhsa_user_sgpr_dispatch_ptr 0
		.amdhsa_user_sgpr_queue_ptr 0
		.amdhsa_user_sgpr_kernarg_segment_ptr 1
		.amdhsa_user_sgpr_dispatch_id 0
		.amdhsa_user_sgpr_flat_scratch_init 0
		.amdhsa_user_sgpr_kernarg_preload_length 0
		.amdhsa_user_sgpr_kernarg_preload_offset 0
		.amdhsa_user_sgpr_private_segment_size 0
		.amdhsa_uses_dynamic_stack 0
		.amdhsa_system_sgpr_private_segment_wavefront_offset 0
		.amdhsa_system_sgpr_workgroup_id_x 1
		.amdhsa_system_sgpr_workgroup_id_y 1
		.amdhsa_system_sgpr_workgroup_id_z 1
		.amdhsa_system_sgpr_workgroup_info 0
		.amdhsa_system_vgpr_workitem_id 1
		.amdhsa_next_free_vgpr 27
		.amdhsa_next_free_sgpr 22
		.amdhsa_accum_offset 28
		.amdhsa_reserve_vcc 1
		.amdhsa_reserve_flat_scratch 0
		.amdhsa_float_round_mode_32 0
		.amdhsa_float_round_mode_16_64 0
		.amdhsa_float_denorm_mode_32 3
		.amdhsa_float_denorm_mode_16_64 3
		.amdhsa_dx10_clamp 1
		.amdhsa_ieee_mode 1
		.amdhsa_fp16_overflow 0
		.amdhsa_tg_split 0
		.amdhsa_exception_fp_ieee_invalid_op 0
		.amdhsa_exception_fp_denorm_src 0
		.amdhsa_exception_fp_ieee_div_zero 0
		.amdhsa_exception_fp_ieee_overflow 0
		.amdhsa_exception_fp_ieee_underflow 0
		.amdhsa_exception_fp_ieee_inexact 0
		.amdhsa_exception_int_div_zero 0
	.end_amdhsa_kernel
	.section	.text._ZL44rocblas_set_matrix_zero_if_alpha_zero_kernelILi16ELi16EPKfPKPfEviiT1_lT2_lli,"axG",@progbits,_ZL44rocblas_set_matrix_zero_if_alpha_zero_kernelILi16ELi16EPKfPKPfEviiT1_lT2_lli,comdat
.Lfunc_end192:
	.size	_ZL44rocblas_set_matrix_zero_if_alpha_zero_kernelILi16ELi16EPKfPKPfEviiT1_lT2_lli, .Lfunc_end192-_ZL44rocblas_set_matrix_zero_if_alpha_zero_kernelILi16ELi16EPKfPKPfEviiT1_lT2_lli
                                        ; -- End function
	.section	.AMDGPU.csdata,"",@progbits
; Kernel info:
; codeLenInByte = 1448
; NumSgprs: 26
; NumVgprs: 27
; NumAgprs: 0
; TotalNumVgprs: 27
; ScratchSize: 0
; MemoryBound: 0
; FloatMode: 240
; IeeeMode: 1
; LDSByteSize: 0 bytes/workgroup (compile time only)
; SGPRBlocks: 3
; VGPRBlocks: 3
; NumSGPRsForWavesPerEU: 26
; NumVGPRsForWavesPerEU: 27
; AccumOffset: 28
; Occupancy: 8
; WaveLimiterHint : 1
; COMPUTE_PGM_RSRC2:SCRATCH_EN: 0
; COMPUTE_PGM_RSRC2:USER_SGPR: 6
; COMPUTE_PGM_RSRC2:TRAP_HANDLER: 0
; COMPUTE_PGM_RSRC2:TGID_X_EN: 1
; COMPUTE_PGM_RSRC2:TGID_Y_EN: 1
; COMPUTE_PGM_RSRC2:TGID_Z_EN: 1
; COMPUTE_PGM_RSRC2:TIDIG_COMP_CNT: 1
; COMPUTE_PGM_RSRC3_GFX90A:ACCUM_OFFSET: 6
; COMPUTE_PGM_RSRC3_GFX90A:TG_SPLIT: 0
	.section	.text._ZL44rocblas_set_matrix_zero_if_alpha_zero_kernelILi16ELi16EfPKPfEviiT1_lT2_lli,"axG",@progbits,_ZL44rocblas_set_matrix_zero_if_alpha_zero_kernelILi16ELi16EfPKPfEviiT1_lT2_lli,comdat
	.globl	_ZL44rocblas_set_matrix_zero_if_alpha_zero_kernelILi16ELi16EfPKPfEviiT1_lT2_lli ; -- Begin function _ZL44rocblas_set_matrix_zero_if_alpha_zero_kernelILi16ELi16EfPKPfEviiT1_lT2_lli
	.p2align	8
	.type	_ZL44rocblas_set_matrix_zero_if_alpha_zero_kernelILi16ELi16EfPKPfEviiT1_lT2_lli,@function
_ZL44rocblas_set_matrix_zero_if_alpha_zero_kernelILi16ELi16EfPKPfEviiT1_lT2_lli: ; @_ZL44rocblas_set_matrix_zero_if_alpha_zero_kernelILi16ELi16EfPKPfEviiT1_lT2_lli
; %bb.0:
	s_load_dwordx4 s[0:3], s[4:5], 0x0
	s_waitcnt lgkmcnt(0)
	v_cmp_neq_f32_e64 s[2:3], s2, 0
	s_and_b64 vcc, exec, s[2:3]
	s_cbranch_vccnz .LBB193_13
; %bb.1:
	v_and_b32_e32 v1, 0x3ff, v0
	v_mov_b32_e32 v3, 0
	v_bfe_u32 v0, v0, 10, 10
	v_lshl_add_u32 v2, s6, 4, v1
	v_lshl_add_u32 v0, s7, 4, v0
	v_mov_b32_e32 v1, v3
	s_ashr_i32 s3, s0, 31
	s_mov_b32 s2, s0
	s_ashr_i32 s7, s1, 31
	s_mov_b32 s6, s1
	v_cmp_gt_i64_e32 vcc, s[2:3], v[2:3]
	v_cmp_gt_i64_e64 s[0:1], s[6:7], v[0:1]
	s_mov_b32 s9, 0
	s_and_b64 s[0:1], vcc, s[0:1]
	s_and_saveexec_b64 s[2:3], s[0:1]
	s_cbranch_execz .LBB193_13
; %bb.2:
	s_load_dwordx4 s[0:3], s[4:5], 0x18
	s_load_dword s12, s[4:5], 0x3c
	s_load_dwordx2 s[10:11], s[4:5], 0x28
	s_lshl_b64 s[4:5], s[8:9], 3
	v_mov_b32_e32 v4, s7
	s_waitcnt lgkmcnt(0)
	s_add_u32 s4, s0, s4
	s_addc_u32 s5, s1, s5
	s_lshl_b32 s8, s12, 4
	v_add_co_u32_e32 v6, vcc, s8, v0
	v_addc_co_u32_e64 v7, s[0:1], 0, 0, vcc
	v_cmp_lt_i64_e32 vcc, s[6:7], v[6:7]
	v_cndmask_b32_e32 v8, v4, v7, vcc
	v_mov_b32_e32 v4, s6
	v_cndmask_b32_e32 v5, v4, v6, vcc
	v_cmp_gt_i64_e32 vcc, s[6:7], v[6:7]
	v_cndmask_b32_e64 v4, 0, 1, vcc
	v_add_co_u32_e32 v6, vcc, v6, v4
	v_addc_co_u32_e32 v7, vcc, 0, v7, vcc
	v_sub_co_u32_e32 v5, vcc, v5, v6
	v_subb_co_u32_e32 v7, vcc, v8, v7, vcc
	v_mov_b32_e32 v6, v3
	v_cmp_ne_u64_e32 vcc, 0, v[6:7]
                                        ; implicit-def: $vgpr8_vgpr9
	s_and_saveexec_b64 s[0:1], vcc
	s_xor_b64 s[12:13], exec, s[0:1]
	s_cbranch_execz .LBB193_4
; %bb.3:
	v_cvt_f32_u32_e32 v6, s8
	v_mov_b32_e32 v8, 0x4f800000
	s_sub_u32 s0, 0, s8
	s_subb_u32 s1, 0, 0
	v_mac_f32_e32 v6, 0, v8
	v_rcp_f32_e32 v6, v6
	v_mul_f32_e32 v6, 0x5f7ffffc, v6
	v_mul_f32_e32 v8, 0x2f800000, v6
	v_trunc_f32_e32 v8, v8
	v_madmk_f32 v6, v8, 0xcf800000, v6
	v_cvt_u32_f32_e32 v8, v8
	v_cvt_u32_f32_e32 v6, v6
	v_mul_lo_u32 v9, s0, v8
	v_mul_hi_u32 v11, s0, v6
	v_mul_lo_u32 v10, s1, v6
	v_add_u32_e32 v9, v11, v9
	v_mul_lo_u32 v12, s0, v6
	v_add_u32_e32 v9, v9, v10
	v_mul_hi_u32 v11, v6, v12
	v_mul_lo_u32 v13, v6, v9
	v_mul_hi_u32 v10, v6, v9
	v_add_co_u32_e32 v11, vcc, v11, v13
	v_addc_co_u32_e32 v10, vcc, 0, v10, vcc
	v_mul_hi_u32 v14, v8, v12
	v_mul_lo_u32 v12, v8, v12
	v_add_co_u32_e32 v11, vcc, v11, v12
	v_mul_hi_u32 v13, v8, v9
	v_addc_co_u32_e32 v10, vcc, v10, v14, vcc
	v_addc_co_u32_e32 v11, vcc, 0, v13, vcc
	v_mul_lo_u32 v9, v8, v9
	v_add_co_u32_e32 v9, vcc, v10, v9
	v_addc_co_u32_e32 v10, vcc, 0, v11, vcc
	v_add_co_u32_e32 v6, vcc, v6, v9
	v_addc_co_u32_e32 v8, vcc, v8, v10, vcc
	v_mul_lo_u32 v9, s0, v8
	v_mul_hi_u32 v10, s0, v6
	v_add_u32_e32 v9, v10, v9
	v_mul_lo_u32 v10, s1, v6
	v_add_u32_e32 v9, v9, v10
	v_mul_lo_u32 v11, s0, v6
	v_mul_hi_u32 v12, v8, v11
	v_mul_lo_u32 v13, v8, v11
	v_mul_lo_u32 v15, v6, v9
	v_mul_hi_u32 v11, v6, v11
	v_mul_hi_u32 v14, v6, v9
	v_add_co_u32_e32 v11, vcc, v11, v15
	v_addc_co_u32_e32 v14, vcc, 0, v14, vcc
	v_add_co_u32_e32 v11, vcc, v11, v13
	v_mul_hi_u32 v10, v8, v9
	v_addc_co_u32_e32 v11, vcc, v14, v12, vcc
	v_addc_co_u32_e32 v10, vcc, 0, v10, vcc
	v_mul_lo_u32 v9, v8, v9
	v_add_co_u32_e32 v9, vcc, v11, v9
	v_addc_co_u32_e32 v10, vcc, 0, v10, vcc
	v_add_co_u32_e32 v6, vcc, v6, v9
	v_addc_co_u32_e32 v10, vcc, v8, v10, vcc
	v_mad_u64_u32 v[8:9], s[0:1], v5, v10, 0
	v_mul_hi_u32 v11, v5, v6
	v_add_co_u32_e32 v12, vcc, v11, v8
	v_addc_co_u32_e32 v13, vcc, 0, v9, vcc
	v_mad_u64_u32 v[8:9], s[0:1], v7, v10, 0
	v_mad_u64_u32 v[10:11], s[0:1], v7, v6, 0
	v_add_co_u32_e32 v6, vcc, v12, v10
	v_addc_co_u32_e32 v6, vcc, v13, v11, vcc
	v_addc_co_u32_e32 v9, vcc, 0, v9, vcc
	v_add_co_u32_e32 v12, vcc, v6, v8
	v_addc_co_u32_e32 v13, vcc, 0, v9, vcc
	v_mad_u64_u32 v[8:9], s[0:1], s8, v12, 0
	v_mov_b32_e32 v6, v9
	v_mad_u64_u32 v[10:11], s[0:1], s8, v13, v[6:7]
	v_sub_co_u32_e32 v5, vcc, v5, v8
	v_subb_co_u32_e32 v6, vcc, v7, v10, vcc
	v_subrev_co_u32_e32 v7, vcc, s8, v5
	v_subbrev_co_u32_e32 v8, vcc, 0, v6, vcc
	v_cmp_le_u32_e32 vcc, s8, v7
	v_cndmask_b32_e64 v7, 0, -1, vcc
	v_cmp_eq_u32_e32 vcc, 0, v8
	v_cndmask_b32_e32 v7, -1, v7, vcc
	v_add_co_u32_e32 v8, vcc, 2, v12
	v_addc_co_u32_e32 v9, vcc, 0, v13, vcc
	v_add_co_u32_e32 v10, vcc, 1, v12
	v_cmp_le_u32_e64 s[0:1], s8, v5
	v_addc_co_u32_e32 v11, vcc, 0, v13, vcc
	v_cndmask_b32_e64 v5, 0, -1, s[0:1]
	v_cmp_eq_u32_e64 s[0:1], 0, v6
	v_cmp_ne_u32_e32 vcc, 0, v7
	v_cndmask_b32_e64 v5, -1, v5, s[0:1]
	v_cndmask_b32_e32 v7, v11, v9, vcc
	v_cmp_ne_u32_e64 s[0:1], 0, v5
	v_cndmask_b32_e32 v5, v10, v8, vcc
	v_cndmask_b32_e64 v9, v13, v7, s[0:1]
	v_cndmask_b32_e64 v8, v12, v5, s[0:1]
                                        ; implicit-def: $vgpr5
.LBB193_4:
	s_or_saveexec_b64 s[12:13], s[12:13]
	s_load_dwordx2 s[0:1], s[4:5], 0x0
	s_xor_b64 exec, exec, s[12:13]
	s_cbranch_execz .LBB193_6
; %bb.5:
	v_cvt_f32_u32_e32 v6, s8
	s_sub_i32 s4, 0, s8
	v_mov_b32_e32 v9, 0
	v_rcp_iflag_f32_e32 v6, v6
	v_mul_f32_e32 v6, 0x4f7ffffe, v6
	v_cvt_u32_f32_e32 v6, v6
	v_mul_lo_u32 v7, s4, v6
	v_mul_hi_u32 v7, v6, v7
	v_add_u32_e32 v6, v6, v7
	v_mul_hi_u32 v6, v5, v6
	v_mul_lo_u32 v7, v6, s8
	v_sub_u32_e32 v5, v5, v7
	v_add_u32_e32 v8, 1, v6
	v_subrev_u32_e32 v7, s8, v5
	v_cmp_le_u32_e32 vcc, s8, v5
	v_cndmask_b32_e32 v5, v5, v7, vcc
	v_cndmask_b32_e32 v6, v6, v8, vcc
	v_add_u32_e32 v7, 1, v6
	v_cmp_le_u32_e32 vcc, s8, v5
	v_cndmask_b32_e32 v8, v6, v7, vcc
.LBB193_6:
	s_or_b64 exec, exec, s[12:13]
	v_add_co_u32_e32 v4, vcc, v8, v4
	v_addc_co_u32_e32 v5, vcc, 0, v9, vcc
	v_add_co_u32_e32 v8, vcc, 1, v4
	v_addc_co_u32_e32 v9, vcc, 0, v5, vcc
	v_cmp_lt_u64_e32 vcc, 1, v[8:9]
	s_mov_b64 s[12:13], -1
	v_lshlrev_b64 v[6:7], 2, v[2:3]
	s_and_saveexec_b64 s[4:5], vcc
	s_cbranch_execz .LBB193_10
; %bb.7:
	s_lshl_b64 s[12:13], s[10:11], 2
	s_waitcnt lgkmcnt(0)
	s_add_u32 s12, s0, s12
	s_addc_u32 s13, s1, s13
	v_mov_b32_e32 v2, s13
	v_add_co_u32_e32 v14, vcc, s12, v6
	v_addc_co_u32_e32 v15, vcc, v2, v7, vcc
	v_mov_b32_e32 v3, s9
	v_add_co_u32_e32 v2, vcc, s8, v0
	v_addc_co_u32_e32 v3, vcc, 0, v3, vcc
	v_and_b32_e32 v10, -2, v8
	v_mov_b32_e32 v11, v9
	s_lshl_b64 s[12:13], s[8:9], 1
	v_pk_mov_b32 v[4:5], v[2:3], v[2:3] op_sel:[0,1]
	s_mov_b32 s16, s12
	s_mov_b32 s17, s2
	;; [unrolled: 1-line block ×3, first 2 shown]
	s_mov_b64 s[14:15], 0
	v_mov_b32_e32 v16, 0
	v_mov_b32_e32 v17, s13
	;; [unrolled: 1-line block ×3, first 2 shown]
	v_pk_mov_b32 v[12:13], v[10:11], v[10:11] op_sel:[0,1]
	v_pk_mov_b32 v[2:3], v[0:1], v[0:1] op_sel:[0,1]
.LBB193_8:                              ; =>This Inner Loop Header: Depth=1
	v_mul_lo_u32 v24, v4, s3
	v_mad_u64_u32 v[20:21], s[20:21], v4, s2, 0
	v_add_co_u32_e32 v4, vcc, s16, v4
	v_mul_lo_u32 v19, v5, s2
	v_addc_co_u32_e32 v5, vcc, v5, v17, vcc
	v_mul_lo_u32 v26, v2, s18
	v_mad_u64_u32 v[22:23], s[20:21], v2, s17, 0
	v_add_co_u32_e32 v2, vcc, s12, v2
	v_mul_lo_u32 v25, v3, s17
	v_addc_co_u32_e32 v3, vcc, v3, v18, vcc
	v_add_co_u32_e32 v12, vcc, -2, v12
	v_addc_co_u32_e32 v13, vcc, -1, v13, vcc
	v_add3_u32 v23, v23, v26, v25
	v_cmp_eq_u64_e32 vcc, 0, v[12:13]
	v_lshlrev_b64 v[22:23], 2, v[22:23]
	v_add3_u32 v21, v21, v24, v19
	s_or_b64 s[14:15], vcc, s[14:15]
	v_add_co_u32_e32 v22, vcc, v14, v22
	v_lshlrev_b64 v[20:21], 2, v[20:21]
	v_addc_co_u32_e32 v23, vcc, v15, v23, vcc
	v_add_co_u32_e32 v20, vcc, v14, v20
	v_addc_co_u32_e32 v21, vcc, v15, v21, vcc
	global_store_dword v[22:23], v16, off
	global_store_dword v[20:21], v16, off
	s_andn2_b64 exec, exec, s[14:15]
	s_cbranch_execnz .LBB193_8
; %bb.9:
	s_or_b64 exec, exec, s[14:15]
	v_mad_u64_u32 v[0:1], s[12:13], v10, s8, v[0:1]
	v_mov_b32_e32 v2, v1
	v_mad_u64_u32 v[2:3], s[12:13], v11, s8, v[2:3]
	v_cmp_ne_u64_e32 vcc, v[8:9], v[10:11]
	v_mov_b32_e32 v1, v2
	s_orn2_b64 s[12:13], vcc, exec
.LBB193_10:
	s_or_b64 exec, exec, s[4:5]
	s_and_b64 exec, exec, s[12:13]
	s_cbranch_execz .LBB193_13
; %bb.11:
	v_mul_lo_u32 v4, v1, s2
	v_mul_lo_u32 v5, v0, s3
	v_mad_u64_u32 v[2:3], s[4:5], v0, s2, 0
	v_add3_u32 v3, v3, v5, v4
	v_lshlrev_b64 v[2:3], 2, v[2:3]
	s_lshl_b64 s[4:5], s[10:11], 2
	v_mov_b32_e32 v4, s5
	v_add_co_u32_e32 v2, vcc, s4, v2
	v_addc_co_u32_e32 v3, vcc, v3, v4, vcc
	v_add_co_u32_e32 v2, vcc, v2, v6
	v_addc_co_u32_e32 v3, vcc, v3, v7, vcc
	s_waitcnt lgkmcnt(0)
	v_mov_b32_e32 v4, s1
	v_add_co_u32_e32 v2, vcc, s0, v2
	s_mul_i32 s0, s3, s8
	s_mul_hi_u32 s1, s2, s8
	s_add_i32 s1, s1, s0
	s_mul_i32 s0, s2, s8
	s_lshl_b64 s[2:3], s[0:1], 2
	v_addc_co_u32_e32 v3, vcc, v4, v3, vcc
	s_mov_b64 s[4:5], 0
	v_mov_b32_e32 v4, 0
	v_mov_b32_e32 v5, s9
	;; [unrolled: 1-line block ×3, first 2 shown]
.LBB193_12:                             ; =>This Inner Loop Header: Depth=1
	v_add_co_u32_e32 v0, vcc, s8, v0
	v_addc_co_u32_e32 v1, vcc, v1, v5, vcc
	global_store_dword v[2:3], v4, off
	v_add_co_u32_e32 v2, vcc, s2, v2
	v_cmp_le_i64_e64 s[0:1], s[6:7], v[0:1]
	s_or_b64 s[4:5], s[0:1], s[4:5]
	v_addc_co_u32_e32 v3, vcc, v3, v6, vcc
	s_andn2_b64 exec, exec, s[4:5]
	s_cbranch_execnz .LBB193_12
.LBB193_13:
	s_endpgm
	.section	.rodata,"a",@progbits
	.p2align	6, 0x0
	.amdhsa_kernel _ZL44rocblas_set_matrix_zero_if_alpha_zero_kernelILi16ELi16EfPKPfEviiT1_lT2_lli
		.amdhsa_group_segment_fixed_size 0
		.amdhsa_private_segment_fixed_size 0
		.amdhsa_kernarg_size 312
		.amdhsa_user_sgpr_count 6
		.amdhsa_user_sgpr_private_segment_buffer 1
		.amdhsa_user_sgpr_dispatch_ptr 0
		.amdhsa_user_sgpr_queue_ptr 0
		.amdhsa_user_sgpr_kernarg_segment_ptr 1
		.amdhsa_user_sgpr_dispatch_id 0
		.amdhsa_user_sgpr_flat_scratch_init 0
		.amdhsa_user_sgpr_kernarg_preload_length 0
		.amdhsa_user_sgpr_kernarg_preload_offset 0
		.amdhsa_user_sgpr_private_segment_size 0
		.amdhsa_uses_dynamic_stack 0
		.amdhsa_system_sgpr_private_segment_wavefront_offset 0
		.amdhsa_system_sgpr_workgroup_id_x 1
		.amdhsa_system_sgpr_workgroup_id_y 1
		.amdhsa_system_sgpr_workgroup_id_z 1
		.amdhsa_system_sgpr_workgroup_info 0
		.amdhsa_system_vgpr_workitem_id 1
		.amdhsa_next_free_vgpr 27
		.amdhsa_next_free_sgpr 22
		.amdhsa_accum_offset 28
		.amdhsa_reserve_vcc 1
		.amdhsa_reserve_flat_scratch 0
		.amdhsa_float_round_mode_32 0
		.amdhsa_float_round_mode_16_64 0
		.amdhsa_float_denorm_mode_32 3
		.amdhsa_float_denorm_mode_16_64 3
		.amdhsa_dx10_clamp 1
		.amdhsa_ieee_mode 1
		.amdhsa_fp16_overflow 0
		.amdhsa_tg_split 0
		.amdhsa_exception_fp_ieee_invalid_op 0
		.amdhsa_exception_fp_denorm_src 0
		.amdhsa_exception_fp_ieee_div_zero 0
		.amdhsa_exception_fp_ieee_overflow 0
		.amdhsa_exception_fp_ieee_underflow 0
		.amdhsa_exception_fp_ieee_inexact 0
		.amdhsa_exception_int_div_zero 0
	.end_amdhsa_kernel
	.section	.text._ZL44rocblas_set_matrix_zero_if_alpha_zero_kernelILi16ELi16EfPKPfEviiT1_lT2_lli,"axG",@progbits,_ZL44rocblas_set_matrix_zero_if_alpha_zero_kernelILi16ELi16EfPKPfEviiT1_lT2_lli,comdat
.Lfunc_end193:
	.size	_ZL44rocblas_set_matrix_zero_if_alpha_zero_kernelILi16ELi16EfPKPfEviiT1_lT2_lli, .Lfunc_end193-_ZL44rocblas_set_matrix_zero_if_alpha_zero_kernelILi16ELi16EfPKPfEviiT1_lT2_lli
                                        ; -- End function
	.section	.AMDGPU.csdata,"",@progbits
; Kernel info:
; codeLenInByte = 1400
; NumSgprs: 26
; NumVgprs: 27
; NumAgprs: 0
; TotalNumVgprs: 27
; ScratchSize: 0
; MemoryBound: 0
; FloatMode: 240
; IeeeMode: 1
; LDSByteSize: 0 bytes/workgroup (compile time only)
; SGPRBlocks: 3
; VGPRBlocks: 3
; NumSGPRsForWavesPerEU: 26
; NumVGPRsForWavesPerEU: 27
; AccumOffset: 28
; Occupancy: 8
; WaveLimiterHint : 1
; COMPUTE_PGM_RSRC2:SCRATCH_EN: 0
; COMPUTE_PGM_RSRC2:USER_SGPR: 6
; COMPUTE_PGM_RSRC2:TRAP_HANDLER: 0
; COMPUTE_PGM_RSRC2:TGID_X_EN: 1
; COMPUTE_PGM_RSRC2:TGID_Y_EN: 1
; COMPUTE_PGM_RSRC2:TGID_Z_EN: 1
; COMPUTE_PGM_RSRC2:TIDIG_COMP_CNT: 1
; COMPUTE_PGM_RSRC3_GFX90A:ACCUM_OFFSET: 6
; COMPUTE_PGM_RSRC3_GFX90A:TG_SPLIT: 0
	.section	.text._ZL44rocblas_set_matrix_zero_if_alpha_zero_kernelILi16ELi16EPKfPfEviiT1_lT2_lli,"axG",@progbits,_ZL44rocblas_set_matrix_zero_if_alpha_zero_kernelILi16ELi16EPKfPfEviiT1_lT2_lli,comdat
	.globl	_ZL44rocblas_set_matrix_zero_if_alpha_zero_kernelILi16ELi16EPKfPfEviiT1_lT2_lli ; -- Begin function _ZL44rocblas_set_matrix_zero_if_alpha_zero_kernelILi16ELi16EPKfPfEviiT1_lT2_lli
	.p2align	8
	.type	_ZL44rocblas_set_matrix_zero_if_alpha_zero_kernelILi16ELi16EPKfPfEviiT1_lT2_lli,@function
_ZL44rocblas_set_matrix_zero_if_alpha_zero_kernelILi16ELi16EPKfPfEviiT1_lT2_lli: ; @_ZL44rocblas_set_matrix_zero_if_alpha_zero_kernelILi16ELi16EPKfPfEviiT1_lT2_lli
; %bb.0:
	s_load_dwordx8 s[12:19], s[4:5], 0x8
	s_waitcnt lgkmcnt(0)
	s_mul_i32 s0, s8, s15
	s_mul_hi_u32 s1, s8, s14
	s_add_i32 s1, s1, s0
	s_mul_i32 s0, s8, s14
	s_lshl_b64 s[0:1], s[0:1], 2
	s_add_u32 s0, s12, s0
	s_addc_u32 s1, s13, s1
	s_load_dword s0, s[0:1], 0x0
	s_waitcnt lgkmcnt(0)
	v_cmp_neq_f32_e64 s[0:1], s0, 0
	s_and_b64 vcc, exec, s[0:1]
	s_cbranch_vccnz .LBB194_13
; %bb.1:
	s_load_dwordx2 s[0:1], s[4:5], 0x0
	v_and_b32_e32 v1, 0x3ff, v0
	v_bfe_u32 v0, v0, 10, 10
	v_lshl_add_u32 v2, s6, 4, v1
	v_mov_b32_e32 v3, 0
	v_lshl_add_u32 v0, s7, 4, v0
	s_waitcnt lgkmcnt(0)
	s_ashr_i32 s7, s0, 31
	s_mov_b32 s6, s0
	v_mov_b32_e32 v1, v3
	v_cmp_gt_i64_e32 vcc, s[6:7], v[2:3]
	s_ashr_i32 s7, s1, 31
	s_mov_b32 s6, s1
	v_cmp_gt_i64_e64 s[0:1], s[6:7], v[0:1]
	s_mov_b32 s3, 0
	s_and_b64 s[0:1], vcc, s[0:1]
	s_and_saveexec_b64 s[10:11], s[0:1]
	s_cbranch_execz .LBB194_13
; %bb.2:
	s_load_dword s0, s[4:5], 0x3c
	s_load_dwordx2 s[10:11], s[4:5], 0x28
	v_mov_b32_e32 v4, s7
	s_waitcnt lgkmcnt(0)
	s_lshl_b32 s2, s0, 4
	v_add_co_u32_e32 v6, vcc, s2, v0
	v_addc_co_u32_e64 v7, s[0:1], 0, 0, vcc
	v_cmp_lt_i64_e32 vcc, s[6:7], v[6:7]
	v_cndmask_b32_e32 v8, v4, v7, vcc
	v_mov_b32_e32 v4, s6
	v_cndmask_b32_e32 v5, v4, v6, vcc
	v_cmp_gt_i64_e32 vcc, s[6:7], v[6:7]
	v_cndmask_b32_e64 v4, 0, 1, vcc
	v_add_co_u32_e32 v6, vcc, v6, v4
	v_addc_co_u32_e32 v7, vcc, 0, v7, vcc
	v_sub_co_u32_e32 v5, vcc, v5, v6
	v_subb_co_u32_e32 v7, vcc, v8, v7, vcc
	v_mov_b32_e32 v6, v3
	v_cmp_ne_u64_e32 vcc, 0, v[6:7]
                                        ; implicit-def: $vgpr8_vgpr9
	s_and_saveexec_b64 s[0:1], vcc
	s_xor_b64 s[4:5], exec, s[0:1]
	s_cbranch_execz .LBB194_4
; %bb.3:
	v_cvt_f32_u32_e32 v6, s2
	v_mov_b32_e32 v8, 0x4f800000
	s_sub_u32 s0, 0, s2
	s_subb_u32 s1, 0, 0
	v_mac_f32_e32 v6, 0, v8
	v_rcp_f32_e32 v6, v6
	v_mul_f32_e32 v6, 0x5f7ffffc, v6
	v_mul_f32_e32 v8, 0x2f800000, v6
	v_trunc_f32_e32 v8, v8
	v_madmk_f32 v6, v8, 0xcf800000, v6
	v_cvt_u32_f32_e32 v8, v8
	v_cvt_u32_f32_e32 v6, v6
	v_mul_lo_u32 v9, s0, v8
	v_mul_hi_u32 v11, s0, v6
	v_mul_lo_u32 v10, s1, v6
	v_add_u32_e32 v9, v11, v9
	v_mul_lo_u32 v12, s0, v6
	v_add_u32_e32 v9, v9, v10
	v_mul_hi_u32 v11, v6, v12
	v_mul_lo_u32 v13, v6, v9
	v_mul_hi_u32 v10, v6, v9
	v_add_co_u32_e32 v11, vcc, v11, v13
	v_addc_co_u32_e32 v10, vcc, 0, v10, vcc
	v_mul_hi_u32 v14, v8, v12
	v_mul_lo_u32 v12, v8, v12
	v_add_co_u32_e32 v11, vcc, v11, v12
	v_mul_hi_u32 v13, v8, v9
	v_addc_co_u32_e32 v10, vcc, v10, v14, vcc
	v_addc_co_u32_e32 v11, vcc, 0, v13, vcc
	v_mul_lo_u32 v9, v8, v9
	v_add_co_u32_e32 v9, vcc, v10, v9
	v_addc_co_u32_e32 v10, vcc, 0, v11, vcc
	v_add_co_u32_e32 v6, vcc, v6, v9
	v_addc_co_u32_e32 v8, vcc, v8, v10, vcc
	v_mul_lo_u32 v9, s0, v8
	v_mul_hi_u32 v10, s0, v6
	v_add_u32_e32 v9, v10, v9
	v_mul_lo_u32 v10, s1, v6
	v_add_u32_e32 v9, v9, v10
	v_mul_lo_u32 v11, s0, v6
	v_mul_hi_u32 v12, v8, v11
	v_mul_lo_u32 v13, v8, v11
	v_mul_lo_u32 v15, v6, v9
	v_mul_hi_u32 v11, v6, v11
	v_mul_hi_u32 v14, v6, v9
	v_add_co_u32_e32 v11, vcc, v11, v15
	v_addc_co_u32_e32 v14, vcc, 0, v14, vcc
	v_add_co_u32_e32 v11, vcc, v11, v13
	v_mul_hi_u32 v10, v8, v9
	v_addc_co_u32_e32 v11, vcc, v14, v12, vcc
	v_addc_co_u32_e32 v10, vcc, 0, v10, vcc
	v_mul_lo_u32 v9, v8, v9
	v_add_co_u32_e32 v9, vcc, v11, v9
	v_addc_co_u32_e32 v10, vcc, 0, v10, vcc
	v_add_co_u32_e32 v6, vcc, v6, v9
	v_addc_co_u32_e32 v10, vcc, v8, v10, vcc
	v_mad_u64_u32 v[8:9], s[0:1], v5, v10, 0
	v_mul_hi_u32 v11, v5, v6
	v_add_co_u32_e32 v12, vcc, v11, v8
	v_addc_co_u32_e32 v13, vcc, 0, v9, vcc
	v_mad_u64_u32 v[8:9], s[0:1], v7, v10, 0
	v_mad_u64_u32 v[10:11], s[0:1], v7, v6, 0
	v_add_co_u32_e32 v6, vcc, v12, v10
	v_addc_co_u32_e32 v6, vcc, v13, v11, vcc
	v_addc_co_u32_e32 v9, vcc, 0, v9, vcc
	v_add_co_u32_e32 v12, vcc, v6, v8
	v_addc_co_u32_e32 v13, vcc, 0, v9, vcc
	v_mad_u64_u32 v[8:9], s[0:1], s2, v12, 0
	v_mov_b32_e32 v6, v9
	v_mad_u64_u32 v[10:11], s[0:1], s2, v13, v[6:7]
	v_sub_co_u32_e32 v5, vcc, v5, v8
	v_subb_co_u32_e32 v6, vcc, v7, v10, vcc
	v_subrev_co_u32_e32 v7, vcc, s2, v5
	v_subbrev_co_u32_e32 v8, vcc, 0, v6, vcc
	v_cmp_le_u32_e32 vcc, s2, v7
	v_cndmask_b32_e64 v7, 0, -1, vcc
	v_cmp_eq_u32_e32 vcc, 0, v8
	v_cndmask_b32_e32 v7, -1, v7, vcc
	v_add_co_u32_e32 v8, vcc, 2, v12
	v_addc_co_u32_e32 v9, vcc, 0, v13, vcc
	v_add_co_u32_e32 v10, vcc, 1, v12
	v_cmp_le_u32_e64 s[0:1], s2, v5
	v_addc_co_u32_e32 v11, vcc, 0, v13, vcc
	v_cndmask_b32_e64 v5, 0, -1, s[0:1]
	v_cmp_eq_u32_e64 s[0:1], 0, v6
	v_cmp_ne_u32_e32 vcc, 0, v7
	v_cndmask_b32_e64 v5, -1, v5, s[0:1]
	v_cndmask_b32_e32 v7, v11, v9, vcc
	v_cmp_ne_u32_e64 s[0:1], 0, v5
	v_cndmask_b32_e32 v5, v10, v8, vcc
	v_cndmask_b32_e64 v9, v13, v7, s[0:1]
	v_cndmask_b32_e64 v8, v12, v5, s[0:1]
                                        ; implicit-def: $vgpr5
.LBB194_4:
	s_andn2_saveexec_b64 s[0:1], s[4:5]
	s_cbranch_execz .LBB194_6
; %bb.5:
	v_cvt_f32_u32_e32 v6, s2
	s_sub_i32 s4, 0, s2
	v_mov_b32_e32 v9, 0
	v_rcp_iflag_f32_e32 v6, v6
	v_mul_f32_e32 v6, 0x4f7ffffe, v6
	v_cvt_u32_f32_e32 v6, v6
	v_mul_lo_u32 v7, s4, v6
	v_mul_hi_u32 v7, v6, v7
	v_add_u32_e32 v6, v6, v7
	v_mul_hi_u32 v6, v5, v6
	v_mul_lo_u32 v7, v6, s2
	v_sub_u32_e32 v5, v5, v7
	v_add_u32_e32 v8, 1, v6
	v_subrev_u32_e32 v7, s2, v5
	v_cmp_le_u32_e32 vcc, s2, v5
	v_cndmask_b32_e32 v5, v5, v7, vcc
	v_cndmask_b32_e32 v6, v6, v8, vcc
	v_add_u32_e32 v7, 1, v6
	v_cmp_le_u32_e32 vcc, s2, v5
	v_cndmask_b32_e32 v8, v6, v7, vcc
.LBB194_6:
	s_or_b64 exec, exec, s[0:1]
	v_add_co_u32_e32 v4, vcc, v8, v4
	v_addc_co_u32_e32 v5, vcc, 0, v9, vcc
	v_add_co_u32_e32 v8, vcc, 1, v4
	s_mul_i32 s0, s8, s11
	s_mul_hi_u32 s1, s8, s10
	v_addc_co_u32_e32 v9, vcc, 0, v5, vcc
	s_add_i32 s1, s1, s0
	s_mul_i32 s0, s8, s10
	v_cmp_lt_u64_e32 vcc, 1, v[8:9]
	s_mov_b64 s[8:9], -1
	v_lshlrev_b64 v[6:7], 2, v[2:3]
	s_and_saveexec_b64 s[4:5], vcc
	s_cbranch_execz .LBB194_10
; %bb.7:
	s_lshl_b64 s[8:9], s[0:1], 2
	s_add_u32 s8, s16, s8
	s_addc_u32 s9, s17, s9
	v_mov_b32_e32 v2, s9
	v_add_co_u32_e32 v14, vcc, s8, v6
	v_addc_co_u32_e32 v15, vcc, v2, v7, vcc
	v_mov_b32_e32 v3, s3
	v_add_co_u32_e32 v2, vcc, s2, v0
	v_addc_co_u32_e32 v3, vcc, 0, v3, vcc
	v_and_b32_e32 v10, -2, v8
	v_mov_b32_e32 v11, v9
	s_lshl_b64 s[8:9], s[2:3], 1
	v_pk_mov_b32 v[4:5], v[2:3], v[2:3] op_sel:[0,1]
	s_mov_b32 s12, s8
	s_mov_b32 s13, s18
	;; [unrolled: 1-line block ×5, first 2 shown]
	s_mov_b64 s[10:11], 0
	v_mov_b32_e32 v16, 0
	v_mov_b32_e32 v17, s9
	;; [unrolled: 1-line block ×3, first 2 shown]
	v_pk_mov_b32 v[12:13], v[10:11], v[10:11] op_sel:[0,1]
	v_pk_mov_b32 v[2:3], v[0:1], v[0:1] op_sel:[0,1]
.LBB194_8:                              ; =>This Inner Loop Header: Depth=1
	v_mul_lo_u32 v24, v4, s20
	v_mad_u64_u32 v[20:21], s[22:23], v4, s15, 0
	v_add_co_u32_e32 v4, vcc, s12, v4
	v_mul_lo_u32 v19, v5, s15
	v_addc_co_u32_e32 v5, vcc, v5, v17, vcc
	v_mul_lo_u32 v26, v2, s14
	v_mad_u64_u32 v[22:23], s[22:23], v2, s13, 0
	v_add_co_u32_e32 v2, vcc, s8, v2
	v_mul_lo_u32 v25, v3, s13
	v_addc_co_u32_e32 v3, vcc, v3, v18, vcc
	v_add_co_u32_e32 v12, vcc, -2, v12
	v_addc_co_u32_e32 v13, vcc, -1, v13, vcc
	v_add3_u32 v23, v23, v26, v25
	v_cmp_eq_u64_e32 vcc, 0, v[12:13]
	v_lshlrev_b64 v[22:23], 2, v[22:23]
	v_add3_u32 v21, v21, v24, v19
	s_or_b64 s[10:11], vcc, s[10:11]
	v_add_co_u32_e32 v22, vcc, v14, v22
	v_lshlrev_b64 v[20:21], 2, v[20:21]
	v_addc_co_u32_e32 v23, vcc, v15, v23, vcc
	v_add_co_u32_e32 v20, vcc, v14, v20
	v_addc_co_u32_e32 v21, vcc, v15, v21, vcc
	global_store_dword v[22:23], v16, off
	global_store_dword v[20:21], v16, off
	s_andn2_b64 exec, exec, s[10:11]
	s_cbranch_execnz .LBB194_8
; %bb.9:
	s_or_b64 exec, exec, s[10:11]
	v_mad_u64_u32 v[0:1], s[8:9], v10, s2, v[0:1]
	v_mov_b32_e32 v2, v1
	v_mad_u64_u32 v[2:3], s[8:9], v11, s2, v[2:3]
	v_cmp_ne_u64_e32 vcc, v[8:9], v[10:11]
	v_mov_b32_e32 v1, v2
	s_orn2_b64 s[8:9], vcc, exec
.LBB194_10:
	s_or_b64 exec, exec, s[4:5]
	s_and_b64 exec, exec, s[8:9]
	s_cbranch_execz .LBB194_13
; %bb.11:
	v_mul_lo_u32 v4, v1, s18
	v_mul_lo_u32 v5, v0, s19
	v_mad_u64_u32 v[2:3], s[4:5], v0, s18, 0
	v_add3_u32 v3, v3, v5, v4
	v_lshlrev_b64 v[2:3], 2, v[2:3]
	s_lshl_b64 s[0:1], s[0:1], 2
	v_mov_b32_e32 v4, s1
	v_add_co_u32_e32 v2, vcc, s0, v2
	v_addc_co_u32_e32 v3, vcc, v3, v4, vcc
	v_add_co_u32_e32 v2, vcc, v2, v6
	s_mul_i32 s0, s19, s2
	s_mul_hi_u32 s1, s18, s2
	v_addc_co_u32_e32 v3, vcc, v3, v7, vcc
	s_add_i32 s1, s1, s0
	s_mul_i32 s0, s18, s2
	v_mov_b32_e32 v4, s17
	v_add_co_u32_e32 v2, vcc, s16, v2
	s_lshl_b64 s[4:5], s[0:1], 2
	v_addc_co_u32_e32 v3, vcc, v4, v3, vcc
	s_mov_b64 s[8:9], 0
	v_mov_b32_e32 v4, 0
	v_mov_b32_e32 v5, s3
	;; [unrolled: 1-line block ×3, first 2 shown]
.LBB194_12:                             ; =>This Inner Loop Header: Depth=1
	v_add_co_u32_e32 v0, vcc, s2, v0
	v_addc_co_u32_e32 v1, vcc, v1, v5, vcc
	global_store_dword v[2:3], v4, off
	v_add_co_u32_e32 v2, vcc, s4, v2
	v_cmp_le_i64_e64 s[0:1], s[6:7], v[0:1]
	s_or_b64 s[8:9], s[0:1], s[8:9]
	v_addc_co_u32_e32 v3, vcc, v3, v6, vcc
	s_andn2_b64 exec, exec, s[8:9]
	s_cbranch_execnz .LBB194_12
.LBB194_13:
	s_endpgm
	.section	.rodata,"a",@progbits
	.p2align	6, 0x0
	.amdhsa_kernel _ZL44rocblas_set_matrix_zero_if_alpha_zero_kernelILi16ELi16EPKfPfEviiT1_lT2_lli
		.amdhsa_group_segment_fixed_size 0
		.amdhsa_private_segment_fixed_size 0
		.amdhsa_kernarg_size 312
		.amdhsa_user_sgpr_count 6
		.amdhsa_user_sgpr_private_segment_buffer 1
		.amdhsa_user_sgpr_dispatch_ptr 0
		.amdhsa_user_sgpr_queue_ptr 0
		.amdhsa_user_sgpr_kernarg_segment_ptr 1
		.amdhsa_user_sgpr_dispatch_id 0
		.amdhsa_user_sgpr_flat_scratch_init 0
		.amdhsa_user_sgpr_kernarg_preload_length 0
		.amdhsa_user_sgpr_kernarg_preload_offset 0
		.amdhsa_user_sgpr_private_segment_size 0
		.amdhsa_uses_dynamic_stack 0
		.amdhsa_system_sgpr_private_segment_wavefront_offset 0
		.amdhsa_system_sgpr_workgroup_id_x 1
		.amdhsa_system_sgpr_workgroup_id_y 1
		.amdhsa_system_sgpr_workgroup_id_z 1
		.amdhsa_system_sgpr_workgroup_info 0
		.amdhsa_system_vgpr_workitem_id 1
		.amdhsa_next_free_vgpr 27
		.amdhsa_next_free_sgpr 24
		.amdhsa_accum_offset 28
		.amdhsa_reserve_vcc 1
		.amdhsa_reserve_flat_scratch 0
		.amdhsa_float_round_mode_32 0
		.amdhsa_float_round_mode_16_64 0
		.amdhsa_float_denorm_mode_32 3
		.amdhsa_float_denorm_mode_16_64 3
		.amdhsa_dx10_clamp 1
		.amdhsa_ieee_mode 1
		.amdhsa_fp16_overflow 0
		.amdhsa_tg_split 0
		.amdhsa_exception_fp_ieee_invalid_op 0
		.amdhsa_exception_fp_denorm_src 0
		.amdhsa_exception_fp_ieee_div_zero 0
		.amdhsa_exception_fp_ieee_overflow 0
		.amdhsa_exception_fp_ieee_underflow 0
		.amdhsa_exception_fp_ieee_inexact 0
		.amdhsa_exception_int_div_zero 0
	.end_amdhsa_kernel
	.section	.text._ZL44rocblas_set_matrix_zero_if_alpha_zero_kernelILi16ELi16EPKfPfEviiT1_lT2_lli,"axG",@progbits,_ZL44rocblas_set_matrix_zero_if_alpha_zero_kernelILi16ELi16EPKfPfEviiT1_lT2_lli,comdat
.Lfunc_end194:
	.size	_ZL44rocblas_set_matrix_zero_if_alpha_zero_kernelILi16ELi16EPKfPfEviiT1_lT2_lli, .Lfunc_end194-_ZL44rocblas_set_matrix_zero_if_alpha_zero_kernelILi16ELi16EPKfPfEviiT1_lT2_lli
                                        ; -- End function
	.section	.AMDGPU.csdata,"",@progbits
; Kernel info:
; codeLenInByte = 1436
; NumSgprs: 28
; NumVgprs: 27
; NumAgprs: 0
; TotalNumVgprs: 27
; ScratchSize: 0
; MemoryBound: 0
; FloatMode: 240
; IeeeMode: 1
; LDSByteSize: 0 bytes/workgroup (compile time only)
; SGPRBlocks: 3
; VGPRBlocks: 3
; NumSGPRsForWavesPerEU: 28
; NumVGPRsForWavesPerEU: 27
; AccumOffset: 28
; Occupancy: 8
; WaveLimiterHint : 0
; COMPUTE_PGM_RSRC2:SCRATCH_EN: 0
; COMPUTE_PGM_RSRC2:USER_SGPR: 6
; COMPUTE_PGM_RSRC2:TRAP_HANDLER: 0
; COMPUTE_PGM_RSRC2:TGID_X_EN: 1
; COMPUTE_PGM_RSRC2:TGID_Y_EN: 1
; COMPUTE_PGM_RSRC2:TGID_Z_EN: 1
; COMPUTE_PGM_RSRC2:TIDIG_COMP_CNT: 1
; COMPUTE_PGM_RSRC3_GFX90A:ACCUM_OFFSET: 6
; COMPUTE_PGM_RSRC3_GFX90A:TG_SPLIT: 0
	.section	.text._ZL44rocblas_set_matrix_zero_if_alpha_zero_kernelILi16ELi16EfPfEviiT1_lT2_lli,"axG",@progbits,_ZL44rocblas_set_matrix_zero_if_alpha_zero_kernelILi16ELi16EfPfEviiT1_lT2_lli,comdat
	.globl	_ZL44rocblas_set_matrix_zero_if_alpha_zero_kernelILi16ELi16EfPfEviiT1_lT2_lli ; -- Begin function _ZL44rocblas_set_matrix_zero_if_alpha_zero_kernelILi16ELi16EfPfEviiT1_lT2_lli
	.p2align	8
	.type	_ZL44rocblas_set_matrix_zero_if_alpha_zero_kernelILi16ELi16EfPfEviiT1_lT2_lli,@function
_ZL44rocblas_set_matrix_zero_if_alpha_zero_kernelILi16ELi16EfPfEviiT1_lT2_lli: ; @_ZL44rocblas_set_matrix_zero_if_alpha_zero_kernelILi16ELi16EfPfEviiT1_lT2_lli
; %bb.0:
	s_load_dwordx4 s[0:3], s[4:5], 0x0
	s_waitcnt lgkmcnt(0)
	v_cmp_neq_f32_e64 s[2:3], s2, 0
	s_and_b64 vcc, exec, s[2:3]
	s_cbranch_vccnz .LBB195_13
; %bb.1:
	v_and_b32_e32 v1, 0x3ff, v0
	v_mov_b32_e32 v3, 0
	v_bfe_u32 v0, v0, 10, 10
	v_lshl_add_u32 v2, s6, 4, v1
	v_lshl_add_u32 v0, s7, 4, v0
	v_mov_b32_e32 v1, v3
	s_ashr_i32 s3, s0, 31
	s_mov_b32 s2, s0
	s_ashr_i32 s7, s1, 31
	s_mov_b32 s6, s1
	v_cmp_gt_i64_e32 vcc, s[2:3], v[2:3]
	v_cmp_gt_i64_e64 s[0:1], s[6:7], v[0:1]
	s_mov_b32 s11, 0
	s_and_b64 s[0:1], vcc, s[0:1]
	s_and_saveexec_b64 s[2:3], s[0:1]
	s_cbranch_execz .LBB195_13
; %bb.2:
	s_load_dword s0, s[4:5], 0x3c
	v_mov_b32_e32 v4, s7
	s_waitcnt lgkmcnt(0)
	s_lshl_b32 s10, s0, 4
	v_add_co_u32_e32 v6, vcc, s10, v0
	v_addc_co_u32_e64 v7, s[0:1], 0, 0, vcc
	v_cmp_lt_i64_e32 vcc, s[6:7], v[6:7]
	v_cndmask_b32_e32 v8, v4, v7, vcc
	v_mov_b32_e32 v4, s6
	v_cndmask_b32_e32 v5, v4, v6, vcc
	v_cmp_gt_i64_e32 vcc, s[6:7], v[6:7]
	v_cndmask_b32_e64 v4, 0, 1, vcc
	v_add_co_u32_e32 v6, vcc, v6, v4
	v_addc_co_u32_e32 v7, vcc, 0, v7, vcc
	v_sub_co_u32_e32 v5, vcc, v5, v6
	v_subb_co_u32_e32 v7, vcc, v8, v7, vcc
	v_mov_b32_e32 v6, v3
	v_cmp_ne_u64_e32 vcc, 0, v[6:7]
                                        ; implicit-def: $vgpr8_vgpr9
	s_and_saveexec_b64 s[0:1], vcc
	s_xor_b64 s[2:3], exec, s[0:1]
	s_cbranch_execz .LBB195_4
; %bb.3:
	v_cvt_f32_u32_e32 v6, s10
	v_mov_b32_e32 v8, 0x4f800000
	s_sub_u32 s0, 0, s10
	s_subb_u32 s1, 0, 0
	v_mac_f32_e32 v6, 0, v8
	v_rcp_f32_e32 v6, v6
	v_mul_f32_e32 v6, 0x5f7ffffc, v6
	v_mul_f32_e32 v8, 0x2f800000, v6
	v_trunc_f32_e32 v8, v8
	v_madmk_f32 v6, v8, 0xcf800000, v6
	v_cvt_u32_f32_e32 v8, v8
	v_cvt_u32_f32_e32 v6, v6
	v_mul_lo_u32 v9, s0, v8
	v_mul_hi_u32 v11, s0, v6
	v_mul_lo_u32 v10, s1, v6
	v_add_u32_e32 v9, v11, v9
	v_mul_lo_u32 v12, s0, v6
	v_add_u32_e32 v9, v9, v10
	v_mul_hi_u32 v11, v6, v12
	v_mul_lo_u32 v13, v6, v9
	v_mul_hi_u32 v10, v6, v9
	v_add_co_u32_e32 v11, vcc, v11, v13
	v_addc_co_u32_e32 v10, vcc, 0, v10, vcc
	v_mul_hi_u32 v14, v8, v12
	v_mul_lo_u32 v12, v8, v12
	v_add_co_u32_e32 v11, vcc, v11, v12
	v_mul_hi_u32 v13, v8, v9
	v_addc_co_u32_e32 v10, vcc, v10, v14, vcc
	v_addc_co_u32_e32 v11, vcc, 0, v13, vcc
	v_mul_lo_u32 v9, v8, v9
	v_add_co_u32_e32 v9, vcc, v10, v9
	v_addc_co_u32_e32 v10, vcc, 0, v11, vcc
	v_add_co_u32_e32 v6, vcc, v6, v9
	v_addc_co_u32_e32 v8, vcc, v8, v10, vcc
	v_mul_lo_u32 v9, s0, v8
	v_mul_hi_u32 v10, s0, v6
	v_add_u32_e32 v9, v10, v9
	v_mul_lo_u32 v10, s1, v6
	v_add_u32_e32 v9, v9, v10
	v_mul_lo_u32 v11, s0, v6
	v_mul_hi_u32 v12, v8, v11
	v_mul_lo_u32 v13, v8, v11
	v_mul_lo_u32 v15, v6, v9
	v_mul_hi_u32 v11, v6, v11
	v_mul_hi_u32 v14, v6, v9
	v_add_co_u32_e32 v11, vcc, v11, v15
	v_addc_co_u32_e32 v14, vcc, 0, v14, vcc
	v_add_co_u32_e32 v11, vcc, v11, v13
	v_mul_hi_u32 v10, v8, v9
	v_addc_co_u32_e32 v11, vcc, v14, v12, vcc
	v_addc_co_u32_e32 v10, vcc, 0, v10, vcc
	v_mul_lo_u32 v9, v8, v9
	v_add_co_u32_e32 v9, vcc, v11, v9
	v_addc_co_u32_e32 v10, vcc, 0, v10, vcc
	v_add_co_u32_e32 v6, vcc, v6, v9
	v_addc_co_u32_e32 v10, vcc, v8, v10, vcc
	v_mad_u64_u32 v[8:9], s[0:1], v5, v10, 0
	v_mul_hi_u32 v11, v5, v6
	v_add_co_u32_e32 v12, vcc, v11, v8
	v_addc_co_u32_e32 v13, vcc, 0, v9, vcc
	v_mad_u64_u32 v[8:9], s[0:1], v7, v10, 0
	v_mad_u64_u32 v[10:11], s[0:1], v7, v6, 0
	v_add_co_u32_e32 v6, vcc, v12, v10
	v_addc_co_u32_e32 v6, vcc, v13, v11, vcc
	v_addc_co_u32_e32 v9, vcc, 0, v9, vcc
	v_add_co_u32_e32 v12, vcc, v6, v8
	v_addc_co_u32_e32 v13, vcc, 0, v9, vcc
	v_mad_u64_u32 v[8:9], s[0:1], s10, v12, 0
	v_mov_b32_e32 v6, v9
	v_mad_u64_u32 v[10:11], s[0:1], s10, v13, v[6:7]
	v_sub_co_u32_e32 v5, vcc, v5, v8
	v_subb_co_u32_e32 v6, vcc, v7, v10, vcc
	v_subrev_co_u32_e32 v7, vcc, s10, v5
	v_subbrev_co_u32_e32 v8, vcc, 0, v6, vcc
	v_cmp_le_u32_e32 vcc, s10, v7
	v_cndmask_b32_e64 v7, 0, -1, vcc
	v_cmp_eq_u32_e32 vcc, 0, v8
	v_cndmask_b32_e32 v7, -1, v7, vcc
	v_add_co_u32_e32 v8, vcc, 2, v12
	v_addc_co_u32_e32 v9, vcc, 0, v13, vcc
	v_add_co_u32_e32 v10, vcc, 1, v12
	v_cmp_le_u32_e64 s[0:1], s10, v5
	v_addc_co_u32_e32 v11, vcc, 0, v13, vcc
	v_cndmask_b32_e64 v5, 0, -1, s[0:1]
	v_cmp_eq_u32_e64 s[0:1], 0, v6
	v_cmp_ne_u32_e32 vcc, 0, v7
	v_cndmask_b32_e64 v5, -1, v5, s[0:1]
	v_cndmask_b32_e32 v7, v11, v9, vcc
	v_cmp_ne_u32_e64 s[0:1], 0, v5
	v_cndmask_b32_e32 v5, v10, v8, vcc
	v_cndmask_b32_e64 v9, v13, v7, s[0:1]
	v_cndmask_b32_e64 v8, v12, v5, s[0:1]
                                        ; implicit-def: $vgpr5
.LBB195_4:
	s_andn2_saveexec_b64 s[0:1], s[2:3]
	s_cbranch_execz .LBB195_6
; %bb.5:
	v_cvt_f32_u32_e32 v6, s10
	s_sub_i32 s2, 0, s10
	v_mov_b32_e32 v9, 0
	v_rcp_iflag_f32_e32 v6, v6
	v_mul_f32_e32 v6, 0x4f7ffffe, v6
	v_cvt_u32_f32_e32 v6, v6
	v_mul_lo_u32 v7, s2, v6
	v_mul_hi_u32 v7, v6, v7
	v_add_u32_e32 v6, v6, v7
	v_mul_hi_u32 v6, v5, v6
	v_mul_lo_u32 v7, v6, s10
	v_sub_u32_e32 v5, v5, v7
	v_add_u32_e32 v8, 1, v6
	v_subrev_u32_e32 v7, s10, v5
	v_cmp_le_u32_e32 vcc, s10, v5
	v_cndmask_b32_e32 v5, v5, v7, vcc
	v_cndmask_b32_e32 v6, v6, v8, vcc
	v_add_u32_e32 v7, 1, v6
	v_cmp_le_u32_e32 vcc, s10, v5
	v_cndmask_b32_e32 v8, v6, v7, vcc
.LBB195_6:
	s_or_b64 exec, exec, s[0:1]
	s_load_dwordx2 s[12:13], s[4:5], 0x28
	s_load_dwordx4 s[0:3], s[4:5], 0x18
	v_add_co_u32_e32 v4, vcc, v8, v4
	v_addc_co_u32_e32 v5, vcc, 0, v9, vcc
	v_add_co_u32_e32 v8, vcc, 1, v4
	s_waitcnt lgkmcnt(0)
	s_mul_i32 s5, s8, s13
	s_mul_hi_u32 s9, s8, s12
	v_addc_co_u32_e32 v9, vcc, 0, v5, vcc
	s_mul_i32 s4, s8, s12
	s_add_i32 s5, s9, s5
	v_cmp_lt_u64_e32 vcc, 1, v[8:9]
	s_mov_b64 s[12:13], -1
	v_lshlrev_b64 v[6:7], 2, v[2:3]
	s_and_saveexec_b64 s[8:9], vcc
	s_cbranch_execz .LBB195_10
; %bb.7:
	s_lshl_b64 s[12:13], s[4:5], 2
	s_add_u32 s12, s0, s12
	s_addc_u32 s13, s1, s13
	v_mov_b32_e32 v2, s13
	v_add_co_u32_e32 v14, vcc, s12, v6
	v_addc_co_u32_e32 v15, vcc, v2, v7, vcc
	v_mov_b32_e32 v3, s11
	v_add_co_u32_e32 v2, vcc, s10, v0
	v_addc_co_u32_e32 v3, vcc, 0, v3, vcc
	v_and_b32_e32 v10, -2, v8
	v_mov_b32_e32 v11, v9
	s_lshl_b64 s[12:13], s[10:11], 1
	v_pk_mov_b32 v[4:5], v[2:3], v[2:3] op_sel:[0,1]
	s_mov_b32 s16, s12
	s_mov_b32 s17, s2
	;; [unrolled: 1-line block ×5, first 2 shown]
	s_mov_b64 s[14:15], 0
	v_mov_b32_e32 v16, 0
	v_mov_b32_e32 v17, s13
	;; [unrolled: 1-line block ×3, first 2 shown]
	v_pk_mov_b32 v[12:13], v[10:11], v[10:11] op_sel:[0,1]
	v_pk_mov_b32 v[2:3], v[0:1], v[0:1] op_sel:[0,1]
.LBB195_8:                              ; =>This Inner Loop Header: Depth=1
	v_mul_lo_u32 v24, v4, s20
	v_mad_u64_u32 v[20:21], s[22:23], v4, s19, 0
	v_add_co_u32_e32 v4, vcc, s16, v4
	v_mul_lo_u32 v19, v5, s19
	v_addc_co_u32_e32 v5, vcc, v5, v17, vcc
	v_mul_lo_u32 v26, v2, s18
	v_mad_u64_u32 v[22:23], s[22:23], v2, s17, 0
	v_add_co_u32_e32 v2, vcc, s12, v2
	v_mul_lo_u32 v25, v3, s17
	v_addc_co_u32_e32 v3, vcc, v3, v18, vcc
	v_add_co_u32_e32 v12, vcc, -2, v12
	v_addc_co_u32_e32 v13, vcc, -1, v13, vcc
	v_add3_u32 v23, v23, v26, v25
	v_cmp_eq_u64_e32 vcc, 0, v[12:13]
	v_lshlrev_b64 v[22:23], 2, v[22:23]
	v_add3_u32 v21, v21, v24, v19
	s_or_b64 s[14:15], vcc, s[14:15]
	v_add_co_u32_e32 v22, vcc, v14, v22
	v_lshlrev_b64 v[20:21], 2, v[20:21]
	v_addc_co_u32_e32 v23, vcc, v15, v23, vcc
	v_add_co_u32_e32 v20, vcc, v14, v20
	v_addc_co_u32_e32 v21, vcc, v15, v21, vcc
	global_store_dword v[22:23], v16, off
	global_store_dword v[20:21], v16, off
	s_andn2_b64 exec, exec, s[14:15]
	s_cbranch_execnz .LBB195_8
; %bb.9:
	s_or_b64 exec, exec, s[14:15]
	v_mad_u64_u32 v[0:1], s[12:13], v10, s10, v[0:1]
	v_mov_b32_e32 v2, v1
	v_mad_u64_u32 v[2:3], s[12:13], v11, s10, v[2:3]
	v_cmp_ne_u64_e32 vcc, v[8:9], v[10:11]
	v_mov_b32_e32 v1, v2
	s_orn2_b64 s[12:13], vcc, exec
.LBB195_10:
	s_or_b64 exec, exec, s[8:9]
	s_and_b64 exec, exec, s[12:13]
	s_cbranch_execz .LBB195_13
; %bb.11:
	v_mul_lo_u32 v4, v1, s2
	v_mul_lo_u32 v5, v0, s3
	v_mad_u64_u32 v[2:3], s[8:9], v0, s2, 0
	v_add3_u32 v3, v3, v5, v4
	v_lshlrev_b64 v[2:3], 2, v[2:3]
	s_lshl_b64 s[4:5], s[4:5], 2
	v_mov_b32_e32 v4, s5
	v_add_co_u32_e32 v2, vcc, s4, v2
	v_addc_co_u32_e32 v3, vcc, v3, v4, vcc
	v_add_co_u32_e32 v2, vcc, v2, v6
	v_addc_co_u32_e32 v3, vcc, v3, v7, vcc
	v_mov_b32_e32 v4, s1
	v_add_co_u32_e32 v2, vcc, s0, v2
	s_mul_i32 s0, s3, s10
	s_mul_hi_u32 s1, s2, s10
	s_add_i32 s1, s1, s0
	s_mul_i32 s0, s2, s10
	s_lshl_b64 s[2:3], s[0:1], 2
	v_addc_co_u32_e32 v3, vcc, v4, v3, vcc
	s_mov_b64 s[4:5], 0
	v_mov_b32_e32 v4, 0
	v_mov_b32_e32 v5, s11
	;; [unrolled: 1-line block ×3, first 2 shown]
.LBB195_12:                             ; =>This Inner Loop Header: Depth=1
	v_add_co_u32_e32 v0, vcc, s10, v0
	v_addc_co_u32_e32 v1, vcc, v1, v5, vcc
	global_store_dword v[2:3], v4, off
	v_add_co_u32_e32 v2, vcc, s2, v2
	v_cmp_le_i64_e64 s[0:1], s[6:7], v[0:1]
	s_or_b64 s[4:5], s[0:1], s[4:5]
	v_addc_co_u32_e32 v3, vcc, v3, v6, vcc
	s_andn2_b64 exec, exec, s[4:5]
	s_cbranch_execnz .LBB195_12
.LBB195_13:
	s_endpgm
	.section	.rodata,"a",@progbits
	.p2align	6, 0x0
	.amdhsa_kernel _ZL44rocblas_set_matrix_zero_if_alpha_zero_kernelILi16ELi16EfPfEviiT1_lT2_lli
		.amdhsa_group_segment_fixed_size 0
		.amdhsa_private_segment_fixed_size 0
		.amdhsa_kernarg_size 312
		.amdhsa_user_sgpr_count 6
		.amdhsa_user_sgpr_private_segment_buffer 1
		.amdhsa_user_sgpr_dispatch_ptr 0
		.amdhsa_user_sgpr_queue_ptr 0
		.amdhsa_user_sgpr_kernarg_segment_ptr 1
		.amdhsa_user_sgpr_dispatch_id 0
		.amdhsa_user_sgpr_flat_scratch_init 0
		.amdhsa_user_sgpr_kernarg_preload_length 0
		.amdhsa_user_sgpr_kernarg_preload_offset 0
		.amdhsa_user_sgpr_private_segment_size 0
		.amdhsa_uses_dynamic_stack 0
		.amdhsa_system_sgpr_private_segment_wavefront_offset 0
		.amdhsa_system_sgpr_workgroup_id_x 1
		.amdhsa_system_sgpr_workgroup_id_y 1
		.amdhsa_system_sgpr_workgroup_id_z 1
		.amdhsa_system_sgpr_workgroup_info 0
		.amdhsa_system_vgpr_workitem_id 1
		.amdhsa_next_free_vgpr 27
		.amdhsa_next_free_sgpr 24
		.amdhsa_accum_offset 28
		.amdhsa_reserve_vcc 1
		.amdhsa_reserve_flat_scratch 0
		.amdhsa_float_round_mode_32 0
		.amdhsa_float_round_mode_16_64 0
		.amdhsa_float_denorm_mode_32 3
		.amdhsa_float_denorm_mode_16_64 3
		.amdhsa_dx10_clamp 1
		.amdhsa_ieee_mode 1
		.amdhsa_fp16_overflow 0
		.amdhsa_tg_split 0
		.amdhsa_exception_fp_ieee_invalid_op 0
		.amdhsa_exception_fp_denorm_src 0
		.amdhsa_exception_fp_ieee_div_zero 0
		.amdhsa_exception_fp_ieee_overflow 0
		.amdhsa_exception_fp_ieee_underflow 0
		.amdhsa_exception_fp_ieee_inexact 0
		.amdhsa_exception_int_div_zero 0
	.end_amdhsa_kernel
	.section	.text._ZL44rocblas_set_matrix_zero_if_alpha_zero_kernelILi16ELi16EfPfEviiT1_lT2_lli,"axG",@progbits,_ZL44rocblas_set_matrix_zero_if_alpha_zero_kernelILi16ELi16EfPfEviiT1_lT2_lli,comdat
.Lfunc_end195:
	.size	_ZL44rocblas_set_matrix_zero_if_alpha_zero_kernelILi16ELi16EfPfEviiT1_lT2_lli, .Lfunc_end195-_ZL44rocblas_set_matrix_zero_if_alpha_zero_kernelILi16ELi16EfPfEviiT1_lT2_lli
                                        ; -- End function
	.section	.AMDGPU.csdata,"",@progbits
; Kernel info:
; codeLenInByte = 1396
; NumSgprs: 28
; NumVgprs: 27
; NumAgprs: 0
; TotalNumVgprs: 27
; ScratchSize: 0
; MemoryBound: 0
; FloatMode: 240
; IeeeMode: 1
; LDSByteSize: 0 bytes/workgroup (compile time only)
; SGPRBlocks: 3
; VGPRBlocks: 3
; NumSGPRsForWavesPerEU: 28
; NumVGPRsForWavesPerEU: 27
; AccumOffset: 28
; Occupancy: 8
; WaveLimiterHint : 0
; COMPUTE_PGM_RSRC2:SCRATCH_EN: 0
; COMPUTE_PGM_RSRC2:USER_SGPR: 6
; COMPUTE_PGM_RSRC2:TRAP_HANDLER: 0
; COMPUTE_PGM_RSRC2:TGID_X_EN: 1
; COMPUTE_PGM_RSRC2:TGID_Y_EN: 1
; COMPUTE_PGM_RSRC2:TGID_Z_EN: 1
; COMPUTE_PGM_RSRC2:TIDIG_COMP_CNT: 1
; COMPUTE_PGM_RSRC3_GFX90A:ACCUM_OFFSET: 6
; COMPUTE_PGM_RSRC3_GFX90A:TG_SPLIT: 0
	.section	.text._ZL44rocblas_set_matrix_zero_if_alpha_zero_kernelILi16ELi16EPKdPdEviiT1_lT2_lli,"axG",@progbits,_ZL44rocblas_set_matrix_zero_if_alpha_zero_kernelILi16ELi16EPKdPdEviiT1_lT2_lli,comdat
	.globl	_ZL44rocblas_set_matrix_zero_if_alpha_zero_kernelILi16ELi16EPKdPdEviiT1_lT2_lli ; -- Begin function _ZL44rocblas_set_matrix_zero_if_alpha_zero_kernelILi16ELi16EPKdPdEviiT1_lT2_lli
	.p2align	8
	.type	_ZL44rocblas_set_matrix_zero_if_alpha_zero_kernelILi16ELi16EPKdPdEviiT1_lT2_lli,@function
_ZL44rocblas_set_matrix_zero_if_alpha_zero_kernelILi16ELi16EPKdPdEviiT1_lT2_lli: ; @_ZL44rocblas_set_matrix_zero_if_alpha_zero_kernelILi16ELi16EPKdPdEviiT1_lT2_lli
; %bb.0:
	s_load_dwordx8 s[12:19], s[4:5], 0x8
	s_waitcnt lgkmcnt(0)
	s_mul_i32 s0, s8, s15
	s_mul_hi_u32 s1, s8, s14
	s_add_i32 s1, s1, s0
	s_mul_i32 s0, s8, s14
	s_lshl_b64 s[0:1], s[0:1], 3
	s_add_u32 s0, s12, s0
	s_addc_u32 s1, s13, s1
	s_load_dwordx2 s[0:1], s[0:1], 0x0
	s_waitcnt lgkmcnt(0)
	v_cmp_neq_f64_e64 s[0:1], s[0:1], 0
	s_and_b64 vcc, exec, s[0:1]
	s_cbranch_vccnz .LBB196_4
; %bb.1:
	s_load_dwordx2 s[0:1], s[4:5], 0x0
	v_and_b32_e32 v1, 0x3ff, v0
	v_lshl_add_u32 v2, s6, 4, v1
	v_mov_b32_e32 v3, 0
	v_bfe_u32 v0, v0, 10, 10
	s_waitcnt lgkmcnt(0)
	s_ashr_i32 s3, s0, 31
	s_mov_b32 s2, s0
	v_lshl_add_u32 v0, s7, 4, v0
	v_mov_b32_e32 v1, v3
	v_cmp_gt_i64_e32 vcc, s[2:3], v[2:3]
	s_ashr_i32 s3, s1, 31
	s_mov_b32 s2, s1
	v_cmp_gt_i64_e64 s[0:1], s[2:3], v[0:1]
	s_mov_b32 s9, 0
	s_and_b64 s[0:1], vcc, s[0:1]
	s_and_saveexec_b64 s[6:7], s[0:1]
	s_cbranch_execz .LBB196_4
; %bb.2:
	s_load_dword s6, s[4:5], 0x3c
	s_load_dwordx2 s[0:1], s[4:5], 0x28
	s_waitcnt lgkmcnt(0)
	s_lshl_b32 s10, s6, 4
	s_mul_i32 s1, s1, s8
	s_mul_hi_u32 s4, s0, s8
	s_add_i32 s1, s4, s1
	v_mad_u64_u32 v[4:5], s[4:5], s18, v0, 0
	v_mov_b32_e32 v6, v5
	v_mad_u64_u32 v[6:7], s[4:5], s19, v0, v[6:7]
	s_mul_i32 s0, s0, s8
	v_mov_b32_e32 v5, v6
	s_lshl_b64 s[0:1], s[0:1], 3
	v_lshlrev_b64 v[4:5], 3, v[4:5]
	v_mov_b32_e32 v6, s1
	v_add_co_u32_e32 v7, vcc, s0, v4
	v_addc_co_u32_e32 v6, vcc, v6, v5, vcc
	v_lshlrev_b64 v[4:5], 3, v[2:3]
	v_add_co_u32_e32 v2, vcc, v7, v4
	s_mul_i32 s0, s19, s10
	s_mul_hi_u32 s1, s18, s10
	v_addc_co_u32_e32 v5, vcc, v6, v5, vcc
	s_add_i32 s1, s1, s0
	s_mul_i32 s0, s18, s10
	v_mov_b32_e32 v6, s17
	v_add_co_u32_e32 v4, vcc, s16, v2
	s_lshl_b64 s[4:5], s[0:1], 3
	v_addc_co_u32_e32 v5, vcc, v6, v5, vcc
	s_mov_b64 s[6:7], 0
	v_mov_b32_e32 v2, v3
	v_mov_b32_e32 v6, s9
	;; [unrolled: 1-line block ×3, first 2 shown]
.LBB196_3:                              ; =>This Inner Loop Header: Depth=1
	v_add_co_u32_e32 v0, vcc, s10, v0
	v_addc_co_u32_e32 v1, vcc, v1, v6, vcc
	global_store_dwordx2 v[4:5], v[2:3], off
	v_add_co_u32_e32 v4, vcc, s4, v4
	v_cmp_le_i64_e64 s[0:1], s[2:3], v[0:1]
	s_or_b64 s[6:7], s[0:1], s[6:7]
	v_addc_co_u32_e32 v5, vcc, v5, v7, vcc
	s_andn2_b64 exec, exec, s[6:7]
	s_cbranch_execnz .LBB196_3
.LBB196_4:
	s_endpgm
	.section	.rodata,"a",@progbits
	.p2align	6, 0x0
	.amdhsa_kernel _ZL44rocblas_set_matrix_zero_if_alpha_zero_kernelILi16ELi16EPKdPdEviiT1_lT2_lli
		.amdhsa_group_segment_fixed_size 0
		.amdhsa_private_segment_fixed_size 0
		.amdhsa_kernarg_size 312
		.amdhsa_user_sgpr_count 6
		.amdhsa_user_sgpr_private_segment_buffer 1
		.amdhsa_user_sgpr_dispatch_ptr 0
		.amdhsa_user_sgpr_queue_ptr 0
		.amdhsa_user_sgpr_kernarg_segment_ptr 1
		.amdhsa_user_sgpr_dispatch_id 0
		.amdhsa_user_sgpr_flat_scratch_init 0
		.amdhsa_user_sgpr_kernarg_preload_length 0
		.amdhsa_user_sgpr_kernarg_preload_offset 0
		.amdhsa_user_sgpr_private_segment_size 0
		.amdhsa_uses_dynamic_stack 0
		.amdhsa_system_sgpr_private_segment_wavefront_offset 0
		.amdhsa_system_sgpr_workgroup_id_x 1
		.amdhsa_system_sgpr_workgroup_id_y 1
		.amdhsa_system_sgpr_workgroup_id_z 1
		.amdhsa_system_sgpr_workgroup_info 0
		.amdhsa_system_vgpr_workitem_id 1
		.amdhsa_next_free_vgpr 8
		.amdhsa_next_free_sgpr 20
		.amdhsa_accum_offset 8
		.amdhsa_reserve_vcc 1
		.amdhsa_reserve_flat_scratch 0
		.amdhsa_float_round_mode_32 0
		.amdhsa_float_round_mode_16_64 0
		.amdhsa_float_denorm_mode_32 3
		.amdhsa_float_denorm_mode_16_64 3
		.amdhsa_dx10_clamp 1
		.amdhsa_ieee_mode 1
		.amdhsa_fp16_overflow 0
		.amdhsa_tg_split 0
		.amdhsa_exception_fp_ieee_invalid_op 0
		.amdhsa_exception_fp_denorm_src 0
		.amdhsa_exception_fp_ieee_div_zero 0
		.amdhsa_exception_fp_ieee_overflow 0
		.amdhsa_exception_fp_ieee_underflow 0
		.amdhsa_exception_fp_ieee_inexact 0
		.amdhsa_exception_int_div_zero 0
	.end_amdhsa_kernel
	.section	.text._ZL44rocblas_set_matrix_zero_if_alpha_zero_kernelILi16ELi16EPKdPdEviiT1_lT2_lli,"axG",@progbits,_ZL44rocblas_set_matrix_zero_if_alpha_zero_kernelILi16ELi16EPKdPdEviiT1_lT2_lli,comdat
.Lfunc_end196:
	.size	_ZL44rocblas_set_matrix_zero_if_alpha_zero_kernelILi16ELi16EPKdPdEviiT1_lT2_lli, .Lfunc_end196-_ZL44rocblas_set_matrix_zero_if_alpha_zero_kernelILi16ELi16EPKdPdEviiT1_lT2_lli
                                        ; -- End function
	.section	.AMDGPU.csdata,"",@progbits
; Kernel info:
; codeLenInByte = 364
; NumSgprs: 24
; NumVgprs: 8
; NumAgprs: 0
; TotalNumVgprs: 8
; ScratchSize: 0
; MemoryBound: 0
; FloatMode: 240
; IeeeMode: 1
; LDSByteSize: 0 bytes/workgroup (compile time only)
; SGPRBlocks: 2
; VGPRBlocks: 0
; NumSGPRsForWavesPerEU: 24
; NumVGPRsForWavesPerEU: 8
; AccumOffset: 8
; Occupancy: 8
; WaveLimiterHint : 0
; COMPUTE_PGM_RSRC2:SCRATCH_EN: 0
; COMPUTE_PGM_RSRC2:USER_SGPR: 6
; COMPUTE_PGM_RSRC2:TRAP_HANDLER: 0
; COMPUTE_PGM_RSRC2:TGID_X_EN: 1
; COMPUTE_PGM_RSRC2:TGID_Y_EN: 1
; COMPUTE_PGM_RSRC2:TGID_Z_EN: 1
; COMPUTE_PGM_RSRC2:TIDIG_COMP_CNT: 1
; COMPUTE_PGM_RSRC3_GFX90A:ACCUM_OFFSET: 1
; COMPUTE_PGM_RSRC3_GFX90A:TG_SPLIT: 0
	.section	.text._ZL44rocblas_set_matrix_zero_if_alpha_zero_kernelILi16ELi16EdPdEviiT1_lT2_lli,"axG",@progbits,_ZL44rocblas_set_matrix_zero_if_alpha_zero_kernelILi16ELi16EdPdEviiT1_lT2_lli,comdat
	.globl	_ZL44rocblas_set_matrix_zero_if_alpha_zero_kernelILi16ELi16EdPdEviiT1_lT2_lli ; -- Begin function _ZL44rocblas_set_matrix_zero_if_alpha_zero_kernelILi16ELi16EdPdEviiT1_lT2_lli
	.p2align	8
	.type	_ZL44rocblas_set_matrix_zero_if_alpha_zero_kernelILi16ELi16EdPdEviiT1_lT2_lli,@function
_ZL44rocblas_set_matrix_zero_if_alpha_zero_kernelILi16ELi16EdPdEviiT1_lT2_lli: ; @_ZL44rocblas_set_matrix_zero_if_alpha_zero_kernelILi16ELi16EdPdEviiT1_lT2_lli
; %bb.0:
	s_load_dwordx2 s[0:1], s[4:5], 0x8
	s_waitcnt lgkmcnt(0)
	v_cmp_neq_f64_e64 s[0:1], s[0:1], 0
	s_and_b64 vcc, exec, s[0:1]
	s_cbranch_vccnz .LBB197_4
; %bb.1:
	s_load_dwordx2 s[0:1], s[4:5], 0x0
	v_and_b32_e32 v1, 0x3ff, v0
	v_lshl_add_u32 v2, s6, 4, v1
	v_mov_b32_e32 v3, 0
	v_bfe_u32 v0, v0, 10, 10
	s_waitcnt lgkmcnt(0)
	s_ashr_i32 s3, s0, 31
	s_mov_b32 s2, s0
	v_lshl_add_u32 v0, s7, 4, v0
	v_mov_b32_e32 v1, v3
	v_cmp_gt_i64_e32 vcc, s[2:3], v[2:3]
	s_ashr_i32 s3, s1, 31
	s_mov_b32 s2, s1
	v_cmp_gt_i64_e64 s[0:1], s[2:3], v[0:1]
	s_mov_b32 s9, 0
	s_and_b64 s[0:1], vcc, s[0:1]
	s_and_saveexec_b64 s[6:7], s[0:1]
	s_cbranch_execz .LBB197_4
; %bb.2:
	s_load_dword s6, s[4:5], 0x3c
	s_load_dwordx2 s[0:1], s[4:5], 0x28
	s_load_dwordx4 s[12:15], s[4:5], 0x18
	s_waitcnt lgkmcnt(0)
	s_lshl_b32 s10, s6, 4
	s_mul_i32 s1, s1, s8
	s_mul_hi_u32 s4, s0, s8
	s_add_i32 s1, s4, s1
	v_mad_u64_u32 v[4:5], s[4:5], s14, v0, 0
	v_mov_b32_e32 v6, v5
	v_mad_u64_u32 v[6:7], s[4:5], s15, v0, v[6:7]
	s_mul_i32 s0, s0, s8
	v_mov_b32_e32 v5, v6
	s_lshl_b64 s[0:1], s[0:1], 3
	v_lshlrev_b64 v[4:5], 3, v[4:5]
	v_mov_b32_e32 v6, s1
	v_add_co_u32_e32 v7, vcc, s0, v4
	v_addc_co_u32_e32 v6, vcc, v6, v5, vcc
	v_lshlrev_b64 v[4:5], 3, v[2:3]
	v_add_co_u32_e32 v2, vcc, v7, v4
	s_mul_i32 s0, s15, s10
	s_mul_hi_u32 s1, s14, s10
	v_addc_co_u32_e32 v5, vcc, v6, v5, vcc
	s_add_i32 s1, s1, s0
	s_mul_i32 s0, s14, s10
	v_mov_b32_e32 v6, s13
	v_add_co_u32_e32 v4, vcc, s12, v2
	s_lshl_b64 s[4:5], s[0:1], 3
	v_addc_co_u32_e32 v5, vcc, v6, v5, vcc
	s_mov_b64 s[6:7], 0
	v_mov_b32_e32 v2, v3
	v_mov_b32_e32 v6, s9
	;; [unrolled: 1-line block ×3, first 2 shown]
.LBB197_3:                              ; =>This Inner Loop Header: Depth=1
	v_add_co_u32_e32 v0, vcc, s10, v0
	v_addc_co_u32_e32 v1, vcc, v1, v6, vcc
	global_store_dwordx2 v[4:5], v[2:3], off
	v_add_co_u32_e32 v4, vcc, s4, v4
	v_cmp_le_i64_e64 s[0:1], s[2:3], v[0:1]
	s_or_b64 s[6:7], s[0:1], s[6:7]
	v_addc_co_u32_e32 v5, vcc, v5, v7, vcc
	s_andn2_b64 exec, exec, s[6:7]
	s_cbranch_execnz .LBB197_3
.LBB197_4:
	s_endpgm
	.section	.rodata,"a",@progbits
	.p2align	6, 0x0
	.amdhsa_kernel _ZL44rocblas_set_matrix_zero_if_alpha_zero_kernelILi16ELi16EdPdEviiT1_lT2_lli
		.amdhsa_group_segment_fixed_size 0
		.amdhsa_private_segment_fixed_size 0
		.amdhsa_kernarg_size 312
		.amdhsa_user_sgpr_count 6
		.amdhsa_user_sgpr_private_segment_buffer 1
		.amdhsa_user_sgpr_dispatch_ptr 0
		.amdhsa_user_sgpr_queue_ptr 0
		.amdhsa_user_sgpr_kernarg_segment_ptr 1
		.amdhsa_user_sgpr_dispatch_id 0
		.amdhsa_user_sgpr_flat_scratch_init 0
		.amdhsa_user_sgpr_kernarg_preload_length 0
		.amdhsa_user_sgpr_kernarg_preload_offset 0
		.amdhsa_user_sgpr_private_segment_size 0
		.amdhsa_uses_dynamic_stack 0
		.amdhsa_system_sgpr_private_segment_wavefront_offset 0
		.amdhsa_system_sgpr_workgroup_id_x 1
		.amdhsa_system_sgpr_workgroup_id_y 1
		.amdhsa_system_sgpr_workgroup_id_z 1
		.amdhsa_system_sgpr_workgroup_info 0
		.amdhsa_system_vgpr_workitem_id 1
		.amdhsa_next_free_vgpr 8
		.amdhsa_next_free_sgpr 16
		.amdhsa_accum_offset 8
		.amdhsa_reserve_vcc 1
		.amdhsa_reserve_flat_scratch 0
		.amdhsa_float_round_mode_32 0
		.amdhsa_float_round_mode_16_64 0
		.amdhsa_float_denorm_mode_32 3
		.amdhsa_float_denorm_mode_16_64 3
		.amdhsa_dx10_clamp 1
		.amdhsa_ieee_mode 1
		.amdhsa_fp16_overflow 0
		.amdhsa_tg_split 0
		.amdhsa_exception_fp_ieee_invalid_op 0
		.amdhsa_exception_fp_denorm_src 0
		.amdhsa_exception_fp_ieee_div_zero 0
		.amdhsa_exception_fp_ieee_overflow 0
		.amdhsa_exception_fp_ieee_underflow 0
		.amdhsa_exception_fp_ieee_inexact 0
		.amdhsa_exception_int_div_zero 0
	.end_amdhsa_kernel
	.section	.text._ZL44rocblas_set_matrix_zero_if_alpha_zero_kernelILi16ELi16EdPdEviiT1_lT2_lli,"axG",@progbits,_ZL44rocblas_set_matrix_zero_if_alpha_zero_kernelILi16ELi16EdPdEviiT1_lT2_lli,comdat
.Lfunc_end197:
	.size	_ZL44rocblas_set_matrix_zero_if_alpha_zero_kernelILi16ELi16EdPdEviiT1_lT2_lli, .Lfunc_end197-_ZL44rocblas_set_matrix_zero_if_alpha_zero_kernelILi16ELi16EdPdEviiT1_lT2_lli
                                        ; -- End function
	.section	.AMDGPU.csdata,"",@progbits
; Kernel info:
; codeLenInByte = 332
; NumSgprs: 20
; NumVgprs: 8
; NumAgprs: 0
; TotalNumVgprs: 8
; ScratchSize: 0
; MemoryBound: 0
; FloatMode: 240
; IeeeMode: 1
; LDSByteSize: 0 bytes/workgroup (compile time only)
; SGPRBlocks: 2
; VGPRBlocks: 0
; NumSGPRsForWavesPerEU: 20
; NumVGPRsForWavesPerEU: 8
; AccumOffset: 8
; Occupancy: 8
; WaveLimiterHint : 0
; COMPUTE_PGM_RSRC2:SCRATCH_EN: 0
; COMPUTE_PGM_RSRC2:USER_SGPR: 6
; COMPUTE_PGM_RSRC2:TRAP_HANDLER: 0
; COMPUTE_PGM_RSRC2:TGID_X_EN: 1
; COMPUTE_PGM_RSRC2:TGID_Y_EN: 1
; COMPUTE_PGM_RSRC2:TGID_Z_EN: 1
; COMPUTE_PGM_RSRC2:TIDIG_COMP_CNT: 1
; COMPUTE_PGM_RSRC3_GFX90A:ACCUM_OFFSET: 1
; COMPUTE_PGM_RSRC3_GFX90A:TG_SPLIT: 0
	.section	.text._ZL44rocblas_set_matrix_zero_if_alpha_zero_kernelILi16ELi16EPKdPKPdEviiT1_lT2_lli,"axG",@progbits,_ZL44rocblas_set_matrix_zero_if_alpha_zero_kernelILi16ELi16EPKdPKPdEviiT1_lT2_lli,comdat
	.globl	_ZL44rocblas_set_matrix_zero_if_alpha_zero_kernelILi16ELi16EPKdPKPdEviiT1_lT2_lli ; -- Begin function _ZL44rocblas_set_matrix_zero_if_alpha_zero_kernelILi16ELi16EPKdPKPdEviiT1_lT2_lli
	.p2align	8
	.type	_ZL44rocblas_set_matrix_zero_if_alpha_zero_kernelILi16ELi16EPKdPKPdEviiT1_lT2_lli,@function
_ZL44rocblas_set_matrix_zero_if_alpha_zero_kernelILi16ELi16EPKdPKPdEviiT1_lT2_lli: ; @_ZL44rocblas_set_matrix_zero_if_alpha_zero_kernelILi16ELi16EPKdPKPdEviiT1_lT2_lli
; %bb.0:
	s_load_dwordx8 s[12:19], s[4:5], 0x8
	s_waitcnt lgkmcnt(0)
	s_mul_i32 s0, s8, s15
	s_mul_hi_u32 s1, s8, s14
	s_add_i32 s1, s1, s0
	s_mul_i32 s0, s8, s14
	s_lshl_b64 s[0:1], s[0:1], 3
	s_add_u32 s0, s12, s0
	s_addc_u32 s1, s13, s1
	s_load_dwordx2 s[0:1], s[0:1], 0x0
	s_waitcnt lgkmcnt(0)
	v_cmp_neq_f64_e64 s[0:1], s[0:1], 0
	s_and_b64 vcc, exec, s[0:1]
	s_cbranch_vccnz .LBB198_4
; %bb.1:
	s_load_dwordx2 s[0:1], s[4:5], 0x0
	v_and_b32_e32 v1, 0x3ff, v0
	v_lshl_add_u32 v2, s6, 4, v1
	v_mov_b32_e32 v3, 0
	v_bfe_u32 v0, v0, 10, 10
	s_waitcnt lgkmcnt(0)
	s_ashr_i32 s3, s0, 31
	s_mov_b32 s2, s0
	v_lshl_add_u32 v0, s7, 4, v0
	v_mov_b32_e32 v1, v3
	v_cmp_gt_i64_e32 vcc, s[2:3], v[2:3]
	s_ashr_i32 s3, s1, 31
	s_mov_b32 s2, s1
	v_cmp_gt_i64_e64 s[0:1], s[2:3], v[0:1]
	s_mov_b32 s9, 0
	s_and_b64 s[0:1], vcc, s[0:1]
	s_and_saveexec_b64 s[6:7], s[0:1]
	s_cbranch_execz .LBB198_4
; %bb.2:
	s_load_dwordx2 s[0:1], s[4:5], 0x28
	s_load_dword s6, s[4:5], 0x3c
	s_lshl_b64 s[4:5], s[8:9], 3
	s_add_u32 s4, s16, s4
	s_addc_u32 s5, s17, s5
	s_load_dwordx2 s[4:5], s[4:5], 0x0
	s_waitcnt lgkmcnt(0)
	s_lshl_b32 s8, s6, 4
	v_mad_u64_u32 v[4:5], s[6:7], s18, v0, 0
	v_mov_b32_e32 v6, v5
	v_mad_u64_u32 v[6:7], s[6:7], s19, v0, v[6:7]
	v_mov_b32_e32 v5, v6
	v_lshlrev_b64 v[4:5], 3, v[4:5]
	s_lshl_b64 s[0:1], s[0:1], 3
	v_mov_b32_e32 v6, s1
	v_add_co_u32_e32 v7, vcc, s0, v4
	v_addc_co_u32_e32 v6, vcc, v5, v6, vcc
	v_lshlrev_b64 v[4:5], 3, v[2:3]
	v_add_co_u32_e32 v2, vcc, v7, v4
	s_mul_i32 s0, s19, s8
	s_mul_hi_u32 s1, s18, s8
	v_addc_co_u32_e32 v5, vcc, v6, v5, vcc
	s_add_i32 s1, s1, s0
	s_mul_i32 s0, s18, s8
	v_mov_b32_e32 v6, s5
	v_add_co_u32_e32 v4, vcc, s4, v2
	s_lshl_b64 s[4:5], s[0:1], 3
	v_addc_co_u32_e32 v5, vcc, v6, v5, vcc
	s_mov_b64 s[6:7], 0
	v_mov_b32_e32 v2, v3
	v_mov_b32_e32 v6, s9
	;; [unrolled: 1-line block ×3, first 2 shown]
.LBB198_3:                              ; =>This Inner Loop Header: Depth=1
	v_add_co_u32_e32 v0, vcc, s8, v0
	v_addc_co_u32_e32 v1, vcc, v1, v6, vcc
	global_store_dwordx2 v[4:5], v[2:3], off
	v_add_co_u32_e32 v4, vcc, s4, v4
	v_cmp_le_i64_e64 s[0:1], s[2:3], v[0:1]
	s_or_b64 s[6:7], s[0:1], s[6:7]
	v_addc_co_u32_e32 v5, vcc, v5, v7, vcc
	s_andn2_b64 exec, exec, s[6:7]
	s_cbranch_execnz .LBB198_3
.LBB198_4:
	s_endpgm
	.section	.rodata,"a",@progbits
	.p2align	6, 0x0
	.amdhsa_kernel _ZL44rocblas_set_matrix_zero_if_alpha_zero_kernelILi16ELi16EPKdPKPdEviiT1_lT2_lli
		.amdhsa_group_segment_fixed_size 0
		.amdhsa_private_segment_fixed_size 0
		.amdhsa_kernarg_size 312
		.amdhsa_user_sgpr_count 6
		.amdhsa_user_sgpr_private_segment_buffer 1
		.amdhsa_user_sgpr_dispatch_ptr 0
		.amdhsa_user_sgpr_queue_ptr 0
		.amdhsa_user_sgpr_kernarg_segment_ptr 1
		.amdhsa_user_sgpr_dispatch_id 0
		.amdhsa_user_sgpr_flat_scratch_init 0
		.amdhsa_user_sgpr_kernarg_preload_length 0
		.amdhsa_user_sgpr_kernarg_preload_offset 0
		.amdhsa_user_sgpr_private_segment_size 0
		.amdhsa_uses_dynamic_stack 0
		.amdhsa_system_sgpr_private_segment_wavefront_offset 0
		.amdhsa_system_sgpr_workgroup_id_x 1
		.amdhsa_system_sgpr_workgroup_id_y 1
		.amdhsa_system_sgpr_workgroup_id_z 1
		.amdhsa_system_sgpr_workgroup_info 0
		.amdhsa_system_vgpr_workitem_id 1
		.amdhsa_next_free_vgpr 8
		.amdhsa_next_free_sgpr 20
		.amdhsa_accum_offset 8
		.amdhsa_reserve_vcc 1
		.amdhsa_reserve_flat_scratch 0
		.amdhsa_float_round_mode_32 0
		.amdhsa_float_round_mode_16_64 0
		.amdhsa_float_denorm_mode_32 3
		.amdhsa_float_denorm_mode_16_64 3
		.amdhsa_dx10_clamp 1
		.amdhsa_ieee_mode 1
		.amdhsa_fp16_overflow 0
		.amdhsa_tg_split 0
		.amdhsa_exception_fp_ieee_invalid_op 0
		.amdhsa_exception_fp_denorm_src 0
		.amdhsa_exception_fp_ieee_div_zero 0
		.amdhsa_exception_fp_ieee_overflow 0
		.amdhsa_exception_fp_ieee_underflow 0
		.amdhsa_exception_fp_ieee_inexact 0
		.amdhsa_exception_int_div_zero 0
	.end_amdhsa_kernel
	.section	.text._ZL44rocblas_set_matrix_zero_if_alpha_zero_kernelILi16ELi16EPKdPKPdEviiT1_lT2_lli,"axG",@progbits,_ZL44rocblas_set_matrix_zero_if_alpha_zero_kernelILi16ELi16EPKdPKPdEviiT1_lT2_lli,comdat
.Lfunc_end198:
	.size	_ZL44rocblas_set_matrix_zero_if_alpha_zero_kernelILi16ELi16EPKdPKPdEviiT1_lT2_lli, .Lfunc_end198-_ZL44rocblas_set_matrix_zero_if_alpha_zero_kernelILi16ELi16EPKdPKPdEviiT1_lT2_lli
                                        ; -- End function
	.section	.AMDGPU.csdata,"",@progbits
; Kernel info:
; codeLenInByte = 368
; NumSgprs: 24
; NumVgprs: 8
; NumAgprs: 0
; TotalNumVgprs: 8
; ScratchSize: 0
; MemoryBound: 0
; FloatMode: 240
; IeeeMode: 1
; LDSByteSize: 0 bytes/workgroup (compile time only)
; SGPRBlocks: 2
; VGPRBlocks: 0
; NumSGPRsForWavesPerEU: 24
; NumVGPRsForWavesPerEU: 8
; AccumOffset: 8
; Occupancy: 8
; WaveLimiterHint : 0
; COMPUTE_PGM_RSRC2:SCRATCH_EN: 0
; COMPUTE_PGM_RSRC2:USER_SGPR: 6
; COMPUTE_PGM_RSRC2:TRAP_HANDLER: 0
; COMPUTE_PGM_RSRC2:TGID_X_EN: 1
; COMPUTE_PGM_RSRC2:TGID_Y_EN: 1
; COMPUTE_PGM_RSRC2:TGID_Z_EN: 1
; COMPUTE_PGM_RSRC2:TIDIG_COMP_CNT: 1
; COMPUTE_PGM_RSRC3_GFX90A:ACCUM_OFFSET: 1
; COMPUTE_PGM_RSRC3_GFX90A:TG_SPLIT: 0
	.section	.text._ZL44rocblas_set_matrix_zero_if_alpha_zero_kernelILi16ELi16EdPKPdEviiT1_lT2_lli,"axG",@progbits,_ZL44rocblas_set_matrix_zero_if_alpha_zero_kernelILi16ELi16EdPKPdEviiT1_lT2_lli,comdat
	.globl	_ZL44rocblas_set_matrix_zero_if_alpha_zero_kernelILi16ELi16EdPKPdEviiT1_lT2_lli ; -- Begin function _ZL44rocblas_set_matrix_zero_if_alpha_zero_kernelILi16ELi16EdPKPdEviiT1_lT2_lli
	.p2align	8
	.type	_ZL44rocblas_set_matrix_zero_if_alpha_zero_kernelILi16ELi16EdPKPdEviiT1_lT2_lli,@function
_ZL44rocblas_set_matrix_zero_if_alpha_zero_kernelILi16ELi16EdPKPdEviiT1_lT2_lli: ; @_ZL44rocblas_set_matrix_zero_if_alpha_zero_kernelILi16ELi16EdPKPdEviiT1_lT2_lli
; %bb.0:
	s_load_dwordx2 s[0:1], s[4:5], 0x8
	s_waitcnt lgkmcnt(0)
	v_cmp_neq_f64_e64 s[0:1], s[0:1], 0
	s_and_b64 vcc, exec, s[0:1]
	s_cbranch_vccnz .LBB199_4
; %bb.1:
	s_load_dwordx2 s[0:1], s[4:5], 0x0
	v_and_b32_e32 v1, 0x3ff, v0
	v_lshl_add_u32 v2, s6, 4, v1
	v_mov_b32_e32 v3, 0
	v_bfe_u32 v0, v0, 10, 10
	s_waitcnt lgkmcnt(0)
	s_ashr_i32 s3, s0, 31
	s_mov_b32 s2, s0
	v_lshl_add_u32 v0, s7, 4, v0
	v_mov_b32_e32 v1, v3
	v_cmp_gt_i64_e32 vcc, s[2:3], v[2:3]
	s_ashr_i32 s3, s1, 31
	s_mov_b32 s2, s1
	v_cmp_gt_i64_e64 s[0:1], s[2:3], v[0:1]
	s_mov_b32 s9, 0
	s_and_b64 s[0:1], vcc, s[0:1]
	s_and_saveexec_b64 s[6:7], s[0:1]
	s_cbranch_execz .LBB199_4
; %bb.2:
	s_load_dwordx4 s[12:15], s[4:5], 0x18
	s_load_dword s6, s[4:5], 0x3c
	s_load_dwordx2 s[0:1], s[4:5], 0x28
	s_lshl_b64 s[4:5], s[8:9], 3
	s_waitcnt lgkmcnt(0)
	s_add_u32 s4, s12, s4
	s_addc_u32 s5, s13, s5
	s_lshl_b32 s8, s6, 4
	v_mad_u64_u32 v[4:5], s[6:7], s14, v0, 0
	v_mov_b32_e32 v6, v5
	v_mad_u64_u32 v[6:7], s[6:7], s15, v0, v[6:7]
	v_mov_b32_e32 v5, v6
	s_load_dwordx2 s[4:5], s[4:5], 0x0
	v_lshlrev_b64 v[4:5], 3, v[4:5]
	s_lshl_b64 s[0:1], s[0:1], 3
	v_mov_b32_e32 v6, s1
	v_add_co_u32_e32 v7, vcc, s0, v4
	v_addc_co_u32_e32 v6, vcc, v5, v6, vcc
	v_lshlrev_b64 v[4:5], 3, v[2:3]
	v_add_co_u32_e32 v2, vcc, v7, v4
	s_mul_i32 s0, s15, s8
	s_mul_hi_u32 s1, s14, s8
	v_addc_co_u32_e32 v5, vcc, v6, v5, vcc
	s_add_i32 s1, s1, s0
	s_mul_i32 s0, s14, s8
	s_waitcnt lgkmcnt(0)
	v_mov_b32_e32 v6, s5
	v_add_co_u32_e32 v4, vcc, s4, v2
	s_lshl_b64 s[4:5], s[0:1], 3
	v_addc_co_u32_e32 v5, vcc, v6, v5, vcc
	s_mov_b64 s[6:7], 0
	v_mov_b32_e32 v2, v3
	v_mov_b32_e32 v6, s9
	;; [unrolled: 1-line block ×3, first 2 shown]
.LBB199_3:                              ; =>This Inner Loop Header: Depth=1
	v_add_co_u32_e32 v0, vcc, s8, v0
	v_addc_co_u32_e32 v1, vcc, v1, v6, vcc
	global_store_dwordx2 v[4:5], v[2:3], off
	v_add_co_u32_e32 v4, vcc, s4, v4
	v_cmp_le_i64_e64 s[0:1], s[2:3], v[0:1]
	s_or_b64 s[6:7], s[0:1], s[6:7]
	v_addc_co_u32_e32 v5, vcc, v5, v7, vcc
	s_andn2_b64 exec, exec, s[6:7]
	s_cbranch_execnz .LBB199_3
.LBB199_4:
	s_endpgm
	.section	.rodata,"a",@progbits
	.p2align	6, 0x0
	.amdhsa_kernel _ZL44rocblas_set_matrix_zero_if_alpha_zero_kernelILi16ELi16EdPKPdEviiT1_lT2_lli
		.amdhsa_group_segment_fixed_size 0
		.amdhsa_private_segment_fixed_size 0
		.amdhsa_kernarg_size 312
		.amdhsa_user_sgpr_count 6
		.amdhsa_user_sgpr_private_segment_buffer 1
		.amdhsa_user_sgpr_dispatch_ptr 0
		.amdhsa_user_sgpr_queue_ptr 0
		.amdhsa_user_sgpr_kernarg_segment_ptr 1
		.amdhsa_user_sgpr_dispatch_id 0
		.amdhsa_user_sgpr_flat_scratch_init 0
		.amdhsa_user_sgpr_kernarg_preload_length 0
		.amdhsa_user_sgpr_kernarg_preload_offset 0
		.amdhsa_user_sgpr_private_segment_size 0
		.amdhsa_uses_dynamic_stack 0
		.amdhsa_system_sgpr_private_segment_wavefront_offset 0
		.amdhsa_system_sgpr_workgroup_id_x 1
		.amdhsa_system_sgpr_workgroup_id_y 1
		.amdhsa_system_sgpr_workgroup_id_z 1
		.amdhsa_system_sgpr_workgroup_info 0
		.amdhsa_system_vgpr_workitem_id 1
		.amdhsa_next_free_vgpr 8
		.amdhsa_next_free_sgpr 16
		.amdhsa_accum_offset 8
		.amdhsa_reserve_vcc 1
		.amdhsa_reserve_flat_scratch 0
		.amdhsa_float_round_mode_32 0
		.amdhsa_float_round_mode_16_64 0
		.amdhsa_float_denorm_mode_32 3
		.amdhsa_float_denorm_mode_16_64 3
		.amdhsa_dx10_clamp 1
		.amdhsa_ieee_mode 1
		.amdhsa_fp16_overflow 0
		.amdhsa_tg_split 0
		.amdhsa_exception_fp_ieee_invalid_op 0
		.amdhsa_exception_fp_denorm_src 0
		.amdhsa_exception_fp_ieee_div_zero 0
		.amdhsa_exception_fp_ieee_overflow 0
		.amdhsa_exception_fp_ieee_underflow 0
		.amdhsa_exception_fp_ieee_inexact 0
		.amdhsa_exception_int_div_zero 0
	.end_amdhsa_kernel
	.section	.text._ZL44rocblas_set_matrix_zero_if_alpha_zero_kernelILi16ELi16EdPKPdEviiT1_lT2_lli,"axG",@progbits,_ZL44rocblas_set_matrix_zero_if_alpha_zero_kernelILi16ELi16EdPKPdEviiT1_lT2_lli,comdat
.Lfunc_end199:
	.size	_ZL44rocblas_set_matrix_zero_if_alpha_zero_kernelILi16ELi16EdPKPdEviiT1_lT2_lli, .Lfunc_end199-_ZL44rocblas_set_matrix_zero_if_alpha_zero_kernelILi16ELi16EdPKPdEviiT1_lT2_lli
                                        ; -- End function
	.section	.AMDGPU.csdata,"",@progbits
; Kernel info:
; codeLenInByte = 340
; NumSgprs: 20
; NumVgprs: 8
; NumAgprs: 0
; TotalNumVgprs: 8
; ScratchSize: 0
; MemoryBound: 0
; FloatMode: 240
; IeeeMode: 1
; LDSByteSize: 0 bytes/workgroup (compile time only)
; SGPRBlocks: 2
; VGPRBlocks: 0
; NumSGPRsForWavesPerEU: 20
; NumVGPRsForWavesPerEU: 8
; AccumOffset: 8
; Occupancy: 8
; WaveLimiterHint : 0
; COMPUTE_PGM_RSRC2:SCRATCH_EN: 0
; COMPUTE_PGM_RSRC2:USER_SGPR: 6
; COMPUTE_PGM_RSRC2:TRAP_HANDLER: 0
; COMPUTE_PGM_RSRC2:TGID_X_EN: 1
; COMPUTE_PGM_RSRC2:TGID_Y_EN: 1
; COMPUTE_PGM_RSRC2:TGID_Z_EN: 1
; COMPUTE_PGM_RSRC2:TIDIG_COMP_CNT: 1
; COMPUTE_PGM_RSRC3_GFX90A:ACCUM_OFFSET: 1
; COMPUTE_PGM_RSRC3_GFX90A:TG_SPLIT: 0
	.section	.text._ZL44rocblas_set_matrix_zero_if_alpha_zero_kernelILi16ELi16EPK19rocblas_complex_numIfEPKPS1_EviiT1_lT2_lli,"axG",@progbits,_ZL44rocblas_set_matrix_zero_if_alpha_zero_kernelILi16ELi16EPK19rocblas_complex_numIfEPKPS1_EviiT1_lT2_lli,comdat
	.globl	_ZL44rocblas_set_matrix_zero_if_alpha_zero_kernelILi16ELi16EPK19rocblas_complex_numIfEPKPS1_EviiT1_lT2_lli ; -- Begin function _ZL44rocblas_set_matrix_zero_if_alpha_zero_kernelILi16ELi16EPK19rocblas_complex_numIfEPKPS1_EviiT1_lT2_lli
	.p2align	8
	.type	_ZL44rocblas_set_matrix_zero_if_alpha_zero_kernelILi16ELi16EPK19rocblas_complex_numIfEPKPS1_EviiT1_lT2_lli,@function
_ZL44rocblas_set_matrix_zero_if_alpha_zero_kernelILi16ELi16EPK19rocblas_complex_numIfEPKPS1_EviiT1_lT2_lli: ; @_ZL44rocblas_set_matrix_zero_if_alpha_zero_kernelILi16ELi16EPK19rocblas_complex_numIfEPKPS1_EviiT1_lT2_lli
; %bb.0:
	s_load_dwordx8 s[12:19], s[4:5], 0x8
	s_waitcnt lgkmcnt(0)
	s_mul_i32 s0, s8, s15
	s_mul_hi_u32 s1, s8, s14
	s_add_i32 s1, s1, s0
	s_mul_i32 s0, s8, s14
	s_lshl_b64 s[0:1], s[0:1], 3
	s_add_u32 s0, s12, s0
	s_addc_u32 s1, s13, s1
	s_load_dwordx2 s[0:1], s[0:1], 0x0
	s_waitcnt lgkmcnt(0)
	v_cmp_eq_f32_e64 s[2:3], s0, 0
	v_cmp_eq_f32_e64 s[0:1], s1, 0
	s_and_b64 s[0:1], s[2:3], s[0:1]
	s_andn2_b64 vcc, exec, s[0:1]
	s_cbranch_vccnz .LBB200_4
; %bb.1:
	s_load_dwordx2 s[0:1], s[4:5], 0x0
	v_and_b32_e32 v1, 0x3ff, v0
	v_lshl_add_u32 v2, s6, 4, v1
	v_mov_b32_e32 v3, 0
	v_bfe_u32 v0, v0, 10, 10
	s_waitcnt lgkmcnt(0)
	s_ashr_i32 s3, s0, 31
	s_mov_b32 s2, s0
	v_lshl_add_u32 v0, s7, 4, v0
	v_mov_b32_e32 v1, v3
	v_cmp_gt_i64_e32 vcc, s[2:3], v[2:3]
	s_ashr_i32 s3, s1, 31
	s_mov_b32 s2, s1
	v_cmp_gt_i64_e64 s[0:1], s[2:3], v[0:1]
	s_mov_b32 s9, 0
	s_and_b64 s[0:1], vcc, s[0:1]
	s_and_saveexec_b64 s[6:7], s[0:1]
	s_cbranch_execz .LBB200_4
; %bb.2:
	s_load_dwordx2 s[0:1], s[4:5], 0x28
	s_load_dword s6, s[4:5], 0x3c
	s_lshl_b64 s[4:5], s[8:9], 3
	s_add_u32 s4, s16, s4
	s_addc_u32 s5, s17, s5
	s_load_dwordx2 s[4:5], s[4:5], 0x0
	s_waitcnt lgkmcnt(0)
	s_lshl_b32 s8, s6, 4
	v_mad_u64_u32 v[4:5], s[6:7], s18, v0, 0
	v_mov_b32_e32 v6, v5
	v_mad_u64_u32 v[6:7], s[6:7], s19, v0, v[6:7]
	v_mov_b32_e32 v5, v6
	v_lshlrev_b64 v[4:5], 3, v[4:5]
	s_lshl_b64 s[0:1], s[0:1], 3
	v_mov_b32_e32 v6, s1
	v_add_co_u32_e32 v7, vcc, s0, v4
	v_addc_co_u32_e32 v6, vcc, v5, v6, vcc
	v_lshlrev_b64 v[4:5], 3, v[2:3]
	v_add_co_u32_e32 v2, vcc, v7, v4
	s_mul_i32 s0, s19, s8
	s_mul_hi_u32 s1, s18, s8
	v_addc_co_u32_e32 v5, vcc, v6, v5, vcc
	s_add_i32 s1, s1, s0
	s_mul_i32 s0, s18, s8
	v_mov_b32_e32 v6, s5
	v_add_co_u32_e32 v4, vcc, s4, v2
	s_lshl_b64 s[4:5], s[0:1], 3
	v_addc_co_u32_e32 v5, vcc, v6, v5, vcc
	s_mov_b64 s[6:7], 0
	v_mov_b32_e32 v2, v3
	v_mov_b32_e32 v6, s9
	;; [unrolled: 1-line block ×3, first 2 shown]
.LBB200_3:                              ; =>This Inner Loop Header: Depth=1
	v_add_co_u32_e32 v0, vcc, s8, v0
	v_addc_co_u32_e32 v1, vcc, v1, v6, vcc
	flat_store_dwordx2 v[4:5], v[2:3]
	v_add_co_u32_e32 v4, vcc, s4, v4
	v_cmp_le_i64_e64 s[0:1], s[2:3], v[0:1]
	s_or_b64 s[6:7], s[0:1], s[6:7]
	v_addc_co_u32_e32 v5, vcc, v5, v7, vcc
	s_andn2_b64 exec, exec, s[6:7]
	s_cbranch_execnz .LBB200_3
.LBB200_4:
	s_endpgm
	.section	.rodata,"a",@progbits
	.p2align	6, 0x0
	.amdhsa_kernel _ZL44rocblas_set_matrix_zero_if_alpha_zero_kernelILi16ELi16EPK19rocblas_complex_numIfEPKPS1_EviiT1_lT2_lli
		.amdhsa_group_segment_fixed_size 0
		.amdhsa_private_segment_fixed_size 0
		.amdhsa_kernarg_size 312
		.amdhsa_user_sgpr_count 6
		.amdhsa_user_sgpr_private_segment_buffer 1
		.amdhsa_user_sgpr_dispatch_ptr 0
		.amdhsa_user_sgpr_queue_ptr 0
		.amdhsa_user_sgpr_kernarg_segment_ptr 1
		.amdhsa_user_sgpr_dispatch_id 0
		.amdhsa_user_sgpr_flat_scratch_init 0
		.amdhsa_user_sgpr_kernarg_preload_length 0
		.amdhsa_user_sgpr_kernarg_preload_offset 0
		.amdhsa_user_sgpr_private_segment_size 0
		.amdhsa_uses_dynamic_stack 0
		.amdhsa_system_sgpr_private_segment_wavefront_offset 0
		.amdhsa_system_sgpr_workgroup_id_x 1
		.amdhsa_system_sgpr_workgroup_id_y 1
		.amdhsa_system_sgpr_workgroup_id_z 1
		.amdhsa_system_sgpr_workgroup_info 0
		.amdhsa_system_vgpr_workitem_id 1
		.amdhsa_next_free_vgpr 8
		.amdhsa_next_free_sgpr 20
		.amdhsa_accum_offset 8
		.amdhsa_reserve_vcc 1
		.amdhsa_reserve_flat_scratch 0
		.amdhsa_float_round_mode_32 0
		.amdhsa_float_round_mode_16_64 0
		.amdhsa_float_denorm_mode_32 3
		.amdhsa_float_denorm_mode_16_64 3
		.amdhsa_dx10_clamp 1
		.amdhsa_ieee_mode 1
		.amdhsa_fp16_overflow 0
		.amdhsa_tg_split 0
		.amdhsa_exception_fp_ieee_invalid_op 0
		.amdhsa_exception_fp_denorm_src 0
		.amdhsa_exception_fp_ieee_div_zero 0
		.amdhsa_exception_fp_ieee_overflow 0
		.amdhsa_exception_fp_ieee_underflow 0
		.amdhsa_exception_fp_ieee_inexact 0
		.amdhsa_exception_int_div_zero 0
	.end_amdhsa_kernel
	.section	.text._ZL44rocblas_set_matrix_zero_if_alpha_zero_kernelILi16ELi16EPK19rocblas_complex_numIfEPKPS1_EviiT1_lT2_lli,"axG",@progbits,_ZL44rocblas_set_matrix_zero_if_alpha_zero_kernelILi16ELi16EPK19rocblas_complex_numIfEPKPS1_EviiT1_lT2_lli,comdat
.Lfunc_end200:
	.size	_ZL44rocblas_set_matrix_zero_if_alpha_zero_kernelILi16ELi16EPK19rocblas_complex_numIfEPKPS1_EviiT1_lT2_lli, .Lfunc_end200-_ZL44rocblas_set_matrix_zero_if_alpha_zero_kernelILi16ELi16EPK19rocblas_complex_numIfEPKPS1_EviiT1_lT2_lli
                                        ; -- End function
	.section	.AMDGPU.csdata,"",@progbits
; Kernel info:
; codeLenInByte = 380
; NumSgprs: 24
; NumVgprs: 8
; NumAgprs: 0
; TotalNumVgprs: 8
; ScratchSize: 0
; MemoryBound: 0
; FloatMode: 240
; IeeeMode: 1
; LDSByteSize: 0 bytes/workgroup (compile time only)
; SGPRBlocks: 2
; VGPRBlocks: 0
; NumSGPRsForWavesPerEU: 24
; NumVGPRsForWavesPerEU: 8
; AccumOffset: 8
; Occupancy: 8
; WaveLimiterHint : 0
; COMPUTE_PGM_RSRC2:SCRATCH_EN: 0
; COMPUTE_PGM_RSRC2:USER_SGPR: 6
; COMPUTE_PGM_RSRC2:TRAP_HANDLER: 0
; COMPUTE_PGM_RSRC2:TGID_X_EN: 1
; COMPUTE_PGM_RSRC2:TGID_Y_EN: 1
; COMPUTE_PGM_RSRC2:TGID_Z_EN: 1
; COMPUTE_PGM_RSRC2:TIDIG_COMP_CNT: 1
; COMPUTE_PGM_RSRC3_GFX90A:ACCUM_OFFSET: 1
; COMPUTE_PGM_RSRC3_GFX90A:TG_SPLIT: 0
	.section	.text._ZL44rocblas_set_matrix_zero_if_alpha_zero_kernelILi16ELi16E19rocblas_complex_numIfEPKPS1_EviiT1_lT2_lli,"axG",@progbits,_ZL44rocblas_set_matrix_zero_if_alpha_zero_kernelILi16ELi16E19rocblas_complex_numIfEPKPS1_EviiT1_lT2_lli,comdat
	.globl	_ZL44rocblas_set_matrix_zero_if_alpha_zero_kernelILi16ELi16E19rocblas_complex_numIfEPKPS1_EviiT1_lT2_lli ; -- Begin function _ZL44rocblas_set_matrix_zero_if_alpha_zero_kernelILi16ELi16E19rocblas_complex_numIfEPKPS1_EviiT1_lT2_lli
	.p2align	8
	.type	_ZL44rocblas_set_matrix_zero_if_alpha_zero_kernelILi16ELi16E19rocblas_complex_numIfEPKPS1_EviiT1_lT2_lli,@function
_ZL44rocblas_set_matrix_zero_if_alpha_zero_kernelILi16ELi16E19rocblas_complex_numIfEPKPS1_EviiT1_lT2_lli: ; @_ZL44rocblas_set_matrix_zero_if_alpha_zero_kernelILi16ELi16E19rocblas_complex_numIfEPKPS1_EviiT1_lT2_lli
; %bb.0:
	s_load_dwordx4 s[0:3], s[4:5], 0x0
	s_waitcnt lgkmcnt(0)
	v_cmp_eq_f32_e64 s[10:11], s2, 0
	v_cmp_eq_f32_e64 s[2:3], s3, 0
	s_and_b64 s[2:3], s[10:11], s[2:3]
	s_andn2_b64 vcc, exec, s[2:3]
	s_cbranch_vccnz .LBB201_4
; %bb.1:
	v_and_b32_e32 v1, 0x3ff, v0
	v_lshl_add_u32 v2, s6, 4, v1
	v_mov_b32_e32 v3, 0
	v_bfe_u32 v0, v0, 10, 10
	s_ashr_i32 s3, s0, 31
	s_mov_b32 s2, s0
	v_lshl_add_u32 v0, s7, 4, v0
	v_mov_b32_e32 v1, v3
	v_cmp_gt_i64_e32 vcc, s[2:3], v[2:3]
	s_ashr_i32 s3, s1, 31
	s_mov_b32 s2, s1
	v_cmp_gt_i64_e64 s[0:1], s[2:3], v[0:1]
	s_mov_b32 s9, 0
	s_and_b64 s[0:1], vcc, s[0:1]
	s_and_saveexec_b64 s[6:7], s[0:1]
	s_cbranch_execz .LBB201_4
; %bb.2:
	s_load_dwordx4 s[12:15], s[4:5], 0x18
	s_load_dword s6, s[4:5], 0x3c
	s_load_dwordx2 s[0:1], s[4:5], 0x28
	s_lshl_b64 s[4:5], s[8:9], 3
	s_waitcnt lgkmcnt(0)
	s_add_u32 s4, s12, s4
	s_addc_u32 s5, s13, s5
	s_lshl_b32 s8, s6, 4
	v_mad_u64_u32 v[4:5], s[6:7], s14, v0, 0
	v_mov_b32_e32 v6, v5
	v_mad_u64_u32 v[6:7], s[6:7], s15, v0, v[6:7]
	v_mov_b32_e32 v5, v6
	s_load_dwordx2 s[4:5], s[4:5], 0x0
	v_lshlrev_b64 v[4:5], 3, v[4:5]
	s_lshl_b64 s[0:1], s[0:1], 3
	v_mov_b32_e32 v6, s1
	v_add_co_u32_e32 v7, vcc, s0, v4
	v_addc_co_u32_e32 v6, vcc, v5, v6, vcc
	v_lshlrev_b64 v[4:5], 3, v[2:3]
	v_add_co_u32_e32 v2, vcc, v7, v4
	s_mul_i32 s0, s15, s8
	s_mul_hi_u32 s1, s14, s8
	v_addc_co_u32_e32 v5, vcc, v6, v5, vcc
	s_add_i32 s1, s1, s0
	s_mul_i32 s0, s14, s8
	s_waitcnt lgkmcnt(0)
	v_mov_b32_e32 v6, s5
	v_add_co_u32_e32 v4, vcc, s4, v2
	s_lshl_b64 s[4:5], s[0:1], 3
	v_addc_co_u32_e32 v5, vcc, v6, v5, vcc
	s_mov_b64 s[6:7], 0
	v_mov_b32_e32 v2, v3
	v_mov_b32_e32 v6, s9
	;; [unrolled: 1-line block ×3, first 2 shown]
.LBB201_3:                              ; =>This Inner Loop Header: Depth=1
	v_add_co_u32_e32 v0, vcc, s8, v0
	v_addc_co_u32_e32 v1, vcc, v1, v6, vcc
	flat_store_dwordx2 v[4:5], v[2:3]
	v_add_co_u32_e32 v4, vcc, s4, v4
	v_cmp_le_i64_e64 s[0:1], s[2:3], v[0:1]
	s_or_b64 s[6:7], s[0:1], s[6:7]
	v_addc_co_u32_e32 v5, vcc, v5, v7, vcc
	s_andn2_b64 exec, exec, s[6:7]
	s_cbranch_execnz .LBB201_3
.LBB201_4:
	s_endpgm
	.section	.rodata,"a",@progbits
	.p2align	6, 0x0
	.amdhsa_kernel _ZL44rocblas_set_matrix_zero_if_alpha_zero_kernelILi16ELi16E19rocblas_complex_numIfEPKPS1_EviiT1_lT2_lli
		.amdhsa_group_segment_fixed_size 0
		.amdhsa_private_segment_fixed_size 0
		.amdhsa_kernarg_size 312
		.amdhsa_user_sgpr_count 6
		.amdhsa_user_sgpr_private_segment_buffer 1
		.amdhsa_user_sgpr_dispatch_ptr 0
		.amdhsa_user_sgpr_queue_ptr 0
		.amdhsa_user_sgpr_kernarg_segment_ptr 1
		.amdhsa_user_sgpr_dispatch_id 0
		.amdhsa_user_sgpr_flat_scratch_init 0
		.amdhsa_user_sgpr_kernarg_preload_length 0
		.amdhsa_user_sgpr_kernarg_preload_offset 0
		.amdhsa_user_sgpr_private_segment_size 0
		.amdhsa_uses_dynamic_stack 0
		.amdhsa_system_sgpr_private_segment_wavefront_offset 0
		.amdhsa_system_sgpr_workgroup_id_x 1
		.amdhsa_system_sgpr_workgroup_id_y 1
		.amdhsa_system_sgpr_workgroup_id_z 1
		.amdhsa_system_sgpr_workgroup_info 0
		.amdhsa_system_vgpr_workitem_id 1
		.amdhsa_next_free_vgpr 8
		.amdhsa_next_free_sgpr 16
		.amdhsa_accum_offset 8
		.amdhsa_reserve_vcc 1
		.amdhsa_reserve_flat_scratch 0
		.amdhsa_float_round_mode_32 0
		.amdhsa_float_round_mode_16_64 0
		.amdhsa_float_denorm_mode_32 3
		.amdhsa_float_denorm_mode_16_64 3
		.amdhsa_dx10_clamp 1
		.amdhsa_ieee_mode 1
		.amdhsa_fp16_overflow 0
		.amdhsa_tg_split 0
		.amdhsa_exception_fp_ieee_invalid_op 0
		.amdhsa_exception_fp_denorm_src 0
		.amdhsa_exception_fp_ieee_div_zero 0
		.amdhsa_exception_fp_ieee_overflow 0
		.amdhsa_exception_fp_ieee_underflow 0
		.amdhsa_exception_fp_ieee_inexact 0
		.amdhsa_exception_int_div_zero 0
	.end_amdhsa_kernel
	.section	.text._ZL44rocblas_set_matrix_zero_if_alpha_zero_kernelILi16ELi16E19rocblas_complex_numIfEPKPS1_EviiT1_lT2_lli,"axG",@progbits,_ZL44rocblas_set_matrix_zero_if_alpha_zero_kernelILi16ELi16E19rocblas_complex_numIfEPKPS1_EviiT1_lT2_lli,comdat
.Lfunc_end201:
	.size	_ZL44rocblas_set_matrix_zero_if_alpha_zero_kernelILi16ELi16E19rocblas_complex_numIfEPKPS1_EviiT1_lT2_lli, .Lfunc_end201-_ZL44rocblas_set_matrix_zero_if_alpha_zero_kernelILi16ELi16E19rocblas_complex_numIfEPKPS1_EviiT1_lT2_lli
                                        ; -- End function
	.section	.AMDGPU.csdata,"",@progbits
; Kernel info:
; codeLenInByte = 340
; NumSgprs: 20
; NumVgprs: 8
; NumAgprs: 0
; TotalNumVgprs: 8
; ScratchSize: 0
; MemoryBound: 0
; FloatMode: 240
; IeeeMode: 1
; LDSByteSize: 0 bytes/workgroup (compile time only)
; SGPRBlocks: 2
; VGPRBlocks: 0
; NumSGPRsForWavesPerEU: 20
; NumVGPRsForWavesPerEU: 8
; AccumOffset: 8
; Occupancy: 8
; WaveLimiterHint : 0
; COMPUTE_PGM_RSRC2:SCRATCH_EN: 0
; COMPUTE_PGM_RSRC2:USER_SGPR: 6
; COMPUTE_PGM_RSRC2:TRAP_HANDLER: 0
; COMPUTE_PGM_RSRC2:TGID_X_EN: 1
; COMPUTE_PGM_RSRC2:TGID_Y_EN: 1
; COMPUTE_PGM_RSRC2:TGID_Z_EN: 1
; COMPUTE_PGM_RSRC2:TIDIG_COMP_CNT: 1
; COMPUTE_PGM_RSRC3_GFX90A:ACCUM_OFFSET: 1
; COMPUTE_PGM_RSRC3_GFX90A:TG_SPLIT: 0
	.section	.text._ZL44rocblas_set_matrix_zero_if_alpha_zero_kernelILi16ELi16EPK19rocblas_complex_numIfEPS1_EviiT1_lT2_lli,"axG",@progbits,_ZL44rocblas_set_matrix_zero_if_alpha_zero_kernelILi16ELi16EPK19rocblas_complex_numIfEPS1_EviiT1_lT2_lli,comdat
	.globl	_ZL44rocblas_set_matrix_zero_if_alpha_zero_kernelILi16ELi16EPK19rocblas_complex_numIfEPS1_EviiT1_lT2_lli ; -- Begin function _ZL44rocblas_set_matrix_zero_if_alpha_zero_kernelILi16ELi16EPK19rocblas_complex_numIfEPS1_EviiT1_lT2_lli
	.p2align	8
	.type	_ZL44rocblas_set_matrix_zero_if_alpha_zero_kernelILi16ELi16EPK19rocblas_complex_numIfEPS1_EviiT1_lT2_lli,@function
_ZL44rocblas_set_matrix_zero_if_alpha_zero_kernelILi16ELi16EPK19rocblas_complex_numIfEPS1_EviiT1_lT2_lli: ; @_ZL44rocblas_set_matrix_zero_if_alpha_zero_kernelILi16ELi16EPK19rocblas_complex_numIfEPS1_EviiT1_lT2_lli
; %bb.0:
	s_load_dwordx8 s[12:19], s[4:5], 0x8
	s_waitcnt lgkmcnt(0)
	s_mul_i32 s0, s8, s15
	s_mul_hi_u32 s1, s8, s14
	s_add_i32 s1, s1, s0
	s_mul_i32 s0, s8, s14
	s_lshl_b64 s[0:1], s[0:1], 3
	s_add_u32 s0, s12, s0
	s_addc_u32 s1, s13, s1
	s_load_dwordx2 s[0:1], s[0:1], 0x0
	s_waitcnt lgkmcnt(0)
	v_cmp_eq_f32_e64 s[2:3], s0, 0
	v_cmp_eq_f32_e64 s[0:1], s1, 0
	s_and_b64 s[0:1], s[2:3], s[0:1]
	s_andn2_b64 vcc, exec, s[0:1]
	s_cbranch_vccnz .LBB202_4
; %bb.1:
	s_load_dwordx2 s[0:1], s[4:5], 0x0
	v_and_b32_e32 v1, 0x3ff, v0
	v_lshl_add_u32 v2, s6, 4, v1
	v_mov_b32_e32 v3, 0
	v_bfe_u32 v0, v0, 10, 10
	s_waitcnt lgkmcnt(0)
	s_ashr_i32 s3, s0, 31
	s_mov_b32 s2, s0
	v_lshl_add_u32 v0, s7, 4, v0
	v_mov_b32_e32 v1, v3
	v_cmp_gt_i64_e32 vcc, s[2:3], v[2:3]
	s_ashr_i32 s3, s1, 31
	s_mov_b32 s2, s1
	v_cmp_gt_i64_e64 s[0:1], s[2:3], v[0:1]
	s_mov_b32 s9, 0
	s_and_b64 s[0:1], vcc, s[0:1]
	s_and_saveexec_b64 s[6:7], s[0:1]
	s_cbranch_execz .LBB202_4
; %bb.2:
	s_load_dword s6, s[4:5], 0x3c
	s_load_dwordx2 s[0:1], s[4:5], 0x28
	s_waitcnt lgkmcnt(0)
	s_lshl_b32 s10, s6, 4
	s_mul_i32 s1, s1, s8
	s_mul_hi_u32 s4, s0, s8
	s_add_i32 s1, s4, s1
	v_mad_u64_u32 v[4:5], s[4:5], s18, v0, 0
	v_mov_b32_e32 v6, v5
	v_mad_u64_u32 v[6:7], s[4:5], s19, v0, v[6:7]
	s_mul_i32 s0, s0, s8
	v_mov_b32_e32 v5, v6
	s_lshl_b64 s[0:1], s[0:1], 3
	v_lshlrev_b64 v[4:5], 3, v[4:5]
	v_mov_b32_e32 v6, s1
	v_add_co_u32_e32 v7, vcc, s0, v4
	v_addc_co_u32_e32 v6, vcc, v6, v5, vcc
	v_lshlrev_b64 v[4:5], 3, v[2:3]
	v_add_co_u32_e32 v2, vcc, v7, v4
	s_mul_i32 s0, s19, s10
	s_mul_hi_u32 s1, s18, s10
	v_addc_co_u32_e32 v5, vcc, v6, v5, vcc
	s_add_i32 s1, s1, s0
	s_mul_i32 s0, s18, s10
	v_mov_b32_e32 v6, s17
	v_add_co_u32_e32 v4, vcc, s16, v2
	s_lshl_b64 s[4:5], s[0:1], 3
	v_addc_co_u32_e32 v5, vcc, v6, v5, vcc
	s_mov_b64 s[6:7], 0
	v_mov_b32_e32 v2, v3
	v_mov_b32_e32 v6, s9
	v_mov_b32_e32 v7, s5
.LBB202_3:                              ; =>This Inner Loop Header: Depth=1
	v_add_co_u32_e32 v0, vcc, s10, v0
	v_addc_co_u32_e32 v1, vcc, v1, v6, vcc
	global_store_dwordx2 v[4:5], v[2:3], off
	v_add_co_u32_e32 v4, vcc, s4, v4
	v_cmp_le_i64_e64 s[0:1], s[2:3], v[0:1]
	s_or_b64 s[6:7], s[0:1], s[6:7]
	v_addc_co_u32_e32 v5, vcc, v5, v7, vcc
	s_andn2_b64 exec, exec, s[6:7]
	s_cbranch_execnz .LBB202_3
.LBB202_4:
	s_endpgm
	.section	.rodata,"a",@progbits
	.p2align	6, 0x0
	.amdhsa_kernel _ZL44rocblas_set_matrix_zero_if_alpha_zero_kernelILi16ELi16EPK19rocblas_complex_numIfEPS1_EviiT1_lT2_lli
		.amdhsa_group_segment_fixed_size 0
		.amdhsa_private_segment_fixed_size 0
		.amdhsa_kernarg_size 312
		.amdhsa_user_sgpr_count 6
		.amdhsa_user_sgpr_private_segment_buffer 1
		.amdhsa_user_sgpr_dispatch_ptr 0
		.amdhsa_user_sgpr_queue_ptr 0
		.amdhsa_user_sgpr_kernarg_segment_ptr 1
		.amdhsa_user_sgpr_dispatch_id 0
		.amdhsa_user_sgpr_flat_scratch_init 0
		.amdhsa_user_sgpr_kernarg_preload_length 0
		.amdhsa_user_sgpr_kernarg_preload_offset 0
		.amdhsa_user_sgpr_private_segment_size 0
		.amdhsa_uses_dynamic_stack 0
		.amdhsa_system_sgpr_private_segment_wavefront_offset 0
		.amdhsa_system_sgpr_workgroup_id_x 1
		.amdhsa_system_sgpr_workgroup_id_y 1
		.amdhsa_system_sgpr_workgroup_id_z 1
		.amdhsa_system_sgpr_workgroup_info 0
		.amdhsa_system_vgpr_workitem_id 1
		.amdhsa_next_free_vgpr 8
		.amdhsa_next_free_sgpr 20
		.amdhsa_accum_offset 8
		.amdhsa_reserve_vcc 1
		.amdhsa_reserve_flat_scratch 0
		.amdhsa_float_round_mode_32 0
		.amdhsa_float_round_mode_16_64 0
		.amdhsa_float_denorm_mode_32 3
		.amdhsa_float_denorm_mode_16_64 3
		.amdhsa_dx10_clamp 1
		.amdhsa_ieee_mode 1
		.amdhsa_fp16_overflow 0
		.amdhsa_tg_split 0
		.amdhsa_exception_fp_ieee_invalid_op 0
		.amdhsa_exception_fp_denorm_src 0
		.amdhsa_exception_fp_ieee_div_zero 0
		.amdhsa_exception_fp_ieee_overflow 0
		.amdhsa_exception_fp_ieee_underflow 0
		.amdhsa_exception_fp_ieee_inexact 0
		.amdhsa_exception_int_div_zero 0
	.end_amdhsa_kernel
	.section	.text._ZL44rocblas_set_matrix_zero_if_alpha_zero_kernelILi16ELi16EPK19rocblas_complex_numIfEPS1_EviiT1_lT2_lli,"axG",@progbits,_ZL44rocblas_set_matrix_zero_if_alpha_zero_kernelILi16ELi16EPK19rocblas_complex_numIfEPS1_EviiT1_lT2_lli,comdat
.Lfunc_end202:
	.size	_ZL44rocblas_set_matrix_zero_if_alpha_zero_kernelILi16ELi16EPK19rocblas_complex_numIfEPS1_EviiT1_lT2_lli, .Lfunc_end202-_ZL44rocblas_set_matrix_zero_if_alpha_zero_kernelILi16ELi16EPK19rocblas_complex_numIfEPS1_EviiT1_lT2_lli
                                        ; -- End function
	.section	.AMDGPU.csdata,"",@progbits
; Kernel info:
; codeLenInByte = 376
; NumSgprs: 24
; NumVgprs: 8
; NumAgprs: 0
; TotalNumVgprs: 8
; ScratchSize: 0
; MemoryBound: 0
; FloatMode: 240
; IeeeMode: 1
; LDSByteSize: 0 bytes/workgroup (compile time only)
; SGPRBlocks: 2
; VGPRBlocks: 0
; NumSGPRsForWavesPerEU: 24
; NumVGPRsForWavesPerEU: 8
; AccumOffset: 8
; Occupancy: 8
; WaveLimiterHint : 0
; COMPUTE_PGM_RSRC2:SCRATCH_EN: 0
; COMPUTE_PGM_RSRC2:USER_SGPR: 6
; COMPUTE_PGM_RSRC2:TRAP_HANDLER: 0
; COMPUTE_PGM_RSRC2:TGID_X_EN: 1
; COMPUTE_PGM_RSRC2:TGID_Y_EN: 1
; COMPUTE_PGM_RSRC2:TGID_Z_EN: 1
; COMPUTE_PGM_RSRC2:TIDIG_COMP_CNT: 1
; COMPUTE_PGM_RSRC3_GFX90A:ACCUM_OFFSET: 1
; COMPUTE_PGM_RSRC3_GFX90A:TG_SPLIT: 0
	.section	.text._ZL44rocblas_set_matrix_zero_if_alpha_zero_kernelILi16ELi16E19rocblas_complex_numIfEPS1_EviiT1_lT2_lli,"axG",@progbits,_ZL44rocblas_set_matrix_zero_if_alpha_zero_kernelILi16ELi16E19rocblas_complex_numIfEPS1_EviiT1_lT2_lli,comdat
	.globl	_ZL44rocblas_set_matrix_zero_if_alpha_zero_kernelILi16ELi16E19rocblas_complex_numIfEPS1_EviiT1_lT2_lli ; -- Begin function _ZL44rocblas_set_matrix_zero_if_alpha_zero_kernelILi16ELi16E19rocblas_complex_numIfEPS1_EviiT1_lT2_lli
	.p2align	8
	.type	_ZL44rocblas_set_matrix_zero_if_alpha_zero_kernelILi16ELi16E19rocblas_complex_numIfEPS1_EviiT1_lT2_lli,@function
_ZL44rocblas_set_matrix_zero_if_alpha_zero_kernelILi16ELi16E19rocblas_complex_numIfEPS1_EviiT1_lT2_lli: ; @_ZL44rocblas_set_matrix_zero_if_alpha_zero_kernelILi16ELi16E19rocblas_complex_numIfEPS1_EviiT1_lT2_lli
; %bb.0:
	s_load_dwordx4 s[0:3], s[4:5], 0x0
	s_waitcnt lgkmcnt(0)
	v_cmp_eq_f32_e64 s[10:11], s2, 0
	v_cmp_eq_f32_e64 s[2:3], s3, 0
	s_and_b64 s[2:3], s[10:11], s[2:3]
	s_andn2_b64 vcc, exec, s[2:3]
	s_cbranch_vccnz .LBB203_4
; %bb.1:
	v_and_b32_e32 v1, 0x3ff, v0
	v_lshl_add_u32 v2, s6, 4, v1
	v_mov_b32_e32 v3, 0
	v_bfe_u32 v0, v0, 10, 10
	s_ashr_i32 s3, s0, 31
	s_mov_b32 s2, s0
	v_lshl_add_u32 v0, s7, 4, v0
	v_mov_b32_e32 v1, v3
	v_cmp_gt_i64_e32 vcc, s[2:3], v[2:3]
	s_ashr_i32 s3, s1, 31
	s_mov_b32 s2, s1
	v_cmp_gt_i64_e64 s[0:1], s[2:3], v[0:1]
	s_mov_b32 s9, 0
	s_and_b64 s[0:1], vcc, s[0:1]
	s_and_saveexec_b64 s[6:7], s[0:1]
	s_cbranch_execz .LBB203_4
; %bb.2:
	s_load_dword s6, s[4:5], 0x3c
	s_load_dwordx2 s[0:1], s[4:5], 0x28
	s_load_dwordx4 s[12:15], s[4:5], 0x18
	s_waitcnt lgkmcnt(0)
	s_lshl_b32 s10, s6, 4
	s_mul_i32 s1, s1, s8
	s_mul_hi_u32 s4, s0, s8
	s_add_i32 s1, s4, s1
	v_mad_u64_u32 v[4:5], s[4:5], s14, v0, 0
	v_mov_b32_e32 v6, v5
	v_mad_u64_u32 v[6:7], s[4:5], s15, v0, v[6:7]
	s_mul_i32 s0, s0, s8
	v_mov_b32_e32 v5, v6
	s_lshl_b64 s[0:1], s[0:1], 3
	v_lshlrev_b64 v[4:5], 3, v[4:5]
	v_mov_b32_e32 v6, s1
	v_add_co_u32_e32 v7, vcc, s0, v4
	v_addc_co_u32_e32 v6, vcc, v6, v5, vcc
	v_lshlrev_b64 v[4:5], 3, v[2:3]
	v_add_co_u32_e32 v2, vcc, v7, v4
	s_mul_i32 s0, s15, s10
	s_mul_hi_u32 s1, s14, s10
	v_addc_co_u32_e32 v5, vcc, v6, v5, vcc
	s_add_i32 s1, s1, s0
	s_mul_i32 s0, s14, s10
	v_mov_b32_e32 v6, s13
	v_add_co_u32_e32 v4, vcc, s12, v2
	s_lshl_b64 s[4:5], s[0:1], 3
	v_addc_co_u32_e32 v5, vcc, v6, v5, vcc
	s_mov_b64 s[6:7], 0
	v_mov_b32_e32 v2, v3
	v_mov_b32_e32 v6, s9
	;; [unrolled: 1-line block ×3, first 2 shown]
.LBB203_3:                              ; =>This Inner Loop Header: Depth=1
	v_add_co_u32_e32 v0, vcc, s10, v0
	v_addc_co_u32_e32 v1, vcc, v1, v6, vcc
	global_store_dwordx2 v[4:5], v[2:3], off
	v_add_co_u32_e32 v4, vcc, s4, v4
	v_cmp_le_i64_e64 s[0:1], s[2:3], v[0:1]
	s_or_b64 s[6:7], s[0:1], s[6:7]
	v_addc_co_u32_e32 v5, vcc, v5, v7, vcc
	s_andn2_b64 exec, exec, s[6:7]
	s_cbranch_execnz .LBB203_3
.LBB203_4:
	s_endpgm
	.section	.rodata,"a",@progbits
	.p2align	6, 0x0
	.amdhsa_kernel _ZL44rocblas_set_matrix_zero_if_alpha_zero_kernelILi16ELi16E19rocblas_complex_numIfEPS1_EviiT1_lT2_lli
		.amdhsa_group_segment_fixed_size 0
		.amdhsa_private_segment_fixed_size 0
		.amdhsa_kernarg_size 312
		.amdhsa_user_sgpr_count 6
		.amdhsa_user_sgpr_private_segment_buffer 1
		.amdhsa_user_sgpr_dispatch_ptr 0
		.amdhsa_user_sgpr_queue_ptr 0
		.amdhsa_user_sgpr_kernarg_segment_ptr 1
		.amdhsa_user_sgpr_dispatch_id 0
		.amdhsa_user_sgpr_flat_scratch_init 0
		.amdhsa_user_sgpr_kernarg_preload_length 0
		.amdhsa_user_sgpr_kernarg_preload_offset 0
		.amdhsa_user_sgpr_private_segment_size 0
		.amdhsa_uses_dynamic_stack 0
		.amdhsa_system_sgpr_private_segment_wavefront_offset 0
		.amdhsa_system_sgpr_workgroup_id_x 1
		.amdhsa_system_sgpr_workgroup_id_y 1
		.amdhsa_system_sgpr_workgroup_id_z 1
		.amdhsa_system_sgpr_workgroup_info 0
		.amdhsa_system_vgpr_workitem_id 1
		.amdhsa_next_free_vgpr 8
		.amdhsa_next_free_sgpr 16
		.amdhsa_accum_offset 8
		.amdhsa_reserve_vcc 1
		.amdhsa_reserve_flat_scratch 0
		.amdhsa_float_round_mode_32 0
		.amdhsa_float_round_mode_16_64 0
		.amdhsa_float_denorm_mode_32 3
		.amdhsa_float_denorm_mode_16_64 3
		.amdhsa_dx10_clamp 1
		.amdhsa_ieee_mode 1
		.amdhsa_fp16_overflow 0
		.amdhsa_tg_split 0
		.amdhsa_exception_fp_ieee_invalid_op 0
		.amdhsa_exception_fp_denorm_src 0
		.amdhsa_exception_fp_ieee_div_zero 0
		.amdhsa_exception_fp_ieee_overflow 0
		.amdhsa_exception_fp_ieee_underflow 0
		.amdhsa_exception_fp_ieee_inexact 0
		.amdhsa_exception_int_div_zero 0
	.end_amdhsa_kernel
	.section	.text._ZL44rocblas_set_matrix_zero_if_alpha_zero_kernelILi16ELi16E19rocblas_complex_numIfEPS1_EviiT1_lT2_lli,"axG",@progbits,_ZL44rocblas_set_matrix_zero_if_alpha_zero_kernelILi16ELi16E19rocblas_complex_numIfEPS1_EviiT1_lT2_lli,comdat
.Lfunc_end203:
	.size	_ZL44rocblas_set_matrix_zero_if_alpha_zero_kernelILi16ELi16E19rocblas_complex_numIfEPS1_EviiT1_lT2_lli, .Lfunc_end203-_ZL44rocblas_set_matrix_zero_if_alpha_zero_kernelILi16ELi16E19rocblas_complex_numIfEPS1_EviiT1_lT2_lli
                                        ; -- End function
	.section	.AMDGPU.csdata,"",@progbits
; Kernel info:
; codeLenInByte = 332
; NumSgprs: 20
; NumVgprs: 8
; NumAgprs: 0
; TotalNumVgprs: 8
; ScratchSize: 0
; MemoryBound: 0
; FloatMode: 240
; IeeeMode: 1
; LDSByteSize: 0 bytes/workgroup (compile time only)
; SGPRBlocks: 2
; VGPRBlocks: 0
; NumSGPRsForWavesPerEU: 20
; NumVGPRsForWavesPerEU: 8
; AccumOffset: 8
; Occupancy: 8
; WaveLimiterHint : 0
; COMPUTE_PGM_RSRC2:SCRATCH_EN: 0
; COMPUTE_PGM_RSRC2:USER_SGPR: 6
; COMPUTE_PGM_RSRC2:TRAP_HANDLER: 0
; COMPUTE_PGM_RSRC2:TGID_X_EN: 1
; COMPUTE_PGM_RSRC2:TGID_Y_EN: 1
; COMPUTE_PGM_RSRC2:TGID_Z_EN: 1
; COMPUTE_PGM_RSRC2:TIDIG_COMP_CNT: 1
; COMPUTE_PGM_RSRC3_GFX90A:ACCUM_OFFSET: 1
; COMPUTE_PGM_RSRC3_GFX90A:TG_SPLIT: 0
	.section	.text._ZL44rocblas_set_matrix_zero_if_alpha_zero_kernelILi16ELi16EPK19rocblas_complex_numIdEPKPS1_EviiT1_lT2_lli,"axG",@progbits,_ZL44rocblas_set_matrix_zero_if_alpha_zero_kernelILi16ELi16EPK19rocblas_complex_numIdEPKPS1_EviiT1_lT2_lli,comdat
	.globl	_ZL44rocblas_set_matrix_zero_if_alpha_zero_kernelILi16ELi16EPK19rocblas_complex_numIdEPKPS1_EviiT1_lT2_lli ; -- Begin function _ZL44rocblas_set_matrix_zero_if_alpha_zero_kernelILi16ELi16EPK19rocblas_complex_numIdEPKPS1_EviiT1_lT2_lli
	.p2align	8
	.type	_ZL44rocblas_set_matrix_zero_if_alpha_zero_kernelILi16ELi16EPK19rocblas_complex_numIdEPKPS1_EviiT1_lT2_lli,@function
_ZL44rocblas_set_matrix_zero_if_alpha_zero_kernelILi16ELi16EPK19rocblas_complex_numIdEPKPS1_EviiT1_lT2_lli: ; @_ZL44rocblas_set_matrix_zero_if_alpha_zero_kernelILi16ELi16EPK19rocblas_complex_numIdEPKPS1_EviiT1_lT2_lli
; %bb.0:
	s_load_dwordx8 s[12:19], s[4:5], 0x8
	s_waitcnt lgkmcnt(0)
	s_mul_i32 s0, s8, s15
	s_mul_hi_u32 s1, s8, s14
	s_add_i32 s1, s1, s0
	s_mul_i32 s0, s8, s14
	s_lshl_b64 s[0:1], s[0:1], 4
	s_add_u32 s0, s12, s0
	s_addc_u32 s1, s13, s1
	s_load_dwordx4 s[0:3], s[0:1], 0x0
	s_waitcnt lgkmcnt(0)
	v_cmp_eq_f64_e64 s[0:1], s[0:1], 0
	v_cmp_eq_f64_e64 s[2:3], s[2:3], 0
	s_and_b64 s[0:1], s[0:1], s[2:3]
	s_andn2_b64 vcc, exec, s[0:1]
	s_cbranch_vccnz .LBB204_4
; %bb.1:
	s_load_dwordx2 s[0:1], s[4:5], 0x0
	v_and_b32_e32 v1, 0x3ff, v0
	v_lshl_add_u32 v2, s6, 4, v1
	v_mov_b32_e32 v3, 0
	v_bfe_u32 v0, v0, 10, 10
	s_waitcnt lgkmcnt(0)
	s_ashr_i32 s3, s0, 31
	s_mov_b32 s2, s0
	v_lshl_add_u32 v0, s7, 4, v0
	v_mov_b32_e32 v1, v3
	v_cmp_gt_i64_e32 vcc, s[2:3], v[2:3]
	s_ashr_i32 s3, s1, 31
	s_mov_b32 s2, s1
	v_cmp_gt_i64_e64 s[0:1], s[2:3], v[0:1]
	s_mov_b32 s9, 0
	s_and_b64 s[0:1], vcc, s[0:1]
	s_and_saveexec_b64 s[6:7], s[0:1]
	s_cbranch_execz .LBB204_4
; %bb.2:
	s_load_dwordx2 s[0:1], s[4:5], 0x28
	s_load_dword s6, s[4:5], 0x3c
	s_lshl_b64 s[4:5], s[8:9], 3
	s_add_u32 s4, s16, s4
	s_addc_u32 s5, s17, s5
	s_load_dwordx2 s[4:5], s[4:5], 0x0
	s_waitcnt lgkmcnt(0)
	s_lshl_b32 s8, s6, 4
	v_mad_u64_u32 v[4:5], s[6:7], s18, v0, 0
	v_mov_b32_e32 v6, v5
	v_mad_u64_u32 v[6:7], s[6:7], s19, v0, v[6:7]
	v_mov_b32_e32 v5, v6
	v_lshlrev_b64 v[4:5], 4, v[4:5]
	s_lshl_b64 s[0:1], s[0:1], 4
	v_mov_b32_e32 v6, s1
	v_add_co_u32_e32 v7, vcc, s0, v4
	v_addc_co_u32_e32 v6, vcc, v5, v6, vcc
	v_lshlrev_b64 v[4:5], 4, v[2:3]
	v_add_co_u32_e32 v2, vcc, v7, v4
	s_mul_i32 s0, s19, s8
	s_mul_hi_u32 s1, s18, s8
	v_addc_co_u32_e32 v4, vcc, v6, v5, vcc
	s_add_i32 s1, s1, s0
	s_mul_i32 s0, s18, s8
	v_mov_b32_e32 v5, s5
	v_add_co_u32_e32 v6, vcc, s4, v2
	s_lshl_b64 s[4:5], s[0:1], 4
	v_addc_co_u32_e32 v7, vcc, v5, v4, vcc
	s_mov_b64 s[6:7], 0
	v_mov_b32_e32 v2, v3
	v_mov_b32_e32 v4, v3
	;; [unrolled: 1-line block ×5, first 2 shown]
.LBB204_3:                              ; =>This Inner Loop Header: Depth=1
	v_add_co_u32_e32 v0, vcc, s8, v0
	v_addc_co_u32_e32 v1, vcc, v1, v8, vcc
	flat_store_dwordx4 v[6:7], v[2:5]
	v_add_co_u32_e32 v6, vcc, s4, v6
	v_cmp_le_i64_e64 s[0:1], s[2:3], v[0:1]
	s_or_b64 s[6:7], s[0:1], s[6:7]
	v_addc_co_u32_e32 v7, vcc, v7, v9, vcc
	s_andn2_b64 exec, exec, s[6:7]
	s_cbranch_execnz .LBB204_3
.LBB204_4:
	s_endpgm
	.section	.rodata,"a",@progbits
	.p2align	6, 0x0
	.amdhsa_kernel _ZL44rocblas_set_matrix_zero_if_alpha_zero_kernelILi16ELi16EPK19rocblas_complex_numIdEPKPS1_EviiT1_lT2_lli
		.amdhsa_group_segment_fixed_size 0
		.amdhsa_private_segment_fixed_size 0
		.amdhsa_kernarg_size 312
		.amdhsa_user_sgpr_count 6
		.amdhsa_user_sgpr_private_segment_buffer 1
		.amdhsa_user_sgpr_dispatch_ptr 0
		.amdhsa_user_sgpr_queue_ptr 0
		.amdhsa_user_sgpr_kernarg_segment_ptr 1
		.amdhsa_user_sgpr_dispatch_id 0
		.amdhsa_user_sgpr_flat_scratch_init 0
		.amdhsa_user_sgpr_kernarg_preload_length 0
		.amdhsa_user_sgpr_kernarg_preload_offset 0
		.amdhsa_user_sgpr_private_segment_size 0
		.amdhsa_uses_dynamic_stack 0
		.amdhsa_system_sgpr_private_segment_wavefront_offset 0
		.amdhsa_system_sgpr_workgroup_id_x 1
		.amdhsa_system_sgpr_workgroup_id_y 1
		.amdhsa_system_sgpr_workgroup_id_z 1
		.amdhsa_system_sgpr_workgroup_info 0
		.amdhsa_system_vgpr_workitem_id 1
		.amdhsa_next_free_vgpr 10
		.amdhsa_next_free_sgpr 20
		.amdhsa_accum_offset 12
		.amdhsa_reserve_vcc 1
		.amdhsa_reserve_flat_scratch 0
		.amdhsa_float_round_mode_32 0
		.amdhsa_float_round_mode_16_64 0
		.amdhsa_float_denorm_mode_32 3
		.amdhsa_float_denorm_mode_16_64 3
		.amdhsa_dx10_clamp 1
		.amdhsa_ieee_mode 1
		.amdhsa_fp16_overflow 0
		.amdhsa_tg_split 0
		.amdhsa_exception_fp_ieee_invalid_op 0
		.amdhsa_exception_fp_denorm_src 0
		.amdhsa_exception_fp_ieee_div_zero 0
		.amdhsa_exception_fp_ieee_overflow 0
		.amdhsa_exception_fp_ieee_underflow 0
		.amdhsa_exception_fp_ieee_inexact 0
		.amdhsa_exception_int_div_zero 0
	.end_amdhsa_kernel
	.section	.text._ZL44rocblas_set_matrix_zero_if_alpha_zero_kernelILi16ELi16EPK19rocblas_complex_numIdEPKPS1_EviiT1_lT2_lli,"axG",@progbits,_ZL44rocblas_set_matrix_zero_if_alpha_zero_kernelILi16ELi16EPK19rocblas_complex_numIdEPKPS1_EviiT1_lT2_lli,comdat
.Lfunc_end204:
	.size	_ZL44rocblas_set_matrix_zero_if_alpha_zero_kernelILi16ELi16EPK19rocblas_complex_numIdEPKPS1_EviiT1_lT2_lli, .Lfunc_end204-_ZL44rocblas_set_matrix_zero_if_alpha_zero_kernelILi16ELi16EPK19rocblas_complex_numIdEPKPS1_EviiT1_lT2_lli
                                        ; -- End function
	.section	.AMDGPU.csdata,"",@progbits
; Kernel info:
; codeLenInByte = 388
; NumSgprs: 24
; NumVgprs: 10
; NumAgprs: 0
; TotalNumVgprs: 10
; ScratchSize: 0
; MemoryBound: 0
; FloatMode: 240
; IeeeMode: 1
; LDSByteSize: 0 bytes/workgroup (compile time only)
; SGPRBlocks: 2
; VGPRBlocks: 1
; NumSGPRsForWavesPerEU: 24
; NumVGPRsForWavesPerEU: 10
; AccumOffset: 12
; Occupancy: 8
; WaveLimiterHint : 0
; COMPUTE_PGM_RSRC2:SCRATCH_EN: 0
; COMPUTE_PGM_RSRC2:USER_SGPR: 6
; COMPUTE_PGM_RSRC2:TRAP_HANDLER: 0
; COMPUTE_PGM_RSRC2:TGID_X_EN: 1
; COMPUTE_PGM_RSRC2:TGID_Y_EN: 1
; COMPUTE_PGM_RSRC2:TGID_Z_EN: 1
; COMPUTE_PGM_RSRC2:TIDIG_COMP_CNT: 1
; COMPUTE_PGM_RSRC3_GFX90A:ACCUM_OFFSET: 2
; COMPUTE_PGM_RSRC3_GFX90A:TG_SPLIT: 0
	.section	.text._ZL44rocblas_set_matrix_zero_if_alpha_zero_kernelILi16ELi16E19rocblas_complex_numIdEPKPS1_EviiT1_lT2_lli,"axG",@progbits,_ZL44rocblas_set_matrix_zero_if_alpha_zero_kernelILi16ELi16E19rocblas_complex_numIdEPKPS1_EviiT1_lT2_lli,comdat
	.globl	_ZL44rocblas_set_matrix_zero_if_alpha_zero_kernelILi16ELi16E19rocblas_complex_numIdEPKPS1_EviiT1_lT2_lli ; -- Begin function _ZL44rocblas_set_matrix_zero_if_alpha_zero_kernelILi16ELi16E19rocblas_complex_numIdEPKPS1_EviiT1_lT2_lli
	.p2align	8
	.type	_ZL44rocblas_set_matrix_zero_if_alpha_zero_kernelILi16ELi16E19rocblas_complex_numIdEPKPS1_EviiT1_lT2_lli,@function
_ZL44rocblas_set_matrix_zero_if_alpha_zero_kernelILi16ELi16E19rocblas_complex_numIdEPKPS1_EviiT1_lT2_lli: ; @_ZL44rocblas_set_matrix_zero_if_alpha_zero_kernelILi16ELi16E19rocblas_complex_numIdEPKPS1_EviiT1_lT2_lli
; %bb.0:
	s_load_dwordx4 s[0:3], s[4:5], 0x8
	s_waitcnt lgkmcnt(0)
	v_cmp_eq_f64_e64 s[0:1], s[0:1], 0
	v_cmp_eq_f64_e64 s[2:3], s[2:3], 0
	s_and_b64 s[0:1], s[0:1], s[2:3]
	s_andn2_b64 vcc, exec, s[0:1]
	s_cbranch_vccnz .LBB205_4
; %bb.1:
	s_load_dwordx2 s[0:1], s[4:5], 0x0
	v_and_b32_e32 v1, 0x3ff, v0
	v_lshl_add_u32 v2, s6, 4, v1
	v_mov_b32_e32 v3, 0
	v_bfe_u32 v0, v0, 10, 10
	s_waitcnt lgkmcnt(0)
	s_ashr_i32 s3, s0, 31
	s_mov_b32 s2, s0
	v_lshl_add_u32 v0, s7, 4, v0
	v_mov_b32_e32 v1, v3
	v_cmp_gt_i64_e32 vcc, s[2:3], v[2:3]
	s_ashr_i32 s3, s1, 31
	s_mov_b32 s2, s1
	v_cmp_gt_i64_e64 s[0:1], s[2:3], v[0:1]
	s_mov_b32 s9, 0
	s_and_b64 s[0:1], vcc, s[0:1]
	s_and_saveexec_b64 s[6:7], s[0:1]
	s_cbranch_execz .LBB205_4
; %bb.2:
	s_load_dwordx4 s[12:15], s[4:5], 0x20
	s_load_dword s6, s[4:5], 0x44
	s_load_dwordx2 s[0:1], s[4:5], 0x30
	s_lshl_b64 s[4:5], s[8:9], 3
	v_mov_b32_e32 v8, s9
	s_waitcnt lgkmcnt(0)
	s_add_u32 s4, s12, s4
	s_addc_u32 s5, s13, s5
	s_lshl_b32 s8, s6, 4
	v_mad_u64_u32 v[4:5], s[6:7], s14, v0, 0
	v_mov_b32_e32 v6, v5
	v_mad_u64_u32 v[6:7], s[6:7], s15, v0, v[6:7]
	v_mov_b32_e32 v5, v6
	s_load_dwordx2 s[4:5], s[4:5], 0x0
	v_lshlrev_b64 v[4:5], 4, v[4:5]
	s_lshl_b64 s[0:1], s[0:1], 4
	v_mov_b32_e32 v6, s1
	v_add_co_u32_e32 v7, vcc, s0, v4
	v_addc_co_u32_e32 v6, vcc, v5, v6, vcc
	v_lshlrev_b64 v[4:5], 4, v[2:3]
	v_add_co_u32_e32 v2, vcc, v7, v4
	s_mul_i32 s0, s15, s8
	s_mul_hi_u32 s1, s14, s8
	v_addc_co_u32_e32 v4, vcc, v6, v5, vcc
	s_add_i32 s1, s1, s0
	s_mul_i32 s0, s14, s8
	s_waitcnt lgkmcnt(0)
	v_mov_b32_e32 v5, s5
	v_add_co_u32_e32 v6, vcc, s4, v2
	s_lshl_b64 s[4:5], s[0:1], 4
	v_addc_co_u32_e32 v7, vcc, v5, v4, vcc
	s_mov_b64 s[6:7], 0
	v_mov_b32_e32 v2, v3
	v_mov_b32_e32 v4, v3
	;; [unrolled: 1-line block ×4, first 2 shown]
.LBB205_3:                              ; =>This Inner Loop Header: Depth=1
	v_add_co_u32_e32 v0, vcc, s8, v0
	v_addc_co_u32_e32 v1, vcc, v1, v8, vcc
	flat_store_dwordx4 v[6:7], v[2:5]
	v_add_co_u32_e32 v6, vcc, s4, v6
	v_cmp_le_i64_e64 s[0:1], s[2:3], v[0:1]
	s_or_b64 s[6:7], s[0:1], s[6:7]
	v_addc_co_u32_e32 v7, vcc, v7, v9, vcc
	s_andn2_b64 exec, exec, s[6:7]
	s_cbranch_execnz .LBB205_3
.LBB205_4:
	s_endpgm
	.section	.rodata,"a",@progbits
	.p2align	6, 0x0
	.amdhsa_kernel _ZL44rocblas_set_matrix_zero_if_alpha_zero_kernelILi16ELi16E19rocblas_complex_numIdEPKPS1_EviiT1_lT2_lli
		.amdhsa_group_segment_fixed_size 0
		.amdhsa_private_segment_fixed_size 0
		.amdhsa_kernarg_size 320
		.amdhsa_user_sgpr_count 6
		.amdhsa_user_sgpr_private_segment_buffer 1
		.amdhsa_user_sgpr_dispatch_ptr 0
		.amdhsa_user_sgpr_queue_ptr 0
		.amdhsa_user_sgpr_kernarg_segment_ptr 1
		.amdhsa_user_sgpr_dispatch_id 0
		.amdhsa_user_sgpr_flat_scratch_init 0
		.amdhsa_user_sgpr_kernarg_preload_length 0
		.amdhsa_user_sgpr_kernarg_preload_offset 0
		.amdhsa_user_sgpr_private_segment_size 0
		.amdhsa_uses_dynamic_stack 0
		.amdhsa_system_sgpr_private_segment_wavefront_offset 0
		.amdhsa_system_sgpr_workgroup_id_x 1
		.amdhsa_system_sgpr_workgroup_id_y 1
		.amdhsa_system_sgpr_workgroup_id_z 1
		.amdhsa_system_sgpr_workgroup_info 0
		.amdhsa_system_vgpr_workitem_id 1
		.amdhsa_next_free_vgpr 10
		.amdhsa_next_free_sgpr 16
		.amdhsa_accum_offset 12
		.amdhsa_reserve_vcc 1
		.amdhsa_reserve_flat_scratch 0
		.amdhsa_float_round_mode_32 0
		.amdhsa_float_round_mode_16_64 0
		.amdhsa_float_denorm_mode_32 3
		.amdhsa_float_denorm_mode_16_64 3
		.amdhsa_dx10_clamp 1
		.amdhsa_ieee_mode 1
		.amdhsa_fp16_overflow 0
		.amdhsa_tg_split 0
		.amdhsa_exception_fp_ieee_invalid_op 0
		.amdhsa_exception_fp_denorm_src 0
		.amdhsa_exception_fp_ieee_div_zero 0
		.amdhsa_exception_fp_ieee_overflow 0
		.amdhsa_exception_fp_ieee_underflow 0
		.amdhsa_exception_fp_ieee_inexact 0
		.amdhsa_exception_int_div_zero 0
	.end_amdhsa_kernel
	.section	.text._ZL44rocblas_set_matrix_zero_if_alpha_zero_kernelILi16ELi16E19rocblas_complex_numIdEPKPS1_EviiT1_lT2_lli,"axG",@progbits,_ZL44rocblas_set_matrix_zero_if_alpha_zero_kernelILi16ELi16E19rocblas_complex_numIdEPKPS1_EviiT1_lT2_lli,comdat
.Lfunc_end205:
	.size	_ZL44rocblas_set_matrix_zero_if_alpha_zero_kernelILi16ELi16E19rocblas_complex_numIdEPKPS1_EviiT1_lT2_lli, .Lfunc_end205-_ZL44rocblas_set_matrix_zero_if_alpha_zero_kernelILi16ELi16E19rocblas_complex_numIdEPKPS1_EviiT1_lT2_lli
                                        ; -- End function
	.section	.AMDGPU.csdata,"",@progbits
; Kernel info:
; codeLenInByte = 360
; NumSgprs: 20
; NumVgprs: 10
; NumAgprs: 0
; TotalNumVgprs: 10
; ScratchSize: 0
; MemoryBound: 0
; FloatMode: 240
; IeeeMode: 1
; LDSByteSize: 0 bytes/workgroup (compile time only)
; SGPRBlocks: 2
; VGPRBlocks: 1
; NumSGPRsForWavesPerEU: 20
; NumVGPRsForWavesPerEU: 10
; AccumOffset: 12
; Occupancy: 8
; WaveLimiterHint : 0
; COMPUTE_PGM_RSRC2:SCRATCH_EN: 0
; COMPUTE_PGM_RSRC2:USER_SGPR: 6
; COMPUTE_PGM_RSRC2:TRAP_HANDLER: 0
; COMPUTE_PGM_RSRC2:TGID_X_EN: 1
; COMPUTE_PGM_RSRC2:TGID_Y_EN: 1
; COMPUTE_PGM_RSRC2:TGID_Z_EN: 1
; COMPUTE_PGM_RSRC2:TIDIG_COMP_CNT: 1
; COMPUTE_PGM_RSRC3_GFX90A:ACCUM_OFFSET: 2
; COMPUTE_PGM_RSRC3_GFX90A:TG_SPLIT: 0
	.section	.text._ZL44rocblas_set_matrix_zero_if_alpha_zero_kernelILi16ELi16EPK19rocblas_complex_numIdEPS1_EviiT1_lT2_lli,"axG",@progbits,_ZL44rocblas_set_matrix_zero_if_alpha_zero_kernelILi16ELi16EPK19rocblas_complex_numIdEPS1_EviiT1_lT2_lli,comdat
	.globl	_ZL44rocblas_set_matrix_zero_if_alpha_zero_kernelILi16ELi16EPK19rocblas_complex_numIdEPS1_EviiT1_lT2_lli ; -- Begin function _ZL44rocblas_set_matrix_zero_if_alpha_zero_kernelILi16ELi16EPK19rocblas_complex_numIdEPS1_EviiT1_lT2_lli
	.p2align	8
	.type	_ZL44rocblas_set_matrix_zero_if_alpha_zero_kernelILi16ELi16EPK19rocblas_complex_numIdEPS1_EviiT1_lT2_lli,@function
_ZL44rocblas_set_matrix_zero_if_alpha_zero_kernelILi16ELi16EPK19rocblas_complex_numIdEPS1_EviiT1_lT2_lli: ; @_ZL44rocblas_set_matrix_zero_if_alpha_zero_kernelILi16ELi16EPK19rocblas_complex_numIdEPS1_EviiT1_lT2_lli
; %bb.0:
	s_load_dwordx8 s[12:19], s[4:5], 0x8
	s_waitcnt lgkmcnt(0)
	s_mul_i32 s0, s8, s15
	s_mul_hi_u32 s1, s8, s14
	s_add_i32 s1, s1, s0
	s_mul_i32 s0, s8, s14
	s_lshl_b64 s[0:1], s[0:1], 4
	s_add_u32 s0, s12, s0
	s_addc_u32 s1, s13, s1
	s_load_dwordx4 s[0:3], s[0:1], 0x0
	s_waitcnt lgkmcnt(0)
	v_cmp_eq_f64_e64 s[0:1], s[0:1], 0
	v_cmp_eq_f64_e64 s[2:3], s[2:3], 0
	s_and_b64 s[0:1], s[0:1], s[2:3]
	s_andn2_b64 vcc, exec, s[0:1]
	s_cbranch_vccnz .LBB206_4
; %bb.1:
	s_load_dwordx2 s[0:1], s[4:5], 0x0
	v_and_b32_e32 v1, 0x3ff, v0
	v_lshl_add_u32 v2, s6, 4, v1
	v_mov_b32_e32 v3, 0
	v_bfe_u32 v0, v0, 10, 10
	s_waitcnt lgkmcnt(0)
	s_ashr_i32 s3, s0, 31
	s_mov_b32 s2, s0
	v_lshl_add_u32 v0, s7, 4, v0
	v_mov_b32_e32 v1, v3
	v_cmp_gt_i64_e32 vcc, s[2:3], v[2:3]
	s_ashr_i32 s3, s1, 31
	s_mov_b32 s2, s1
	v_cmp_gt_i64_e64 s[0:1], s[2:3], v[0:1]
	s_mov_b32 s9, 0
	s_and_b64 s[0:1], vcc, s[0:1]
	s_and_saveexec_b64 s[6:7], s[0:1]
	s_cbranch_execz .LBB206_4
; %bb.2:
	s_load_dword s6, s[4:5], 0x3c
	s_load_dwordx2 s[0:1], s[4:5], 0x28
	v_mov_b32_e32 v8, s9
	s_waitcnt lgkmcnt(0)
	s_lshl_b32 s10, s6, 4
	s_mul_i32 s1, s1, s8
	s_mul_hi_u32 s4, s0, s8
	s_add_i32 s1, s4, s1
	v_mad_u64_u32 v[4:5], s[4:5], s18, v0, 0
	v_mov_b32_e32 v6, v5
	v_mad_u64_u32 v[6:7], s[4:5], s19, v0, v[6:7]
	s_mul_i32 s0, s0, s8
	v_mov_b32_e32 v5, v6
	s_lshl_b64 s[0:1], s[0:1], 4
	v_lshlrev_b64 v[4:5], 4, v[4:5]
	v_mov_b32_e32 v6, s1
	v_add_co_u32_e32 v7, vcc, s0, v4
	v_addc_co_u32_e32 v6, vcc, v6, v5, vcc
	v_lshlrev_b64 v[4:5], 4, v[2:3]
	v_add_co_u32_e32 v2, vcc, v7, v4
	v_addc_co_u32_e32 v4, vcc, v6, v5, vcc
	v_mov_b32_e32 v5, s17
	v_add_co_u32_e32 v2, vcc, s16, v2
	s_mul_i32 s0, s19, s10
	s_mul_hi_u32 s1, s18, s10
	v_addc_co_u32_e32 v4, vcc, v4, v5, vcc
	s_add_i32 s1, s1, s0
	s_mul_i32 s0, s18, s10
	v_add_co_u32_e32 v6, vcc, 8, v2
	s_lshl_b64 s[4:5], s[0:1], 4
	v_addc_co_u32_e32 v7, vcc, 0, v4, vcc
	s_mov_b64 s[6:7], 0
	v_mov_b32_e32 v2, v3
	v_mov_b32_e32 v4, v3
	;; [unrolled: 1-line block ×4, first 2 shown]
.LBB206_3:                              ; =>This Inner Loop Header: Depth=1
	v_add_co_u32_e32 v0, vcc, s10, v0
	v_addc_co_u32_e32 v1, vcc, v1, v8, vcc
	global_store_dwordx4 v[6:7], v[2:5], off offset:-8
	v_add_co_u32_e32 v6, vcc, s4, v6
	v_cmp_le_i64_e64 s[0:1], s[2:3], v[0:1]
	s_or_b64 s[6:7], s[0:1], s[6:7]
	v_addc_co_u32_e32 v7, vcc, v7, v9, vcc
	s_andn2_b64 exec, exec, s[6:7]
	s_cbranch_execnz .LBB206_3
.LBB206_4:
	s_endpgm
	.section	.rodata,"a",@progbits
	.p2align	6, 0x0
	.amdhsa_kernel _ZL44rocblas_set_matrix_zero_if_alpha_zero_kernelILi16ELi16EPK19rocblas_complex_numIdEPS1_EviiT1_lT2_lli
		.amdhsa_group_segment_fixed_size 0
		.amdhsa_private_segment_fixed_size 0
		.amdhsa_kernarg_size 312
		.amdhsa_user_sgpr_count 6
		.amdhsa_user_sgpr_private_segment_buffer 1
		.amdhsa_user_sgpr_dispatch_ptr 0
		.amdhsa_user_sgpr_queue_ptr 0
		.amdhsa_user_sgpr_kernarg_segment_ptr 1
		.amdhsa_user_sgpr_dispatch_id 0
		.amdhsa_user_sgpr_flat_scratch_init 0
		.amdhsa_user_sgpr_kernarg_preload_length 0
		.amdhsa_user_sgpr_kernarg_preload_offset 0
		.amdhsa_user_sgpr_private_segment_size 0
		.amdhsa_uses_dynamic_stack 0
		.amdhsa_system_sgpr_private_segment_wavefront_offset 0
		.amdhsa_system_sgpr_workgroup_id_x 1
		.amdhsa_system_sgpr_workgroup_id_y 1
		.amdhsa_system_sgpr_workgroup_id_z 1
		.amdhsa_system_sgpr_workgroup_info 0
		.amdhsa_system_vgpr_workitem_id 1
		.amdhsa_next_free_vgpr 10
		.amdhsa_next_free_sgpr 20
		.amdhsa_accum_offset 12
		.amdhsa_reserve_vcc 1
		.amdhsa_reserve_flat_scratch 0
		.amdhsa_float_round_mode_32 0
		.amdhsa_float_round_mode_16_64 0
		.amdhsa_float_denorm_mode_32 3
		.amdhsa_float_denorm_mode_16_64 3
		.amdhsa_dx10_clamp 1
		.amdhsa_ieee_mode 1
		.amdhsa_fp16_overflow 0
		.amdhsa_tg_split 0
		.amdhsa_exception_fp_ieee_invalid_op 0
		.amdhsa_exception_fp_denorm_src 0
		.amdhsa_exception_fp_ieee_div_zero 0
		.amdhsa_exception_fp_ieee_overflow 0
		.amdhsa_exception_fp_ieee_underflow 0
		.amdhsa_exception_fp_ieee_inexact 0
		.amdhsa_exception_int_div_zero 0
	.end_amdhsa_kernel
	.section	.text._ZL44rocblas_set_matrix_zero_if_alpha_zero_kernelILi16ELi16EPK19rocblas_complex_numIdEPS1_EviiT1_lT2_lli,"axG",@progbits,_ZL44rocblas_set_matrix_zero_if_alpha_zero_kernelILi16ELi16EPK19rocblas_complex_numIdEPS1_EviiT1_lT2_lli,comdat
.Lfunc_end206:
	.size	_ZL44rocblas_set_matrix_zero_if_alpha_zero_kernelILi16ELi16EPK19rocblas_complex_numIdEPS1_EviiT1_lT2_lli, .Lfunc_end206-_ZL44rocblas_set_matrix_zero_if_alpha_zero_kernelILi16ELi16EPK19rocblas_complex_numIdEPS1_EviiT1_lT2_lli
                                        ; -- End function
	.section	.AMDGPU.csdata,"",@progbits
; Kernel info:
; codeLenInByte = 392
; NumSgprs: 24
; NumVgprs: 10
; NumAgprs: 0
; TotalNumVgprs: 10
; ScratchSize: 0
; MemoryBound: 0
; FloatMode: 240
; IeeeMode: 1
; LDSByteSize: 0 bytes/workgroup (compile time only)
; SGPRBlocks: 2
; VGPRBlocks: 1
; NumSGPRsForWavesPerEU: 24
; NumVGPRsForWavesPerEU: 10
; AccumOffset: 12
; Occupancy: 8
; WaveLimiterHint : 0
; COMPUTE_PGM_RSRC2:SCRATCH_EN: 0
; COMPUTE_PGM_RSRC2:USER_SGPR: 6
; COMPUTE_PGM_RSRC2:TRAP_HANDLER: 0
; COMPUTE_PGM_RSRC2:TGID_X_EN: 1
; COMPUTE_PGM_RSRC2:TGID_Y_EN: 1
; COMPUTE_PGM_RSRC2:TGID_Z_EN: 1
; COMPUTE_PGM_RSRC2:TIDIG_COMP_CNT: 1
; COMPUTE_PGM_RSRC3_GFX90A:ACCUM_OFFSET: 2
; COMPUTE_PGM_RSRC3_GFX90A:TG_SPLIT: 0
	.section	.text._ZL44rocblas_set_matrix_zero_if_alpha_zero_kernelILi16ELi16E19rocblas_complex_numIdEPS1_EviiT1_lT2_lli,"axG",@progbits,_ZL44rocblas_set_matrix_zero_if_alpha_zero_kernelILi16ELi16E19rocblas_complex_numIdEPS1_EviiT1_lT2_lli,comdat
	.globl	_ZL44rocblas_set_matrix_zero_if_alpha_zero_kernelILi16ELi16E19rocblas_complex_numIdEPS1_EviiT1_lT2_lli ; -- Begin function _ZL44rocblas_set_matrix_zero_if_alpha_zero_kernelILi16ELi16E19rocblas_complex_numIdEPS1_EviiT1_lT2_lli
	.p2align	8
	.type	_ZL44rocblas_set_matrix_zero_if_alpha_zero_kernelILi16ELi16E19rocblas_complex_numIdEPS1_EviiT1_lT2_lli,@function
_ZL44rocblas_set_matrix_zero_if_alpha_zero_kernelILi16ELi16E19rocblas_complex_numIdEPS1_EviiT1_lT2_lli: ; @_ZL44rocblas_set_matrix_zero_if_alpha_zero_kernelILi16ELi16E19rocblas_complex_numIdEPS1_EviiT1_lT2_lli
; %bb.0:
	s_load_dwordx4 s[0:3], s[4:5], 0x8
	s_waitcnt lgkmcnt(0)
	v_cmp_eq_f64_e64 s[0:1], s[0:1], 0
	v_cmp_eq_f64_e64 s[2:3], s[2:3], 0
	s_and_b64 s[0:1], s[0:1], s[2:3]
	s_andn2_b64 vcc, exec, s[0:1]
	s_cbranch_vccnz .LBB207_4
; %bb.1:
	s_load_dwordx2 s[0:1], s[4:5], 0x0
	v_and_b32_e32 v1, 0x3ff, v0
	v_lshl_add_u32 v2, s6, 4, v1
	v_mov_b32_e32 v3, 0
	v_bfe_u32 v0, v0, 10, 10
	s_waitcnt lgkmcnt(0)
	s_ashr_i32 s3, s0, 31
	s_mov_b32 s2, s0
	v_lshl_add_u32 v0, s7, 4, v0
	v_mov_b32_e32 v1, v3
	v_cmp_gt_i64_e32 vcc, s[2:3], v[2:3]
	s_ashr_i32 s3, s1, 31
	s_mov_b32 s2, s1
	v_cmp_gt_i64_e64 s[0:1], s[2:3], v[0:1]
	s_mov_b32 s9, 0
	s_and_b64 s[0:1], vcc, s[0:1]
	s_and_saveexec_b64 s[6:7], s[0:1]
	s_cbranch_execz .LBB207_4
; %bb.2:
	s_load_dword s6, s[4:5], 0x44
	s_load_dwordx2 s[0:1], s[4:5], 0x30
	s_load_dwordx4 s[12:15], s[4:5], 0x20
	v_mov_b32_e32 v8, s9
	s_waitcnt lgkmcnt(0)
	s_lshl_b32 s10, s6, 4
	s_mul_i32 s1, s1, s8
	s_mul_hi_u32 s4, s0, s8
	s_add_i32 s1, s4, s1
	v_mad_u64_u32 v[4:5], s[4:5], s14, v0, 0
	v_mov_b32_e32 v6, v5
	v_mad_u64_u32 v[6:7], s[4:5], s15, v0, v[6:7]
	s_mul_i32 s0, s0, s8
	v_mov_b32_e32 v5, v6
	s_lshl_b64 s[0:1], s[0:1], 4
	v_lshlrev_b64 v[4:5], 4, v[4:5]
	v_mov_b32_e32 v6, s1
	v_add_co_u32_e32 v7, vcc, s0, v4
	v_addc_co_u32_e32 v6, vcc, v6, v5, vcc
	v_lshlrev_b64 v[4:5], 4, v[2:3]
	v_add_co_u32_e32 v2, vcc, v7, v4
	v_addc_co_u32_e32 v4, vcc, v6, v5, vcc
	v_mov_b32_e32 v5, s13
	v_add_co_u32_e32 v2, vcc, s12, v2
	s_mul_i32 s0, s15, s10
	s_mul_hi_u32 s1, s14, s10
	v_addc_co_u32_e32 v4, vcc, v4, v5, vcc
	s_add_i32 s1, s1, s0
	s_mul_i32 s0, s14, s10
	v_add_co_u32_e32 v6, vcc, 8, v2
	s_lshl_b64 s[4:5], s[0:1], 4
	v_addc_co_u32_e32 v7, vcc, 0, v4, vcc
	s_mov_b64 s[6:7], 0
	v_mov_b32_e32 v2, v3
	v_mov_b32_e32 v4, v3
	;; [unrolled: 1-line block ×4, first 2 shown]
.LBB207_3:                              ; =>This Inner Loop Header: Depth=1
	v_add_co_u32_e32 v0, vcc, s10, v0
	v_addc_co_u32_e32 v1, vcc, v1, v8, vcc
	global_store_dwordx4 v[6:7], v[2:5], off offset:-8
	v_add_co_u32_e32 v6, vcc, s4, v6
	v_cmp_le_i64_e64 s[0:1], s[2:3], v[0:1]
	s_or_b64 s[6:7], s[0:1], s[6:7]
	v_addc_co_u32_e32 v7, vcc, v7, v9, vcc
	s_andn2_b64 exec, exec, s[6:7]
	s_cbranch_execnz .LBB207_3
.LBB207_4:
	s_endpgm
	.section	.rodata,"a",@progbits
	.p2align	6, 0x0
	.amdhsa_kernel _ZL44rocblas_set_matrix_zero_if_alpha_zero_kernelILi16ELi16E19rocblas_complex_numIdEPS1_EviiT1_lT2_lli
		.amdhsa_group_segment_fixed_size 0
		.amdhsa_private_segment_fixed_size 0
		.amdhsa_kernarg_size 320
		.amdhsa_user_sgpr_count 6
		.amdhsa_user_sgpr_private_segment_buffer 1
		.amdhsa_user_sgpr_dispatch_ptr 0
		.amdhsa_user_sgpr_queue_ptr 0
		.amdhsa_user_sgpr_kernarg_segment_ptr 1
		.amdhsa_user_sgpr_dispatch_id 0
		.amdhsa_user_sgpr_flat_scratch_init 0
		.amdhsa_user_sgpr_kernarg_preload_length 0
		.amdhsa_user_sgpr_kernarg_preload_offset 0
		.amdhsa_user_sgpr_private_segment_size 0
		.amdhsa_uses_dynamic_stack 0
		.amdhsa_system_sgpr_private_segment_wavefront_offset 0
		.amdhsa_system_sgpr_workgroup_id_x 1
		.amdhsa_system_sgpr_workgroup_id_y 1
		.amdhsa_system_sgpr_workgroup_id_z 1
		.amdhsa_system_sgpr_workgroup_info 0
		.amdhsa_system_vgpr_workitem_id 1
		.amdhsa_next_free_vgpr 10
		.amdhsa_next_free_sgpr 16
		.amdhsa_accum_offset 12
		.amdhsa_reserve_vcc 1
		.amdhsa_reserve_flat_scratch 0
		.amdhsa_float_round_mode_32 0
		.amdhsa_float_round_mode_16_64 0
		.amdhsa_float_denorm_mode_32 3
		.amdhsa_float_denorm_mode_16_64 3
		.amdhsa_dx10_clamp 1
		.amdhsa_ieee_mode 1
		.amdhsa_fp16_overflow 0
		.amdhsa_tg_split 0
		.amdhsa_exception_fp_ieee_invalid_op 0
		.amdhsa_exception_fp_denorm_src 0
		.amdhsa_exception_fp_ieee_div_zero 0
		.amdhsa_exception_fp_ieee_overflow 0
		.amdhsa_exception_fp_ieee_underflow 0
		.amdhsa_exception_fp_ieee_inexact 0
		.amdhsa_exception_int_div_zero 0
	.end_amdhsa_kernel
	.section	.text._ZL44rocblas_set_matrix_zero_if_alpha_zero_kernelILi16ELi16E19rocblas_complex_numIdEPS1_EviiT1_lT2_lli,"axG",@progbits,_ZL44rocblas_set_matrix_zero_if_alpha_zero_kernelILi16ELi16E19rocblas_complex_numIdEPS1_EviiT1_lT2_lli,comdat
.Lfunc_end207:
	.size	_ZL44rocblas_set_matrix_zero_if_alpha_zero_kernelILi16ELi16E19rocblas_complex_numIdEPS1_EviiT1_lT2_lli, .Lfunc_end207-_ZL44rocblas_set_matrix_zero_if_alpha_zero_kernelILi16ELi16E19rocblas_complex_numIdEPS1_EviiT1_lT2_lli
                                        ; -- End function
	.section	.AMDGPU.csdata,"",@progbits
; Kernel info:
; codeLenInByte = 360
; NumSgprs: 20
; NumVgprs: 10
; NumAgprs: 0
; TotalNumVgprs: 10
; ScratchSize: 0
; MemoryBound: 0
; FloatMode: 240
; IeeeMode: 1
; LDSByteSize: 0 bytes/workgroup (compile time only)
; SGPRBlocks: 2
; VGPRBlocks: 1
; NumSGPRsForWavesPerEU: 20
; NumVGPRsForWavesPerEU: 10
; AccumOffset: 12
; Occupancy: 8
; WaveLimiterHint : 0
; COMPUTE_PGM_RSRC2:SCRATCH_EN: 0
; COMPUTE_PGM_RSRC2:USER_SGPR: 6
; COMPUTE_PGM_RSRC2:TRAP_HANDLER: 0
; COMPUTE_PGM_RSRC2:TGID_X_EN: 1
; COMPUTE_PGM_RSRC2:TGID_Y_EN: 1
; COMPUTE_PGM_RSRC2:TGID_Z_EN: 1
; COMPUTE_PGM_RSRC2:TIDIG_COMP_CNT: 1
; COMPUTE_PGM_RSRC3_GFX90A:ACCUM_OFFSET: 2
; COMPUTE_PGM_RSRC3_GFX90A:TG_SPLIT: 0
	.text
	.p2alignl 6, 3212836864
	.fill 256, 4, 3212836864
	.type	__hip_cuid_ae68d88d4a4ac1e5,@object ; @__hip_cuid_ae68d88d4a4ac1e5
	.section	.bss,"aw",@nobits
	.globl	__hip_cuid_ae68d88d4a4ac1e5
__hip_cuid_ae68d88d4a4ac1e5:
	.byte	0                               ; 0x0
	.size	__hip_cuid_ae68d88d4a4ac1e5, 1

	.ident	"AMD clang version 19.0.0git (https://github.com/RadeonOpenCompute/llvm-project roc-6.4.0 25133 c7fe45cf4b819c5991fe208aaa96edf142730f1d)"
	.section	".note.GNU-stack","",@progbits
	.addrsig
	.addrsig_sym __hip_cuid_ae68d88d4a4ac1e5
	.amdgpu_metadata
---
amdhsa.kernels:
  - .agpr_count:     0
    .args:
      - .offset:         0
        .size:           4
        .value_kind:     by_value
      - .offset:         4
        .size:           4
        .value_kind:     by_value
      - .offset:         8
        .size:           4
        .value_kind:     by_value
      - .address_space:  global
        .offset:         16
        .size:           8
        .value_kind:     global_buffer
      - .offset:         24
        .size:           8
        .value_kind:     by_value
      - .address_space:  global
        .offset:         32
        .size:           8
        .value_kind:     global_buffer
      - .offset:         40
        .size:           8
        .value_kind:     by_value
      - .offset:         48
        .size:           8
        .value_kind:     by_value
      - .offset:         56
        .size:           8
        .value_kind:     by_value
      - .address_space:  global
        .offset:         64
        .size:           8
        .value_kind:     global_buffer
      - .offset:         72
        .size:           8
        .value_kind:     by_value
      - .offset:         80
        .size:           8
        .value_kind:     by_value
      - .offset:         88
        .size:           8
        .value_kind:     by_value
      - .address_space:  global
        .offset:         96
        .size:           8
        .value_kind:     global_buffer
      - .offset:         104
        .size:           8
        .value_kind:     by_value
      - .offset:         112
        .size:           8
        .value_kind:     by_value
      - .offset:         120
        .size:           8
        .value_kind:     by_value
      - .offset:         128
        .size:           4
        .value_kind:     by_value
      - .offset:         136
        .size:           4
        .value_kind:     hidden_block_count_x
      - .offset:         140
        .size:           4
        .value_kind:     hidden_block_count_y
      - .offset:         144
        .size:           4
        .value_kind:     hidden_block_count_z
      - .offset:         148
        .size:           2
        .value_kind:     hidden_group_size_x
      - .offset:         150
        .size:           2
        .value_kind:     hidden_group_size_y
      - .offset:         152
        .size:           2
        .value_kind:     hidden_group_size_z
      - .offset:         154
        .size:           2
        .value_kind:     hidden_remainder_x
      - .offset:         156
        .size:           2
        .value_kind:     hidden_remainder_y
      - .offset:         158
        .size:           2
        .value_kind:     hidden_remainder_z
      - .offset:         176
        .size:           8
        .value_kind:     hidden_global_offset_x
      - .offset:         184
        .size:           8
        .value_kind:     hidden_global_offset_y
      - .offset:         192
        .size:           8
        .value_kind:     hidden_global_offset_z
      - .offset:         200
        .size:           2
        .value_kind:     hidden_grid_dims
    .group_segment_fixed_size: 8192
    .kernarg_segment_align: 8
    .kernarg_segment_size: 392
    .language:       OpenCL C
    .language_version:
      - 2
      - 0
    .max_flat_workgroup_size: 1024
    .name:           _ZL30rocblas_trmm_outofplace_kernelIfLi32ELi2ELb1ELb0ELb0ELb0EPKfS0_fEv17rocblas_diagonal_iiT6_lPT7_lllS5_lllPT8_llli
    .private_segment_fixed_size: 0
    .sgpr_count:     58
    .sgpr_spill_count: 0
    .symbol:         _ZL30rocblas_trmm_outofplace_kernelIfLi32ELi2ELb1ELb0ELb0ELb0EPKfS0_fEv17rocblas_diagonal_iiT6_lPT7_lllS5_lllPT8_llli.kd
    .uniform_work_group_size: 1
    .uses_dynamic_stack: false
    .vgpr_count:     72
    .vgpr_spill_count: 0
    .wavefront_size: 64
  - .agpr_count:     0
    .args:
      - .offset:         0
        .size:           4
        .value_kind:     by_value
      - .offset:         4
        .size:           4
        .value_kind:     by_value
      - .offset:         8
        .size:           4
        .value_kind:     by_value
      - .offset:         12
        .size:           4
        .value_kind:     by_value
      - .offset:         16
        .size:           8
        .value_kind:     by_value
      - .address_space:  global
        .offset:         24
        .size:           8
        .value_kind:     global_buffer
      - .offset:         32
        .size:           8
        .value_kind:     by_value
      - .offset:         40
        .size:           8
        .value_kind:     by_value
      - .offset:         48
        .size:           8
        .value_kind:     by_value
      - .address_space:  global
        .offset:         56
        .size:           8
        .value_kind:     global_buffer
      - .offset:         64
        .size:           8
        .value_kind:     by_value
      - .offset:         72
        .size:           8
        .value_kind:     by_value
      - .offset:         80
        .size:           8
        .value_kind:     by_value
      - .address_space:  global
        .offset:         88
        .size:           8
        .value_kind:     global_buffer
      - .offset:         96
        .size:           8
        .value_kind:     by_value
      - .offset:         104
        .size:           8
        .value_kind:     by_value
      - .offset:         112
        .size:           8
        .value_kind:     by_value
      - .offset:         120
        .size:           4
        .value_kind:     by_value
      - .offset:         128
        .size:           4
        .value_kind:     hidden_block_count_x
      - .offset:         132
        .size:           4
        .value_kind:     hidden_block_count_y
      - .offset:         136
        .size:           4
        .value_kind:     hidden_block_count_z
      - .offset:         140
        .size:           2
        .value_kind:     hidden_group_size_x
      - .offset:         142
        .size:           2
        .value_kind:     hidden_group_size_y
      - .offset:         144
        .size:           2
        .value_kind:     hidden_group_size_z
      - .offset:         146
        .size:           2
        .value_kind:     hidden_remainder_x
      - .offset:         148
        .size:           2
        .value_kind:     hidden_remainder_y
      - .offset:         150
        .size:           2
        .value_kind:     hidden_remainder_z
      - .offset:         168
        .size:           8
        .value_kind:     hidden_global_offset_x
      - .offset:         176
        .size:           8
        .value_kind:     hidden_global_offset_y
      - .offset:         184
        .size:           8
        .value_kind:     hidden_global_offset_z
      - .offset:         192
        .size:           2
        .value_kind:     hidden_grid_dims
    .group_segment_fixed_size: 8192
    .kernarg_segment_align: 8
    .kernarg_segment_size: 384
    .language:       OpenCL C
    .language_version:
      - 2
      - 0
    .max_flat_workgroup_size: 1024
    .name:           _ZL30rocblas_trmm_outofplace_kernelIfLi32ELi2ELb1ELb0ELb0ELb0EfKffEv17rocblas_diagonal_iiT6_lPT7_lllS4_lllPT8_llli
    .private_segment_fixed_size: 0
    .sgpr_count:     59
    .sgpr_spill_count: 0
    .symbol:         _ZL30rocblas_trmm_outofplace_kernelIfLi32ELi2ELb1ELb0ELb0ELb0EfKffEv17rocblas_diagonal_iiT6_lPT7_lllS4_lllPT8_llli.kd
    .uniform_work_group_size: 1
    .uses_dynamic_stack: false
    .vgpr_count:     72
    .vgpr_spill_count: 0
    .wavefront_size: 64
  - .agpr_count:     0
    .args:
      - .offset:         0
        .size:           4
        .value_kind:     by_value
      - .offset:         4
        .size:           4
        .value_kind:     by_value
      - .offset:         8
        .size:           4
        .value_kind:     by_value
      - .address_space:  global
        .offset:         16
        .size:           8
        .value_kind:     global_buffer
      - .offset:         24
        .size:           8
        .value_kind:     by_value
      - .address_space:  global
        .offset:         32
        .size:           8
        .value_kind:     global_buffer
      - .offset:         40
        .size:           8
        .value_kind:     by_value
      - .offset:         48
        .size:           8
        .value_kind:     by_value
      - .offset:         56
        .size:           8
        .value_kind:     by_value
      - .address_space:  global
        .offset:         64
        .size:           8
        .value_kind:     global_buffer
      - .offset:         72
        .size:           8
        .value_kind:     by_value
      - .offset:         80
        .size:           8
        .value_kind:     by_value
      - .offset:         88
        .size:           8
        .value_kind:     by_value
      - .address_space:  global
        .offset:         96
        .size:           8
        .value_kind:     global_buffer
      - .offset:         104
        .size:           8
        .value_kind:     by_value
      - .offset:         112
        .size:           8
        .value_kind:     by_value
      - .offset:         120
        .size:           8
        .value_kind:     by_value
      - .offset:         128
        .size:           4
        .value_kind:     by_value
      - .offset:         136
        .size:           4
        .value_kind:     hidden_block_count_x
      - .offset:         140
        .size:           4
        .value_kind:     hidden_block_count_y
      - .offset:         144
        .size:           4
        .value_kind:     hidden_block_count_z
      - .offset:         148
        .size:           2
        .value_kind:     hidden_group_size_x
      - .offset:         150
        .size:           2
        .value_kind:     hidden_group_size_y
      - .offset:         152
        .size:           2
        .value_kind:     hidden_group_size_z
      - .offset:         154
        .size:           2
        .value_kind:     hidden_remainder_x
      - .offset:         156
        .size:           2
        .value_kind:     hidden_remainder_y
      - .offset:         158
        .size:           2
        .value_kind:     hidden_remainder_z
      - .offset:         176
        .size:           8
        .value_kind:     hidden_global_offset_x
      - .offset:         184
        .size:           8
        .value_kind:     hidden_global_offset_y
      - .offset:         192
        .size:           8
        .value_kind:     hidden_global_offset_z
      - .offset:         200
        .size:           2
        .value_kind:     hidden_grid_dims
    .group_segment_fixed_size: 8192
    .kernarg_segment_align: 8
    .kernarg_segment_size: 392
    .language:       OpenCL C
    .language_version:
      - 2
      - 0
    .max_flat_workgroup_size: 1024
    .name:           _ZL30rocblas_trmm_outofplace_kernelIfLi32ELi2ELb1ELb1ELb0ELb0EPKfS0_fEv17rocblas_diagonal_iiT6_lPT7_lllS5_lllPT8_llli
    .private_segment_fixed_size: 0
    .sgpr_count:     60
    .sgpr_spill_count: 0
    .symbol:         _ZL30rocblas_trmm_outofplace_kernelIfLi32ELi2ELb1ELb1ELb0ELb0EPKfS0_fEv17rocblas_diagonal_iiT6_lPT7_lllS5_lllPT8_llli.kd
    .uniform_work_group_size: 1
    .uses_dynamic_stack: false
    .vgpr_count:     64
    .vgpr_spill_count: 0
    .wavefront_size: 64
  - .agpr_count:     0
    .args:
      - .offset:         0
        .size:           4
        .value_kind:     by_value
      - .offset:         4
        .size:           4
        .value_kind:     by_value
      - .offset:         8
        .size:           4
        .value_kind:     by_value
      - .offset:         12
        .size:           4
        .value_kind:     by_value
      - .offset:         16
        .size:           8
        .value_kind:     by_value
      - .address_space:  global
        .offset:         24
        .size:           8
        .value_kind:     global_buffer
      - .offset:         32
        .size:           8
        .value_kind:     by_value
      - .offset:         40
        .size:           8
        .value_kind:     by_value
      - .offset:         48
        .size:           8
        .value_kind:     by_value
      - .address_space:  global
        .offset:         56
        .size:           8
        .value_kind:     global_buffer
      - .offset:         64
        .size:           8
        .value_kind:     by_value
      - .offset:         72
        .size:           8
        .value_kind:     by_value
      - .offset:         80
        .size:           8
        .value_kind:     by_value
      - .address_space:  global
        .offset:         88
        .size:           8
        .value_kind:     global_buffer
      - .offset:         96
        .size:           8
        .value_kind:     by_value
      - .offset:         104
        .size:           8
        .value_kind:     by_value
      - .offset:         112
        .size:           8
        .value_kind:     by_value
      - .offset:         120
        .size:           4
        .value_kind:     by_value
      - .offset:         128
        .size:           4
        .value_kind:     hidden_block_count_x
      - .offset:         132
        .size:           4
        .value_kind:     hidden_block_count_y
      - .offset:         136
        .size:           4
        .value_kind:     hidden_block_count_z
      - .offset:         140
        .size:           2
        .value_kind:     hidden_group_size_x
      - .offset:         142
        .size:           2
        .value_kind:     hidden_group_size_y
      - .offset:         144
        .size:           2
        .value_kind:     hidden_group_size_z
      - .offset:         146
        .size:           2
        .value_kind:     hidden_remainder_x
      - .offset:         148
        .size:           2
        .value_kind:     hidden_remainder_y
      - .offset:         150
        .size:           2
        .value_kind:     hidden_remainder_z
      - .offset:         168
        .size:           8
        .value_kind:     hidden_global_offset_x
      - .offset:         176
        .size:           8
        .value_kind:     hidden_global_offset_y
      - .offset:         184
        .size:           8
        .value_kind:     hidden_global_offset_z
      - .offset:         192
        .size:           2
        .value_kind:     hidden_grid_dims
    .group_segment_fixed_size: 8192
    .kernarg_segment_align: 8
    .kernarg_segment_size: 384
    .language:       OpenCL C
    .language_version:
      - 2
      - 0
    .max_flat_workgroup_size: 1024
    .name:           _ZL30rocblas_trmm_outofplace_kernelIfLi32ELi2ELb1ELb1ELb0ELb0EfKffEv17rocblas_diagonal_iiT6_lPT7_lllS4_lllPT8_llli
    .private_segment_fixed_size: 0
    .sgpr_count:     61
    .sgpr_spill_count: 0
    .symbol:         _ZL30rocblas_trmm_outofplace_kernelIfLi32ELi2ELb1ELb1ELb0ELb0EfKffEv17rocblas_diagonal_iiT6_lPT7_lllS4_lllPT8_llli.kd
    .uniform_work_group_size: 1
    .uses_dynamic_stack: false
    .vgpr_count:     64
    .vgpr_spill_count: 0
    .wavefront_size: 64
  - .agpr_count:     0
    .args:
      - .offset:         0
        .size:           4
        .value_kind:     by_value
      - .offset:         4
        .size:           4
        .value_kind:     by_value
      - .offset:         8
        .size:           4
        .value_kind:     by_value
      - .address_space:  global
        .offset:         16
        .size:           8
        .value_kind:     global_buffer
      - .offset:         24
        .size:           8
        .value_kind:     by_value
      - .address_space:  global
        .offset:         32
        .size:           8
        .value_kind:     global_buffer
      - .offset:         40
        .size:           8
        .value_kind:     by_value
      - .offset:         48
        .size:           8
        .value_kind:     by_value
      - .offset:         56
        .size:           8
        .value_kind:     by_value
      - .address_space:  global
        .offset:         64
        .size:           8
        .value_kind:     global_buffer
      - .offset:         72
        .size:           8
        .value_kind:     by_value
      - .offset:         80
        .size:           8
        .value_kind:     by_value
      - .offset:         88
        .size:           8
        .value_kind:     by_value
      - .address_space:  global
        .offset:         96
        .size:           8
        .value_kind:     global_buffer
      - .offset:         104
        .size:           8
        .value_kind:     by_value
      - .offset:         112
        .size:           8
        .value_kind:     by_value
      - .offset:         120
        .size:           8
        .value_kind:     by_value
      - .offset:         128
        .size:           4
        .value_kind:     by_value
      - .offset:         136
        .size:           4
        .value_kind:     hidden_block_count_x
      - .offset:         140
        .size:           4
        .value_kind:     hidden_block_count_y
      - .offset:         144
        .size:           4
        .value_kind:     hidden_block_count_z
      - .offset:         148
        .size:           2
        .value_kind:     hidden_group_size_x
      - .offset:         150
        .size:           2
        .value_kind:     hidden_group_size_y
      - .offset:         152
        .size:           2
        .value_kind:     hidden_group_size_z
      - .offset:         154
        .size:           2
        .value_kind:     hidden_remainder_x
      - .offset:         156
        .size:           2
        .value_kind:     hidden_remainder_y
      - .offset:         158
        .size:           2
        .value_kind:     hidden_remainder_z
      - .offset:         176
        .size:           8
        .value_kind:     hidden_global_offset_x
      - .offset:         184
        .size:           8
        .value_kind:     hidden_global_offset_y
      - .offset:         192
        .size:           8
        .value_kind:     hidden_global_offset_z
      - .offset:         200
        .size:           2
        .value_kind:     hidden_grid_dims
    .group_segment_fixed_size: 8192
    .kernarg_segment_align: 8
    .kernarg_segment_size: 392
    .language:       OpenCL C
    .language_version:
      - 2
      - 0
    .max_flat_workgroup_size: 1024
    .name:           _ZL30rocblas_trmm_outofplace_kernelIfLi32ELi2ELb1ELb0ELb1ELb0EPKfS0_fEv17rocblas_diagonal_iiT6_lPT7_lllS5_lllPT8_llli
    .private_segment_fixed_size: 0
    .sgpr_count:     58
    .sgpr_spill_count: 0
    .symbol:         _ZL30rocblas_trmm_outofplace_kernelIfLi32ELi2ELb1ELb0ELb1ELb0EPKfS0_fEv17rocblas_diagonal_iiT6_lPT7_lllS5_lllPT8_llli.kd
    .uniform_work_group_size: 1
    .uses_dynamic_stack: false
    .vgpr_count:     62
    .vgpr_spill_count: 0
    .wavefront_size: 64
  - .agpr_count:     0
    .args:
      - .offset:         0
        .size:           4
        .value_kind:     by_value
      - .offset:         4
        .size:           4
        .value_kind:     by_value
      - .offset:         8
        .size:           4
        .value_kind:     by_value
      - .offset:         12
        .size:           4
        .value_kind:     by_value
      - .offset:         16
        .size:           8
        .value_kind:     by_value
      - .address_space:  global
        .offset:         24
        .size:           8
        .value_kind:     global_buffer
      - .offset:         32
        .size:           8
        .value_kind:     by_value
      - .offset:         40
        .size:           8
        .value_kind:     by_value
      - .offset:         48
        .size:           8
        .value_kind:     by_value
      - .address_space:  global
        .offset:         56
        .size:           8
        .value_kind:     global_buffer
      - .offset:         64
        .size:           8
        .value_kind:     by_value
      - .offset:         72
        .size:           8
        .value_kind:     by_value
      - .offset:         80
        .size:           8
        .value_kind:     by_value
      - .address_space:  global
        .offset:         88
        .size:           8
        .value_kind:     global_buffer
      - .offset:         96
        .size:           8
        .value_kind:     by_value
      - .offset:         104
        .size:           8
        .value_kind:     by_value
      - .offset:         112
        .size:           8
        .value_kind:     by_value
      - .offset:         120
        .size:           4
        .value_kind:     by_value
      - .offset:         128
        .size:           4
        .value_kind:     hidden_block_count_x
      - .offset:         132
        .size:           4
        .value_kind:     hidden_block_count_y
      - .offset:         136
        .size:           4
        .value_kind:     hidden_block_count_z
      - .offset:         140
        .size:           2
        .value_kind:     hidden_group_size_x
      - .offset:         142
        .size:           2
        .value_kind:     hidden_group_size_y
      - .offset:         144
        .size:           2
        .value_kind:     hidden_group_size_z
      - .offset:         146
        .size:           2
        .value_kind:     hidden_remainder_x
      - .offset:         148
        .size:           2
        .value_kind:     hidden_remainder_y
      - .offset:         150
        .size:           2
        .value_kind:     hidden_remainder_z
      - .offset:         168
        .size:           8
        .value_kind:     hidden_global_offset_x
      - .offset:         176
        .size:           8
        .value_kind:     hidden_global_offset_y
      - .offset:         184
        .size:           8
        .value_kind:     hidden_global_offset_z
      - .offset:         192
        .size:           2
        .value_kind:     hidden_grid_dims
    .group_segment_fixed_size: 8192
    .kernarg_segment_align: 8
    .kernarg_segment_size: 384
    .language:       OpenCL C
    .language_version:
      - 2
      - 0
    .max_flat_workgroup_size: 1024
    .name:           _ZL30rocblas_trmm_outofplace_kernelIfLi32ELi2ELb1ELb0ELb1ELb0EfKffEv17rocblas_diagonal_iiT6_lPT7_lllS4_lllPT8_llli
    .private_segment_fixed_size: 0
    .sgpr_count:     58
    .sgpr_spill_count: 0
    .symbol:         _ZL30rocblas_trmm_outofplace_kernelIfLi32ELi2ELb1ELb0ELb1ELb0EfKffEv17rocblas_diagonal_iiT6_lPT7_lllS4_lllPT8_llli.kd
    .uniform_work_group_size: 1
    .uses_dynamic_stack: false
    .vgpr_count:     62
    .vgpr_spill_count: 0
    .wavefront_size: 64
  - .agpr_count:     0
    .args:
      - .offset:         0
        .size:           4
        .value_kind:     by_value
      - .offset:         4
        .size:           4
        .value_kind:     by_value
      - .offset:         8
        .size:           4
        .value_kind:     by_value
      - .address_space:  global
        .offset:         16
        .size:           8
        .value_kind:     global_buffer
      - .offset:         24
        .size:           8
        .value_kind:     by_value
      - .address_space:  global
        .offset:         32
        .size:           8
        .value_kind:     global_buffer
      - .offset:         40
        .size:           8
        .value_kind:     by_value
      - .offset:         48
        .size:           8
        .value_kind:     by_value
      - .offset:         56
        .size:           8
        .value_kind:     by_value
      - .address_space:  global
        .offset:         64
        .size:           8
        .value_kind:     global_buffer
      - .offset:         72
        .size:           8
        .value_kind:     by_value
      - .offset:         80
        .size:           8
        .value_kind:     by_value
      - .offset:         88
        .size:           8
        .value_kind:     by_value
      - .address_space:  global
        .offset:         96
        .size:           8
        .value_kind:     global_buffer
      - .offset:         104
        .size:           8
        .value_kind:     by_value
      - .offset:         112
        .size:           8
        .value_kind:     by_value
      - .offset:         120
        .size:           8
        .value_kind:     by_value
      - .offset:         128
        .size:           4
        .value_kind:     by_value
      - .offset:         136
        .size:           4
        .value_kind:     hidden_block_count_x
      - .offset:         140
        .size:           4
        .value_kind:     hidden_block_count_y
      - .offset:         144
        .size:           4
        .value_kind:     hidden_block_count_z
      - .offset:         148
        .size:           2
        .value_kind:     hidden_group_size_x
      - .offset:         150
        .size:           2
        .value_kind:     hidden_group_size_y
      - .offset:         152
        .size:           2
        .value_kind:     hidden_group_size_z
      - .offset:         154
        .size:           2
        .value_kind:     hidden_remainder_x
      - .offset:         156
        .size:           2
        .value_kind:     hidden_remainder_y
      - .offset:         158
        .size:           2
        .value_kind:     hidden_remainder_z
      - .offset:         176
        .size:           8
        .value_kind:     hidden_global_offset_x
      - .offset:         184
        .size:           8
        .value_kind:     hidden_global_offset_y
      - .offset:         192
        .size:           8
        .value_kind:     hidden_global_offset_z
      - .offset:         200
        .size:           2
        .value_kind:     hidden_grid_dims
    .group_segment_fixed_size: 8192
    .kernarg_segment_align: 8
    .kernarg_segment_size: 392
    .language:       OpenCL C
    .language_version:
      - 2
      - 0
    .max_flat_workgroup_size: 1024
    .name:           _ZL30rocblas_trmm_outofplace_kernelIfLi32ELi2ELb1ELb1ELb1ELb0EPKfS0_fEv17rocblas_diagonal_iiT6_lPT7_lllS5_lllPT8_llli
    .private_segment_fixed_size: 0
    .sgpr_count:     58
    .sgpr_spill_count: 0
    .symbol:         _ZL30rocblas_trmm_outofplace_kernelIfLi32ELi2ELb1ELb1ELb1ELb0EPKfS0_fEv17rocblas_diagonal_iiT6_lPT7_lllS5_lllPT8_llli.kd
    .uniform_work_group_size: 1
    .uses_dynamic_stack: false
    .vgpr_count:     62
    .vgpr_spill_count: 0
    .wavefront_size: 64
  - .agpr_count:     0
    .args:
      - .offset:         0
        .size:           4
        .value_kind:     by_value
      - .offset:         4
        .size:           4
        .value_kind:     by_value
      - .offset:         8
        .size:           4
        .value_kind:     by_value
      - .offset:         12
        .size:           4
        .value_kind:     by_value
      - .offset:         16
        .size:           8
        .value_kind:     by_value
      - .address_space:  global
        .offset:         24
        .size:           8
        .value_kind:     global_buffer
      - .offset:         32
        .size:           8
        .value_kind:     by_value
      - .offset:         40
        .size:           8
        .value_kind:     by_value
      - .offset:         48
        .size:           8
        .value_kind:     by_value
      - .address_space:  global
        .offset:         56
        .size:           8
        .value_kind:     global_buffer
      - .offset:         64
        .size:           8
        .value_kind:     by_value
      - .offset:         72
        .size:           8
        .value_kind:     by_value
      - .offset:         80
        .size:           8
        .value_kind:     by_value
      - .address_space:  global
        .offset:         88
        .size:           8
        .value_kind:     global_buffer
      - .offset:         96
        .size:           8
        .value_kind:     by_value
      - .offset:         104
        .size:           8
        .value_kind:     by_value
      - .offset:         112
        .size:           8
        .value_kind:     by_value
      - .offset:         120
        .size:           4
        .value_kind:     by_value
      - .offset:         128
        .size:           4
        .value_kind:     hidden_block_count_x
      - .offset:         132
        .size:           4
        .value_kind:     hidden_block_count_y
      - .offset:         136
        .size:           4
        .value_kind:     hidden_block_count_z
      - .offset:         140
        .size:           2
        .value_kind:     hidden_group_size_x
      - .offset:         142
        .size:           2
        .value_kind:     hidden_group_size_y
      - .offset:         144
        .size:           2
        .value_kind:     hidden_group_size_z
      - .offset:         146
        .size:           2
        .value_kind:     hidden_remainder_x
      - .offset:         148
        .size:           2
        .value_kind:     hidden_remainder_y
      - .offset:         150
        .size:           2
        .value_kind:     hidden_remainder_z
      - .offset:         168
        .size:           8
        .value_kind:     hidden_global_offset_x
      - .offset:         176
        .size:           8
        .value_kind:     hidden_global_offset_y
      - .offset:         184
        .size:           8
        .value_kind:     hidden_global_offset_z
      - .offset:         192
        .size:           2
        .value_kind:     hidden_grid_dims
    .group_segment_fixed_size: 8192
    .kernarg_segment_align: 8
    .kernarg_segment_size: 384
    .language:       OpenCL C
    .language_version:
      - 2
      - 0
    .max_flat_workgroup_size: 1024
    .name:           _ZL30rocblas_trmm_outofplace_kernelIfLi32ELi2ELb1ELb1ELb1ELb0EfKffEv17rocblas_diagonal_iiT6_lPT7_lllS4_lllPT8_llli
    .private_segment_fixed_size: 0
    .sgpr_count:     58
    .sgpr_spill_count: 0
    .symbol:         _ZL30rocblas_trmm_outofplace_kernelIfLi32ELi2ELb1ELb1ELb1ELb0EfKffEv17rocblas_diagonal_iiT6_lPT7_lllS4_lllPT8_llli.kd
    .uniform_work_group_size: 1
    .uses_dynamic_stack: false
    .vgpr_count:     62
    .vgpr_spill_count: 0
    .wavefront_size: 64
  - .agpr_count:     0
    .args:
      - .offset:         0
        .size:           4
        .value_kind:     by_value
      - .offset:         4
        .size:           4
        .value_kind:     by_value
      - .offset:         8
        .size:           4
        .value_kind:     by_value
      - .address_space:  global
        .offset:         16
        .size:           8
        .value_kind:     global_buffer
      - .offset:         24
        .size:           8
        .value_kind:     by_value
      - .address_space:  global
        .offset:         32
        .size:           8
        .value_kind:     global_buffer
      - .offset:         40
        .size:           8
        .value_kind:     by_value
      - .offset:         48
        .size:           8
        .value_kind:     by_value
      - .offset:         56
        .size:           8
        .value_kind:     by_value
      - .address_space:  global
        .offset:         64
        .size:           8
        .value_kind:     global_buffer
      - .offset:         72
        .size:           8
        .value_kind:     by_value
      - .offset:         80
        .size:           8
        .value_kind:     by_value
      - .offset:         88
        .size:           8
        .value_kind:     by_value
      - .address_space:  global
        .offset:         96
        .size:           8
        .value_kind:     global_buffer
      - .offset:         104
        .size:           8
        .value_kind:     by_value
      - .offset:         112
        .size:           8
        .value_kind:     by_value
      - .offset:         120
        .size:           8
        .value_kind:     by_value
      - .offset:         128
        .size:           4
        .value_kind:     by_value
      - .offset:         136
        .size:           4
        .value_kind:     hidden_block_count_x
      - .offset:         140
        .size:           4
        .value_kind:     hidden_block_count_y
      - .offset:         144
        .size:           4
        .value_kind:     hidden_block_count_z
      - .offset:         148
        .size:           2
        .value_kind:     hidden_group_size_x
      - .offset:         150
        .size:           2
        .value_kind:     hidden_group_size_y
      - .offset:         152
        .size:           2
        .value_kind:     hidden_group_size_z
      - .offset:         154
        .size:           2
        .value_kind:     hidden_remainder_x
      - .offset:         156
        .size:           2
        .value_kind:     hidden_remainder_y
      - .offset:         158
        .size:           2
        .value_kind:     hidden_remainder_z
      - .offset:         176
        .size:           8
        .value_kind:     hidden_global_offset_x
      - .offset:         184
        .size:           8
        .value_kind:     hidden_global_offset_y
      - .offset:         192
        .size:           8
        .value_kind:     hidden_global_offset_z
      - .offset:         200
        .size:           2
        .value_kind:     hidden_grid_dims
    .group_segment_fixed_size: 8192
    .kernarg_segment_align: 8
    .kernarg_segment_size: 392
    .language:       OpenCL C
    .language_version:
      - 2
      - 0
    .max_flat_workgroup_size: 1024
    .name:           _ZL30rocblas_trmm_outofplace_kernelIfLi32ELi2ELb1ELb0ELb1ELb1EPKfS0_fEv17rocblas_diagonal_iiT6_lPT7_lllS5_lllPT8_llli
    .private_segment_fixed_size: 0
    .sgpr_count:     58
    .sgpr_spill_count: 0
    .symbol:         _ZL30rocblas_trmm_outofplace_kernelIfLi32ELi2ELb1ELb0ELb1ELb1EPKfS0_fEv17rocblas_diagonal_iiT6_lPT7_lllS5_lllPT8_llli.kd
    .uniform_work_group_size: 1
    .uses_dynamic_stack: false
    .vgpr_count:     62
    .vgpr_spill_count: 0
    .wavefront_size: 64
  - .agpr_count:     0
    .args:
      - .offset:         0
        .size:           4
        .value_kind:     by_value
      - .offset:         4
        .size:           4
        .value_kind:     by_value
      - .offset:         8
        .size:           4
        .value_kind:     by_value
      - .offset:         12
        .size:           4
        .value_kind:     by_value
      - .offset:         16
        .size:           8
        .value_kind:     by_value
      - .address_space:  global
        .offset:         24
        .size:           8
        .value_kind:     global_buffer
      - .offset:         32
        .size:           8
        .value_kind:     by_value
      - .offset:         40
        .size:           8
        .value_kind:     by_value
      - .offset:         48
        .size:           8
        .value_kind:     by_value
      - .address_space:  global
        .offset:         56
        .size:           8
        .value_kind:     global_buffer
      - .offset:         64
        .size:           8
        .value_kind:     by_value
      - .offset:         72
        .size:           8
        .value_kind:     by_value
      - .offset:         80
        .size:           8
        .value_kind:     by_value
      - .address_space:  global
        .offset:         88
        .size:           8
        .value_kind:     global_buffer
      - .offset:         96
        .size:           8
        .value_kind:     by_value
      - .offset:         104
        .size:           8
        .value_kind:     by_value
      - .offset:         112
        .size:           8
        .value_kind:     by_value
      - .offset:         120
        .size:           4
        .value_kind:     by_value
      - .offset:         128
        .size:           4
        .value_kind:     hidden_block_count_x
      - .offset:         132
        .size:           4
        .value_kind:     hidden_block_count_y
      - .offset:         136
        .size:           4
        .value_kind:     hidden_block_count_z
      - .offset:         140
        .size:           2
        .value_kind:     hidden_group_size_x
      - .offset:         142
        .size:           2
        .value_kind:     hidden_group_size_y
      - .offset:         144
        .size:           2
        .value_kind:     hidden_group_size_z
      - .offset:         146
        .size:           2
        .value_kind:     hidden_remainder_x
      - .offset:         148
        .size:           2
        .value_kind:     hidden_remainder_y
      - .offset:         150
        .size:           2
        .value_kind:     hidden_remainder_z
      - .offset:         168
        .size:           8
        .value_kind:     hidden_global_offset_x
      - .offset:         176
        .size:           8
        .value_kind:     hidden_global_offset_y
      - .offset:         184
        .size:           8
        .value_kind:     hidden_global_offset_z
      - .offset:         192
        .size:           2
        .value_kind:     hidden_grid_dims
    .group_segment_fixed_size: 8192
    .kernarg_segment_align: 8
    .kernarg_segment_size: 384
    .language:       OpenCL C
    .language_version:
      - 2
      - 0
    .max_flat_workgroup_size: 1024
    .name:           _ZL30rocblas_trmm_outofplace_kernelIfLi32ELi2ELb1ELb0ELb1ELb1EfKffEv17rocblas_diagonal_iiT6_lPT7_lllS4_lllPT8_llli
    .private_segment_fixed_size: 0
    .sgpr_count:     58
    .sgpr_spill_count: 0
    .symbol:         _ZL30rocblas_trmm_outofplace_kernelIfLi32ELi2ELb1ELb0ELb1ELb1EfKffEv17rocblas_diagonal_iiT6_lPT7_lllS4_lllPT8_llli.kd
    .uniform_work_group_size: 1
    .uses_dynamic_stack: false
    .vgpr_count:     62
    .vgpr_spill_count: 0
    .wavefront_size: 64
  - .agpr_count:     0
    .args:
      - .offset:         0
        .size:           4
        .value_kind:     by_value
      - .offset:         4
        .size:           4
        .value_kind:     by_value
      - .offset:         8
        .size:           4
        .value_kind:     by_value
      - .address_space:  global
        .offset:         16
        .size:           8
        .value_kind:     global_buffer
      - .offset:         24
        .size:           8
        .value_kind:     by_value
      - .address_space:  global
        .offset:         32
        .size:           8
        .value_kind:     global_buffer
      - .offset:         40
        .size:           8
        .value_kind:     by_value
      - .offset:         48
        .size:           8
        .value_kind:     by_value
      - .offset:         56
        .size:           8
        .value_kind:     by_value
      - .address_space:  global
        .offset:         64
        .size:           8
        .value_kind:     global_buffer
      - .offset:         72
        .size:           8
        .value_kind:     by_value
      - .offset:         80
        .size:           8
        .value_kind:     by_value
      - .offset:         88
        .size:           8
        .value_kind:     by_value
      - .address_space:  global
        .offset:         96
        .size:           8
        .value_kind:     global_buffer
      - .offset:         104
        .size:           8
        .value_kind:     by_value
      - .offset:         112
        .size:           8
        .value_kind:     by_value
      - .offset:         120
        .size:           8
        .value_kind:     by_value
      - .offset:         128
        .size:           4
        .value_kind:     by_value
      - .offset:         136
        .size:           4
        .value_kind:     hidden_block_count_x
      - .offset:         140
        .size:           4
        .value_kind:     hidden_block_count_y
      - .offset:         144
        .size:           4
        .value_kind:     hidden_block_count_z
      - .offset:         148
        .size:           2
        .value_kind:     hidden_group_size_x
      - .offset:         150
        .size:           2
        .value_kind:     hidden_group_size_y
      - .offset:         152
        .size:           2
        .value_kind:     hidden_group_size_z
      - .offset:         154
        .size:           2
        .value_kind:     hidden_remainder_x
      - .offset:         156
        .size:           2
        .value_kind:     hidden_remainder_y
      - .offset:         158
        .size:           2
        .value_kind:     hidden_remainder_z
      - .offset:         176
        .size:           8
        .value_kind:     hidden_global_offset_x
      - .offset:         184
        .size:           8
        .value_kind:     hidden_global_offset_y
      - .offset:         192
        .size:           8
        .value_kind:     hidden_global_offset_z
      - .offset:         200
        .size:           2
        .value_kind:     hidden_grid_dims
    .group_segment_fixed_size: 8192
    .kernarg_segment_align: 8
    .kernarg_segment_size: 392
    .language:       OpenCL C
    .language_version:
      - 2
      - 0
    .max_flat_workgroup_size: 1024
    .name:           _ZL30rocblas_trmm_outofplace_kernelIfLi32ELi2ELb1ELb1ELb1ELb1EPKfS0_fEv17rocblas_diagonal_iiT6_lPT7_lllS5_lllPT8_llli
    .private_segment_fixed_size: 0
    .sgpr_count:     58
    .sgpr_spill_count: 0
    .symbol:         _ZL30rocblas_trmm_outofplace_kernelIfLi32ELi2ELb1ELb1ELb1ELb1EPKfS0_fEv17rocblas_diagonal_iiT6_lPT7_lllS5_lllPT8_llli.kd
    .uniform_work_group_size: 1
    .uses_dynamic_stack: false
    .vgpr_count:     62
    .vgpr_spill_count: 0
    .wavefront_size: 64
  - .agpr_count:     0
    .args:
      - .offset:         0
        .size:           4
        .value_kind:     by_value
      - .offset:         4
        .size:           4
        .value_kind:     by_value
      - .offset:         8
        .size:           4
        .value_kind:     by_value
      - .offset:         12
        .size:           4
        .value_kind:     by_value
      - .offset:         16
        .size:           8
        .value_kind:     by_value
      - .address_space:  global
        .offset:         24
        .size:           8
        .value_kind:     global_buffer
      - .offset:         32
        .size:           8
        .value_kind:     by_value
      - .offset:         40
        .size:           8
        .value_kind:     by_value
      - .offset:         48
        .size:           8
        .value_kind:     by_value
      - .address_space:  global
        .offset:         56
        .size:           8
        .value_kind:     global_buffer
      - .offset:         64
        .size:           8
        .value_kind:     by_value
      - .offset:         72
        .size:           8
        .value_kind:     by_value
      - .offset:         80
        .size:           8
        .value_kind:     by_value
      - .address_space:  global
        .offset:         88
        .size:           8
        .value_kind:     global_buffer
      - .offset:         96
        .size:           8
        .value_kind:     by_value
      - .offset:         104
        .size:           8
        .value_kind:     by_value
      - .offset:         112
        .size:           8
        .value_kind:     by_value
      - .offset:         120
        .size:           4
        .value_kind:     by_value
      - .offset:         128
        .size:           4
        .value_kind:     hidden_block_count_x
      - .offset:         132
        .size:           4
        .value_kind:     hidden_block_count_y
      - .offset:         136
        .size:           4
        .value_kind:     hidden_block_count_z
      - .offset:         140
        .size:           2
        .value_kind:     hidden_group_size_x
      - .offset:         142
        .size:           2
        .value_kind:     hidden_group_size_y
      - .offset:         144
        .size:           2
        .value_kind:     hidden_group_size_z
      - .offset:         146
        .size:           2
        .value_kind:     hidden_remainder_x
      - .offset:         148
        .size:           2
        .value_kind:     hidden_remainder_y
      - .offset:         150
        .size:           2
        .value_kind:     hidden_remainder_z
      - .offset:         168
        .size:           8
        .value_kind:     hidden_global_offset_x
      - .offset:         176
        .size:           8
        .value_kind:     hidden_global_offset_y
      - .offset:         184
        .size:           8
        .value_kind:     hidden_global_offset_z
      - .offset:         192
        .size:           2
        .value_kind:     hidden_grid_dims
    .group_segment_fixed_size: 8192
    .kernarg_segment_align: 8
    .kernarg_segment_size: 384
    .language:       OpenCL C
    .language_version:
      - 2
      - 0
    .max_flat_workgroup_size: 1024
    .name:           _ZL30rocblas_trmm_outofplace_kernelIfLi32ELi2ELb1ELb1ELb1ELb1EfKffEv17rocblas_diagonal_iiT6_lPT7_lllS4_lllPT8_llli
    .private_segment_fixed_size: 0
    .sgpr_count:     58
    .sgpr_spill_count: 0
    .symbol:         _ZL30rocblas_trmm_outofplace_kernelIfLi32ELi2ELb1ELb1ELb1ELb1EfKffEv17rocblas_diagonal_iiT6_lPT7_lllS4_lllPT8_llli.kd
    .uniform_work_group_size: 1
    .uses_dynamic_stack: false
    .vgpr_count:     62
    .vgpr_spill_count: 0
    .wavefront_size: 64
  - .agpr_count:     0
    .args:
      - .offset:         0
        .size:           4
        .value_kind:     by_value
      - .offset:         4
        .size:           4
        .value_kind:     by_value
      - .offset:         8
        .size:           4
        .value_kind:     by_value
      - .address_space:  global
        .offset:         16
        .size:           8
        .value_kind:     global_buffer
      - .offset:         24
        .size:           8
        .value_kind:     by_value
      - .address_space:  global
        .offset:         32
        .size:           8
        .value_kind:     global_buffer
      - .offset:         40
        .size:           8
        .value_kind:     by_value
      - .offset:         48
        .size:           8
        .value_kind:     by_value
      - .offset:         56
        .size:           8
        .value_kind:     by_value
      - .address_space:  global
        .offset:         64
        .size:           8
        .value_kind:     global_buffer
      - .offset:         72
        .size:           8
        .value_kind:     by_value
      - .offset:         80
        .size:           8
        .value_kind:     by_value
      - .offset:         88
        .size:           8
        .value_kind:     by_value
      - .address_space:  global
        .offset:         96
        .size:           8
        .value_kind:     global_buffer
      - .offset:         104
        .size:           8
        .value_kind:     by_value
      - .offset:         112
        .size:           8
        .value_kind:     by_value
      - .offset:         120
        .size:           8
        .value_kind:     by_value
      - .offset:         128
        .size:           4
        .value_kind:     by_value
      - .offset:         136
        .size:           4
        .value_kind:     hidden_block_count_x
      - .offset:         140
        .size:           4
        .value_kind:     hidden_block_count_y
      - .offset:         144
        .size:           4
        .value_kind:     hidden_block_count_z
      - .offset:         148
        .size:           2
        .value_kind:     hidden_group_size_x
      - .offset:         150
        .size:           2
        .value_kind:     hidden_group_size_y
      - .offset:         152
        .size:           2
        .value_kind:     hidden_group_size_z
      - .offset:         154
        .size:           2
        .value_kind:     hidden_remainder_x
      - .offset:         156
        .size:           2
        .value_kind:     hidden_remainder_y
      - .offset:         158
        .size:           2
        .value_kind:     hidden_remainder_z
      - .offset:         176
        .size:           8
        .value_kind:     hidden_global_offset_x
      - .offset:         184
        .size:           8
        .value_kind:     hidden_global_offset_y
      - .offset:         192
        .size:           8
        .value_kind:     hidden_global_offset_z
      - .offset:         200
        .size:           2
        .value_kind:     hidden_grid_dims
    .group_segment_fixed_size: 8192
    .kernarg_segment_align: 8
    .kernarg_segment_size: 392
    .language:       OpenCL C
    .language_version:
      - 2
      - 0
    .max_flat_workgroup_size: 1024
    .name:           _ZL30rocblas_trmm_outofplace_kernelIfLi32ELi2ELb0ELb0ELb0ELb0EPKfS0_fEv17rocblas_diagonal_iiT6_lPT7_lllS5_lllPT8_llli
    .private_segment_fixed_size: 0
    .sgpr_count:     62
    .sgpr_spill_count: 0
    .symbol:         _ZL30rocblas_trmm_outofplace_kernelIfLi32ELi2ELb0ELb0ELb0ELb0EPKfS0_fEv17rocblas_diagonal_iiT6_lPT7_lllS5_lllPT8_llli.kd
    .uniform_work_group_size: 1
    .uses_dynamic_stack: false
    .vgpr_count:     66
    .vgpr_spill_count: 0
    .wavefront_size: 64
  - .agpr_count:     0
    .args:
      - .offset:         0
        .size:           4
        .value_kind:     by_value
      - .offset:         4
        .size:           4
        .value_kind:     by_value
      - .offset:         8
        .size:           4
        .value_kind:     by_value
      - .offset:         12
        .size:           4
        .value_kind:     by_value
      - .offset:         16
        .size:           8
        .value_kind:     by_value
      - .address_space:  global
        .offset:         24
        .size:           8
        .value_kind:     global_buffer
      - .offset:         32
        .size:           8
        .value_kind:     by_value
      - .offset:         40
        .size:           8
        .value_kind:     by_value
      - .offset:         48
        .size:           8
        .value_kind:     by_value
      - .address_space:  global
        .offset:         56
        .size:           8
        .value_kind:     global_buffer
      - .offset:         64
        .size:           8
        .value_kind:     by_value
      - .offset:         72
        .size:           8
        .value_kind:     by_value
      - .offset:         80
        .size:           8
        .value_kind:     by_value
      - .address_space:  global
        .offset:         88
        .size:           8
        .value_kind:     global_buffer
      - .offset:         96
        .size:           8
        .value_kind:     by_value
      - .offset:         104
        .size:           8
        .value_kind:     by_value
      - .offset:         112
        .size:           8
        .value_kind:     by_value
      - .offset:         120
        .size:           4
        .value_kind:     by_value
      - .offset:         128
        .size:           4
        .value_kind:     hidden_block_count_x
      - .offset:         132
        .size:           4
        .value_kind:     hidden_block_count_y
      - .offset:         136
        .size:           4
        .value_kind:     hidden_block_count_z
      - .offset:         140
        .size:           2
        .value_kind:     hidden_group_size_x
      - .offset:         142
        .size:           2
        .value_kind:     hidden_group_size_y
      - .offset:         144
        .size:           2
        .value_kind:     hidden_group_size_z
      - .offset:         146
        .size:           2
        .value_kind:     hidden_remainder_x
      - .offset:         148
        .size:           2
        .value_kind:     hidden_remainder_y
      - .offset:         150
        .size:           2
        .value_kind:     hidden_remainder_z
      - .offset:         168
        .size:           8
        .value_kind:     hidden_global_offset_x
      - .offset:         176
        .size:           8
        .value_kind:     hidden_global_offset_y
      - .offset:         184
        .size:           8
        .value_kind:     hidden_global_offset_z
      - .offset:         192
        .size:           2
        .value_kind:     hidden_grid_dims
    .group_segment_fixed_size: 8192
    .kernarg_segment_align: 8
    .kernarg_segment_size: 384
    .language:       OpenCL C
    .language_version:
      - 2
      - 0
    .max_flat_workgroup_size: 1024
    .name:           _ZL30rocblas_trmm_outofplace_kernelIfLi32ELi2ELb0ELb0ELb0ELb0EfKffEv17rocblas_diagonal_iiT6_lPT7_lllS4_lllPT8_llli
    .private_segment_fixed_size: 0
    .sgpr_count:     62
    .sgpr_spill_count: 0
    .symbol:         _ZL30rocblas_trmm_outofplace_kernelIfLi32ELi2ELb0ELb0ELb0ELb0EfKffEv17rocblas_diagonal_iiT6_lPT7_lllS4_lllPT8_llli.kd
    .uniform_work_group_size: 1
    .uses_dynamic_stack: false
    .vgpr_count:     66
    .vgpr_spill_count: 0
    .wavefront_size: 64
  - .agpr_count:     0
    .args:
      - .offset:         0
        .size:           4
        .value_kind:     by_value
      - .offset:         4
        .size:           4
        .value_kind:     by_value
      - .offset:         8
        .size:           4
        .value_kind:     by_value
      - .address_space:  global
        .offset:         16
        .size:           8
        .value_kind:     global_buffer
      - .offset:         24
        .size:           8
        .value_kind:     by_value
      - .address_space:  global
        .offset:         32
        .size:           8
        .value_kind:     global_buffer
      - .offset:         40
        .size:           8
        .value_kind:     by_value
      - .offset:         48
        .size:           8
        .value_kind:     by_value
      - .offset:         56
        .size:           8
        .value_kind:     by_value
      - .address_space:  global
        .offset:         64
        .size:           8
        .value_kind:     global_buffer
      - .offset:         72
        .size:           8
        .value_kind:     by_value
      - .offset:         80
        .size:           8
        .value_kind:     by_value
      - .offset:         88
        .size:           8
        .value_kind:     by_value
      - .address_space:  global
        .offset:         96
        .size:           8
        .value_kind:     global_buffer
      - .offset:         104
        .size:           8
        .value_kind:     by_value
      - .offset:         112
        .size:           8
        .value_kind:     by_value
      - .offset:         120
        .size:           8
        .value_kind:     by_value
      - .offset:         128
        .size:           4
        .value_kind:     by_value
      - .offset:         136
        .size:           4
        .value_kind:     hidden_block_count_x
      - .offset:         140
        .size:           4
        .value_kind:     hidden_block_count_y
      - .offset:         144
        .size:           4
        .value_kind:     hidden_block_count_z
      - .offset:         148
        .size:           2
        .value_kind:     hidden_group_size_x
      - .offset:         150
        .size:           2
        .value_kind:     hidden_group_size_y
      - .offset:         152
        .size:           2
        .value_kind:     hidden_group_size_z
      - .offset:         154
        .size:           2
        .value_kind:     hidden_remainder_x
      - .offset:         156
        .size:           2
        .value_kind:     hidden_remainder_y
      - .offset:         158
        .size:           2
        .value_kind:     hidden_remainder_z
      - .offset:         176
        .size:           8
        .value_kind:     hidden_global_offset_x
      - .offset:         184
        .size:           8
        .value_kind:     hidden_global_offset_y
      - .offset:         192
        .size:           8
        .value_kind:     hidden_global_offset_z
      - .offset:         200
        .size:           2
        .value_kind:     hidden_grid_dims
    .group_segment_fixed_size: 8192
    .kernarg_segment_align: 8
    .kernarg_segment_size: 392
    .language:       OpenCL C
    .language_version:
      - 2
      - 0
    .max_flat_workgroup_size: 1024
    .name:           _ZL30rocblas_trmm_outofplace_kernelIfLi32ELi2ELb0ELb1ELb0ELb0EPKfS0_fEv17rocblas_diagonal_iiT6_lPT7_lllS5_lllPT8_llli
    .private_segment_fixed_size: 0
    .sgpr_count:     58
    .sgpr_spill_count: 0
    .symbol:         _ZL30rocblas_trmm_outofplace_kernelIfLi32ELi2ELb0ELb1ELb0ELb0EPKfS0_fEv17rocblas_diagonal_iiT6_lPT7_lllS5_lllPT8_llli.kd
    .uniform_work_group_size: 1
    .uses_dynamic_stack: false
    .vgpr_count:     64
    .vgpr_spill_count: 0
    .wavefront_size: 64
  - .agpr_count:     0
    .args:
      - .offset:         0
        .size:           4
        .value_kind:     by_value
      - .offset:         4
        .size:           4
        .value_kind:     by_value
      - .offset:         8
        .size:           4
        .value_kind:     by_value
      - .offset:         12
        .size:           4
        .value_kind:     by_value
      - .offset:         16
        .size:           8
        .value_kind:     by_value
      - .address_space:  global
        .offset:         24
        .size:           8
        .value_kind:     global_buffer
      - .offset:         32
        .size:           8
        .value_kind:     by_value
      - .offset:         40
        .size:           8
        .value_kind:     by_value
      - .offset:         48
        .size:           8
        .value_kind:     by_value
      - .address_space:  global
        .offset:         56
        .size:           8
        .value_kind:     global_buffer
      - .offset:         64
        .size:           8
        .value_kind:     by_value
      - .offset:         72
        .size:           8
        .value_kind:     by_value
      - .offset:         80
        .size:           8
        .value_kind:     by_value
      - .address_space:  global
        .offset:         88
        .size:           8
        .value_kind:     global_buffer
      - .offset:         96
        .size:           8
        .value_kind:     by_value
      - .offset:         104
        .size:           8
        .value_kind:     by_value
      - .offset:         112
        .size:           8
        .value_kind:     by_value
      - .offset:         120
        .size:           4
        .value_kind:     by_value
      - .offset:         128
        .size:           4
        .value_kind:     hidden_block_count_x
      - .offset:         132
        .size:           4
        .value_kind:     hidden_block_count_y
      - .offset:         136
        .size:           4
        .value_kind:     hidden_block_count_z
      - .offset:         140
        .size:           2
        .value_kind:     hidden_group_size_x
      - .offset:         142
        .size:           2
        .value_kind:     hidden_group_size_y
      - .offset:         144
        .size:           2
        .value_kind:     hidden_group_size_z
      - .offset:         146
        .size:           2
        .value_kind:     hidden_remainder_x
      - .offset:         148
        .size:           2
        .value_kind:     hidden_remainder_y
      - .offset:         150
        .size:           2
        .value_kind:     hidden_remainder_z
      - .offset:         168
        .size:           8
        .value_kind:     hidden_global_offset_x
      - .offset:         176
        .size:           8
        .value_kind:     hidden_global_offset_y
      - .offset:         184
        .size:           8
        .value_kind:     hidden_global_offset_z
      - .offset:         192
        .size:           2
        .value_kind:     hidden_grid_dims
    .group_segment_fixed_size: 8192
    .kernarg_segment_align: 8
    .kernarg_segment_size: 384
    .language:       OpenCL C
    .language_version:
      - 2
      - 0
    .max_flat_workgroup_size: 1024
    .name:           _ZL30rocblas_trmm_outofplace_kernelIfLi32ELi2ELb0ELb1ELb0ELb0EfKffEv17rocblas_diagonal_iiT6_lPT7_lllS4_lllPT8_llli
    .private_segment_fixed_size: 0
    .sgpr_count:     59
    .sgpr_spill_count: 0
    .symbol:         _ZL30rocblas_trmm_outofplace_kernelIfLi32ELi2ELb0ELb1ELb0ELb0EfKffEv17rocblas_diagonal_iiT6_lPT7_lllS4_lllPT8_llli.kd
    .uniform_work_group_size: 1
    .uses_dynamic_stack: false
    .vgpr_count:     64
    .vgpr_spill_count: 0
    .wavefront_size: 64
  - .agpr_count:     0
    .args:
      - .offset:         0
        .size:           4
        .value_kind:     by_value
      - .offset:         4
        .size:           4
        .value_kind:     by_value
      - .offset:         8
        .size:           4
        .value_kind:     by_value
      - .address_space:  global
        .offset:         16
        .size:           8
        .value_kind:     global_buffer
      - .offset:         24
        .size:           8
        .value_kind:     by_value
      - .address_space:  global
        .offset:         32
        .size:           8
        .value_kind:     global_buffer
      - .offset:         40
        .size:           8
        .value_kind:     by_value
      - .offset:         48
        .size:           8
        .value_kind:     by_value
      - .offset:         56
        .size:           8
        .value_kind:     by_value
      - .address_space:  global
        .offset:         64
        .size:           8
        .value_kind:     global_buffer
      - .offset:         72
        .size:           8
        .value_kind:     by_value
      - .offset:         80
        .size:           8
        .value_kind:     by_value
      - .offset:         88
        .size:           8
        .value_kind:     by_value
      - .address_space:  global
        .offset:         96
        .size:           8
        .value_kind:     global_buffer
      - .offset:         104
        .size:           8
        .value_kind:     by_value
      - .offset:         112
        .size:           8
        .value_kind:     by_value
      - .offset:         120
        .size:           8
        .value_kind:     by_value
      - .offset:         128
        .size:           4
        .value_kind:     by_value
      - .offset:         136
        .size:           4
        .value_kind:     hidden_block_count_x
      - .offset:         140
        .size:           4
        .value_kind:     hidden_block_count_y
      - .offset:         144
        .size:           4
        .value_kind:     hidden_block_count_z
      - .offset:         148
        .size:           2
        .value_kind:     hidden_group_size_x
      - .offset:         150
        .size:           2
        .value_kind:     hidden_group_size_y
      - .offset:         152
        .size:           2
        .value_kind:     hidden_group_size_z
      - .offset:         154
        .size:           2
        .value_kind:     hidden_remainder_x
      - .offset:         156
        .size:           2
        .value_kind:     hidden_remainder_y
      - .offset:         158
        .size:           2
        .value_kind:     hidden_remainder_z
      - .offset:         176
        .size:           8
        .value_kind:     hidden_global_offset_x
      - .offset:         184
        .size:           8
        .value_kind:     hidden_global_offset_y
      - .offset:         192
        .size:           8
        .value_kind:     hidden_global_offset_z
      - .offset:         200
        .size:           2
        .value_kind:     hidden_grid_dims
    .group_segment_fixed_size: 8192
    .kernarg_segment_align: 8
    .kernarg_segment_size: 392
    .language:       OpenCL C
    .language_version:
      - 2
      - 0
    .max_flat_workgroup_size: 1024
    .name:           _ZL30rocblas_trmm_outofplace_kernelIfLi32ELi2ELb0ELb0ELb1ELb0EPKfS0_fEv17rocblas_diagonal_iiT6_lPT7_lllS5_lllPT8_llli
    .private_segment_fixed_size: 0
    .sgpr_count:     54
    .sgpr_spill_count: 0
    .symbol:         _ZL30rocblas_trmm_outofplace_kernelIfLi32ELi2ELb0ELb0ELb1ELb0EPKfS0_fEv17rocblas_diagonal_iiT6_lPT7_lllS5_lllPT8_llli.kd
    .uniform_work_group_size: 1
    .uses_dynamic_stack: false
    .vgpr_count:     70
    .vgpr_spill_count: 0
    .wavefront_size: 64
  - .agpr_count:     0
    .args:
      - .offset:         0
        .size:           4
        .value_kind:     by_value
      - .offset:         4
        .size:           4
        .value_kind:     by_value
      - .offset:         8
        .size:           4
        .value_kind:     by_value
      - .offset:         12
        .size:           4
        .value_kind:     by_value
      - .offset:         16
        .size:           8
        .value_kind:     by_value
      - .address_space:  global
        .offset:         24
        .size:           8
        .value_kind:     global_buffer
      - .offset:         32
        .size:           8
        .value_kind:     by_value
      - .offset:         40
        .size:           8
        .value_kind:     by_value
      - .offset:         48
        .size:           8
        .value_kind:     by_value
      - .address_space:  global
        .offset:         56
        .size:           8
        .value_kind:     global_buffer
      - .offset:         64
        .size:           8
        .value_kind:     by_value
      - .offset:         72
        .size:           8
        .value_kind:     by_value
      - .offset:         80
        .size:           8
        .value_kind:     by_value
      - .address_space:  global
        .offset:         88
        .size:           8
        .value_kind:     global_buffer
      - .offset:         96
        .size:           8
        .value_kind:     by_value
      - .offset:         104
        .size:           8
        .value_kind:     by_value
      - .offset:         112
        .size:           8
        .value_kind:     by_value
      - .offset:         120
        .size:           4
        .value_kind:     by_value
      - .offset:         128
        .size:           4
        .value_kind:     hidden_block_count_x
      - .offset:         132
        .size:           4
        .value_kind:     hidden_block_count_y
      - .offset:         136
        .size:           4
        .value_kind:     hidden_block_count_z
      - .offset:         140
        .size:           2
        .value_kind:     hidden_group_size_x
      - .offset:         142
        .size:           2
        .value_kind:     hidden_group_size_y
      - .offset:         144
        .size:           2
        .value_kind:     hidden_group_size_z
      - .offset:         146
        .size:           2
        .value_kind:     hidden_remainder_x
      - .offset:         148
        .size:           2
        .value_kind:     hidden_remainder_y
      - .offset:         150
        .size:           2
        .value_kind:     hidden_remainder_z
      - .offset:         168
        .size:           8
        .value_kind:     hidden_global_offset_x
      - .offset:         176
        .size:           8
        .value_kind:     hidden_global_offset_y
      - .offset:         184
        .size:           8
        .value_kind:     hidden_global_offset_z
      - .offset:         192
        .size:           2
        .value_kind:     hidden_grid_dims
    .group_segment_fixed_size: 8192
    .kernarg_segment_align: 8
    .kernarg_segment_size: 384
    .language:       OpenCL C
    .language_version:
      - 2
      - 0
    .max_flat_workgroup_size: 1024
    .name:           _ZL30rocblas_trmm_outofplace_kernelIfLi32ELi2ELb0ELb0ELb1ELb0EfKffEv17rocblas_diagonal_iiT6_lPT7_lllS4_lllPT8_llli
    .private_segment_fixed_size: 0
    .sgpr_count:     54
    .sgpr_spill_count: 0
    .symbol:         _ZL30rocblas_trmm_outofplace_kernelIfLi32ELi2ELb0ELb0ELb1ELb0EfKffEv17rocblas_diagonal_iiT6_lPT7_lllS4_lllPT8_llli.kd
    .uniform_work_group_size: 1
    .uses_dynamic_stack: false
    .vgpr_count:     70
    .vgpr_spill_count: 0
    .wavefront_size: 64
  - .agpr_count:     0
    .args:
      - .offset:         0
        .size:           4
        .value_kind:     by_value
      - .offset:         4
        .size:           4
        .value_kind:     by_value
      - .offset:         8
        .size:           4
        .value_kind:     by_value
      - .address_space:  global
        .offset:         16
        .size:           8
        .value_kind:     global_buffer
      - .offset:         24
        .size:           8
        .value_kind:     by_value
      - .address_space:  global
        .offset:         32
        .size:           8
        .value_kind:     global_buffer
      - .offset:         40
        .size:           8
        .value_kind:     by_value
      - .offset:         48
        .size:           8
        .value_kind:     by_value
      - .offset:         56
        .size:           8
        .value_kind:     by_value
      - .address_space:  global
        .offset:         64
        .size:           8
        .value_kind:     global_buffer
      - .offset:         72
        .size:           8
        .value_kind:     by_value
      - .offset:         80
        .size:           8
        .value_kind:     by_value
      - .offset:         88
        .size:           8
        .value_kind:     by_value
      - .address_space:  global
        .offset:         96
        .size:           8
        .value_kind:     global_buffer
      - .offset:         104
        .size:           8
        .value_kind:     by_value
      - .offset:         112
        .size:           8
        .value_kind:     by_value
      - .offset:         120
        .size:           8
        .value_kind:     by_value
      - .offset:         128
        .size:           4
        .value_kind:     by_value
      - .offset:         136
        .size:           4
        .value_kind:     hidden_block_count_x
      - .offset:         140
        .size:           4
        .value_kind:     hidden_block_count_y
      - .offset:         144
        .size:           4
        .value_kind:     hidden_block_count_z
      - .offset:         148
        .size:           2
        .value_kind:     hidden_group_size_x
      - .offset:         150
        .size:           2
        .value_kind:     hidden_group_size_y
      - .offset:         152
        .size:           2
        .value_kind:     hidden_group_size_z
      - .offset:         154
        .size:           2
        .value_kind:     hidden_remainder_x
      - .offset:         156
        .size:           2
        .value_kind:     hidden_remainder_y
      - .offset:         158
        .size:           2
        .value_kind:     hidden_remainder_z
      - .offset:         176
        .size:           8
        .value_kind:     hidden_global_offset_x
      - .offset:         184
        .size:           8
        .value_kind:     hidden_global_offset_y
      - .offset:         192
        .size:           8
        .value_kind:     hidden_global_offset_z
      - .offset:         200
        .size:           2
        .value_kind:     hidden_grid_dims
    .group_segment_fixed_size: 8192
    .kernarg_segment_align: 8
    .kernarg_segment_size: 392
    .language:       OpenCL C
    .language_version:
      - 2
      - 0
    .max_flat_workgroup_size: 1024
    .name:           _ZL30rocblas_trmm_outofplace_kernelIfLi32ELi2ELb0ELb1ELb1ELb0EPKfS0_fEv17rocblas_diagonal_iiT6_lPT7_lllS5_lllPT8_llli
    .private_segment_fixed_size: 0
    .sgpr_count:     63
    .sgpr_spill_count: 0
    .symbol:         _ZL30rocblas_trmm_outofplace_kernelIfLi32ELi2ELb0ELb1ELb1ELb0EPKfS0_fEv17rocblas_diagonal_iiT6_lPT7_lllS5_lllPT8_llli.kd
    .uniform_work_group_size: 1
    .uses_dynamic_stack: false
    .vgpr_count:     66
    .vgpr_spill_count: 0
    .wavefront_size: 64
  - .agpr_count:     0
    .args:
      - .offset:         0
        .size:           4
        .value_kind:     by_value
      - .offset:         4
        .size:           4
        .value_kind:     by_value
      - .offset:         8
        .size:           4
        .value_kind:     by_value
      - .offset:         12
        .size:           4
        .value_kind:     by_value
      - .offset:         16
        .size:           8
        .value_kind:     by_value
      - .address_space:  global
        .offset:         24
        .size:           8
        .value_kind:     global_buffer
      - .offset:         32
        .size:           8
        .value_kind:     by_value
      - .offset:         40
        .size:           8
        .value_kind:     by_value
      - .offset:         48
        .size:           8
        .value_kind:     by_value
      - .address_space:  global
        .offset:         56
        .size:           8
        .value_kind:     global_buffer
      - .offset:         64
        .size:           8
        .value_kind:     by_value
      - .offset:         72
        .size:           8
        .value_kind:     by_value
      - .offset:         80
        .size:           8
        .value_kind:     by_value
      - .address_space:  global
        .offset:         88
        .size:           8
        .value_kind:     global_buffer
      - .offset:         96
        .size:           8
        .value_kind:     by_value
      - .offset:         104
        .size:           8
        .value_kind:     by_value
      - .offset:         112
        .size:           8
        .value_kind:     by_value
      - .offset:         120
        .size:           4
        .value_kind:     by_value
      - .offset:         128
        .size:           4
        .value_kind:     hidden_block_count_x
      - .offset:         132
        .size:           4
        .value_kind:     hidden_block_count_y
      - .offset:         136
        .size:           4
        .value_kind:     hidden_block_count_z
      - .offset:         140
        .size:           2
        .value_kind:     hidden_group_size_x
      - .offset:         142
        .size:           2
        .value_kind:     hidden_group_size_y
      - .offset:         144
        .size:           2
        .value_kind:     hidden_group_size_z
      - .offset:         146
        .size:           2
        .value_kind:     hidden_remainder_x
      - .offset:         148
        .size:           2
        .value_kind:     hidden_remainder_y
      - .offset:         150
        .size:           2
        .value_kind:     hidden_remainder_z
      - .offset:         168
        .size:           8
        .value_kind:     hidden_global_offset_x
      - .offset:         176
        .size:           8
        .value_kind:     hidden_global_offset_y
      - .offset:         184
        .size:           8
        .value_kind:     hidden_global_offset_z
      - .offset:         192
        .size:           2
        .value_kind:     hidden_grid_dims
    .group_segment_fixed_size: 8192
    .kernarg_segment_align: 8
    .kernarg_segment_size: 384
    .language:       OpenCL C
    .language_version:
      - 2
      - 0
    .max_flat_workgroup_size: 1024
    .name:           _ZL30rocblas_trmm_outofplace_kernelIfLi32ELi2ELb0ELb1ELb1ELb0EfKffEv17rocblas_diagonal_iiT6_lPT7_lllS4_lllPT8_llli
    .private_segment_fixed_size: 0
    .sgpr_count:     64
    .sgpr_spill_count: 0
    .symbol:         _ZL30rocblas_trmm_outofplace_kernelIfLi32ELi2ELb0ELb1ELb1ELb0EfKffEv17rocblas_diagonal_iiT6_lPT7_lllS4_lllPT8_llli.kd
    .uniform_work_group_size: 1
    .uses_dynamic_stack: false
    .vgpr_count:     66
    .vgpr_spill_count: 0
    .wavefront_size: 64
  - .agpr_count:     0
    .args:
      - .offset:         0
        .size:           4
        .value_kind:     by_value
      - .offset:         4
        .size:           4
        .value_kind:     by_value
      - .offset:         8
        .size:           4
        .value_kind:     by_value
      - .address_space:  global
        .offset:         16
        .size:           8
        .value_kind:     global_buffer
      - .offset:         24
        .size:           8
        .value_kind:     by_value
      - .address_space:  global
        .offset:         32
        .size:           8
        .value_kind:     global_buffer
      - .offset:         40
        .size:           8
        .value_kind:     by_value
      - .offset:         48
        .size:           8
        .value_kind:     by_value
      - .offset:         56
        .size:           8
        .value_kind:     by_value
      - .address_space:  global
        .offset:         64
        .size:           8
        .value_kind:     global_buffer
      - .offset:         72
        .size:           8
        .value_kind:     by_value
      - .offset:         80
        .size:           8
        .value_kind:     by_value
      - .offset:         88
        .size:           8
        .value_kind:     by_value
      - .address_space:  global
        .offset:         96
        .size:           8
        .value_kind:     global_buffer
      - .offset:         104
        .size:           8
        .value_kind:     by_value
      - .offset:         112
        .size:           8
        .value_kind:     by_value
      - .offset:         120
        .size:           8
        .value_kind:     by_value
      - .offset:         128
        .size:           4
        .value_kind:     by_value
      - .offset:         136
        .size:           4
        .value_kind:     hidden_block_count_x
      - .offset:         140
        .size:           4
        .value_kind:     hidden_block_count_y
      - .offset:         144
        .size:           4
        .value_kind:     hidden_block_count_z
      - .offset:         148
        .size:           2
        .value_kind:     hidden_group_size_x
      - .offset:         150
        .size:           2
        .value_kind:     hidden_group_size_y
      - .offset:         152
        .size:           2
        .value_kind:     hidden_group_size_z
      - .offset:         154
        .size:           2
        .value_kind:     hidden_remainder_x
      - .offset:         156
        .size:           2
        .value_kind:     hidden_remainder_y
      - .offset:         158
        .size:           2
        .value_kind:     hidden_remainder_z
      - .offset:         176
        .size:           8
        .value_kind:     hidden_global_offset_x
      - .offset:         184
        .size:           8
        .value_kind:     hidden_global_offset_y
      - .offset:         192
        .size:           8
        .value_kind:     hidden_global_offset_z
      - .offset:         200
        .size:           2
        .value_kind:     hidden_grid_dims
    .group_segment_fixed_size: 8192
    .kernarg_segment_align: 8
    .kernarg_segment_size: 392
    .language:       OpenCL C
    .language_version:
      - 2
      - 0
    .max_flat_workgroup_size: 1024
    .name:           _ZL30rocblas_trmm_outofplace_kernelIfLi32ELi2ELb0ELb0ELb1ELb1EPKfS0_fEv17rocblas_diagonal_iiT6_lPT7_lllS5_lllPT8_llli
    .private_segment_fixed_size: 0
    .sgpr_count:     54
    .sgpr_spill_count: 0
    .symbol:         _ZL30rocblas_trmm_outofplace_kernelIfLi32ELi2ELb0ELb0ELb1ELb1EPKfS0_fEv17rocblas_diagonal_iiT6_lPT7_lllS5_lllPT8_llli.kd
    .uniform_work_group_size: 1
    .uses_dynamic_stack: false
    .vgpr_count:     70
    .vgpr_spill_count: 0
    .wavefront_size: 64
  - .agpr_count:     0
    .args:
      - .offset:         0
        .size:           4
        .value_kind:     by_value
      - .offset:         4
        .size:           4
        .value_kind:     by_value
      - .offset:         8
        .size:           4
        .value_kind:     by_value
      - .offset:         12
        .size:           4
        .value_kind:     by_value
      - .offset:         16
        .size:           8
        .value_kind:     by_value
      - .address_space:  global
        .offset:         24
        .size:           8
        .value_kind:     global_buffer
      - .offset:         32
        .size:           8
        .value_kind:     by_value
      - .offset:         40
        .size:           8
        .value_kind:     by_value
      - .offset:         48
        .size:           8
        .value_kind:     by_value
      - .address_space:  global
        .offset:         56
        .size:           8
        .value_kind:     global_buffer
      - .offset:         64
        .size:           8
        .value_kind:     by_value
      - .offset:         72
        .size:           8
        .value_kind:     by_value
      - .offset:         80
        .size:           8
        .value_kind:     by_value
      - .address_space:  global
        .offset:         88
        .size:           8
        .value_kind:     global_buffer
      - .offset:         96
        .size:           8
        .value_kind:     by_value
      - .offset:         104
        .size:           8
        .value_kind:     by_value
      - .offset:         112
        .size:           8
        .value_kind:     by_value
      - .offset:         120
        .size:           4
        .value_kind:     by_value
      - .offset:         128
        .size:           4
        .value_kind:     hidden_block_count_x
      - .offset:         132
        .size:           4
        .value_kind:     hidden_block_count_y
      - .offset:         136
        .size:           4
        .value_kind:     hidden_block_count_z
      - .offset:         140
        .size:           2
        .value_kind:     hidden_group_size_x
      - .offset:         142
        .size:           2
        .value_kind:     hidden_group_size_y
      - .offset:         144
        .size:           2
        .value_kind:     hidden_group_size_z
      - .offset:         146
        .size:           2
        .value_kind:     hidden_remainder_x
      - .offset:         148
        .size:           2
        .value_kind:     hidden_remainder_y
      - .offset:         150
        .size:           2
        .value_kind:     hidden_remainder_z
      - .offset:         168
        .size:           8
        .value_kind:     hidden_global_offset_x
      - .offset:         176
        .size:           8
        .value_kind:     hidden_global_offset_y
      - .offset:         184
        .size:           8
        .value_kind:     hidden_global_offset_z
      - .offset:         192
        .size:           2
        .value_kind:     hidden_grid_dims
    .group_segment_fixed_size: 8192
    .kernarg_segment_align: 8
    .kernarg_segment_size: 384
    .language:       OpenCL C
    .language_version:
      - 2
      - 0
    .max_flat_workgroup_size: 1024
    .name:           _ZL30rocblas_trmm_outofplace_kernelIfLi32ELi2ELb0ELb0ELb1ELb1EfKffEv17rocblas_diagonal_iiT6_lPT7_lllS4_lllPT8_llli
    .private_segment_fixed_size: 0
    .sgpr_count:     54
    .sgpr_spill_count: 0
    .symbol:         _ZL30rocblas_trmm_outofplace_kernelIfLi32ELi2ELb0ELb0ELb1ELb1EfKffEv17rocblas_diagonal_iiT6_lPT7_lllS4_lllPT8_llli.kd
    .uniform_work_group_size: 1
    .uses_dynamic_stack: false
    .vgpr_count:     70
    .vgpr_spill_count: 0
    .wavefront_size: 64
  - .agpr_count:     0
    .args:
      - .offset:         0
        .size:           4
        .value_kind:     by_value
      - .offset:         4
        .size:           4
        .value_kind:     by_value
      - .offset:         8
        .size:           4
        .value_kind:     by_value
      - .address_space:  global
        .offset:         16
        .size:           8
        .value_kind:     global_buffer
      - .offset:         24
        .size:           8
        .value_kind:     by_value
      - .address_space:  global
        .offset:         32
        .size:           8
        .value_kind:     global_buffer
      - .offset:         40
        .size:           8
        .value_kind:     by_value
      - .offset:         48
        .size:           8
        .value_kind:     by_value
      - .offset:         56
        .size:           8
        .value_kind:     by_value
      - .address_space:  global
        .offset:         64
        .size:           8
        .value_kind:     global_buffer
      - .offset:         72
        .size:           8
        .value_kind:     by_value
      - .offset:         80
        .size:           8
        .value_kind:     by_value
      - .offset:         88
        .size:           8
        .value_kind:     by_value
      - .address_space:  global
        .offset:         96
        .size:           8
        .value_kind:     global_buffer
      - .offset:         104
        .size:           8
        .value_kind:     by_value
      - .offset:         112
        .size:           8
        .value_kind:     by_value
      - .offset:         120
        .size:           8
        .value_kind:     by_value
      - .offset:         128
        .size:           4
        .value_kind:     by_value
      - .offset:         136
        .size:           4
        .value_kind:     hidden_block_count_x
      - .offset:         140
        .size:           4
        .value_kind:     hidden_block_count_y
      - .offset:         144
        .size:           4
        .value_kind:     hidden_block_count_z
      - .offset:         148
        .size:           2
        .value_kind:     hidden_group_size_x
      - .offset:         150
        .size:           2
        .value_kind:     hidden_group_size_y
      - .offset:         152
        .size:           2
        .value_kind:     hidden_group_size_z
      - .offset:         154
        .size:           2
        .value_kind:     hidden_remainder_x
      - .offset:         156
        .size:           2
        .value_kind:     hidden_remainder_y
      - .offset:         158
        .size:           2
        .value_kind:     hidden_remainder_z
      - .offset:         176
        .size:           8
        .value_kind:     hidden_global_offset_x
      - .offset:         184
        .size:           8
        .value_kind:     hidden_global_offset_y
      - .offset:         192
        .size:           8
        .value_kind:     hidden_global_offset_z
      - .offset:         200
        .size:           2
        .value_kind:     hidden_grid_dims
    .group_segment_fixed_size: 8192
    .kernarg_segment_align: 8
    .kernarg_segment_size: 392
    .language:       OpenCL C
    .language_version:
      - 2
      - 0
    .max_flat_workgroup_size: 1024
    .name:           _ZL30rocblas_trmm_outofplace_kernelIfLi32ELi2ELb0ELb1ELb1ELb1EPKfS0_fEv17rocblas_diagonal_iiT6_lPT7_lllS5_lllPT8_llli
    .private_segment_fixed_size: 0
    .sgpr_count:     63
    .sgpr_spill_count: 0
    .symbol:         _ZL30rocblas_trmm_outofplace_kernelIfLi32ELi2ELb0ELb1ELb1ELb1EPKfS0_fEv17rocblas_diagonal_iiT6_lPT7_lllS5_lllPT8_llli.kd
    .uniform_work_group_size: 1
    .uses_dynamic_stack: false
    .vgpr_count:     66
    .vgpr_spill_count: 0
    .wavefront_size: 64
  - .agpr_count:     0
    .args:
      - .offset:         0
        .size:           4
        .value_kind:     by_value
      - .offset:         4
        .size:           4
        .value_kind:     by_value
      - .offset:         8
        .size:           4
        .value_kind:     by_value
      - .offset:         12
        .size:           4
        .value_kind:     by_value
      - .offset:         16
        .size:           8
        .value_kind:     by_value
      - .address_space:  global
        .offset:         24
        .size:           8
        .value_kind:     global_buffer
      - .offset:         32
        .size:           8
        .value_kind:     by_value
      - .offset:         40
        .size:           8
        .value_kind:     by_value
      - .offset:         48
        .size:           8
        .value_kind:     by_value
      - .address_space:  global
        .offset:         56
        .size:           8
        .value_kind:     global_buffer
      - .offset:         64
        .size:           8
        .value_kind:     by_value
      - .offset:         72
        .size:           8
        .value_kind:     by_value
      - .offset:         80
        .size:           8
        .value_kind:     by_value
      - .address_space:  global
        .offset:         88
        .size:           8
        .value_kind:     global_buffer
      - .offset:         96
        .size:           8
        .value_kind:     by_value
      - .offset:         104
        .size:           8
        .value_kind:     by_value
      - .offset:         112
        .size:           8
        .value_kind:     by_value
      - .offset:         120
        .size:           4
        .value_kind:     by_value
      - .offset:         128
        .size:           4
        .value_kind:     hidden_block_count_x
      - .offset:         132
        .size:           4
        .value_kind:     hidden_block_count_y
      - .offset:         136
        .size:           4
        .value_kind:     hidden_block_count_z
      - .offset:         140
        .size:           2
        .value_kind:     hidden_group_size_x
      - .offset:         142
        .size:           2
        .value_kind:     hidden_group_size_y
      - .offset:         144
        .size:           2
        .value_kind:     hidden_group_size_z
      - .offset:         146
        .size:           2
        .value_kind:     hidden_remainder_x
      - .offset:         148
        .size:           2
        .value_kind:     hidden_remainder_y
      - .offset:         150
        .size:           2
        .value_kind:     hidden_remainder_z
      - .offset:         168
        .size:           8
        .value_kind:     hidden_global_offset_x
      - .offset:         176
        .size:           8
        .value_kind:     hidden_global_offset_y
      - .offset:         184
        .size:           8
        .value_kind:     hidden_global_offset_z
      - .offset:         192
        .size:           2
        .value_kind:     hidden_grid_dims
    .group_segment_fixed_size: 8192
    .kernarg_segment_align: 8
    .kernarg_segment_size: 384
    .language:       OpenCL C
    .language_version:
      - 2
      - 0
    .max_flat_workgroup_size: 1024
    .name:           _ZL30rocblas_trmm_outofplace_kernelIfLi32ELi2ELb0ELb1ELb1ELb1EfKffEv17rocblas_diagonal_iiT6_lPT7_lllS4_lllPT8_llli
    .private_segment_fixed_size: 0
    .sgpr_count:     64
    .sgpr_spill_count: 0
    .symbol:         _ZL30rocblas_trmm_outofplace_kernelIfLi32ELi2ELb0ELb1ELb1ELb1EfKffEv17rocblas_diagonal_iiT6_lPT7_lllS4_lllPT8_llli.kd
    .uniform_work_group_size: 1
    .uses_dynamic_stack: false
    .vgpr_count:     66
    .vgpr_spill_count: 0
    .wavefront_size: 64
  - .agpr_count:     0
    .args:
      - .offset:         0
        .size:           4
        .value_kind:     by_value
      - .offset:         4
        .size:           4
        .value_kind:     by_value
      - .offset:         8
        .size:           4
        .value_kind:     by_value
      - .offset:         12
        .size:           4
        .value_kind:     by_value
      - .address_space:  global
        .offset:         16
        .size:           8
        .value_kind:     global_buffer
      - .offset:         24
        .size:           8
        .value_kind:     by_value
      - .address_space:  global
        .offset:         32
        .size:           8
        .value_kind:     global_buffer
      - .offset:         40
        .size:           8
        .value_kind:     by_value
      - .offset:         48
        .size:           8
        .value_kind:     by_value
      - .address_space:  global
        .offset:         56
        .size:           8
        .value_kind:     global_buffer
      - .offset:         64
        .size:           8
        .value_kind:     by_value
      - .offset:         72
        .size:           8
        .value_kind:     by_value
      - .address_space:  global
        .offset:         80
        .size:           8
        .value_kind:     global_buffer
      - .offset:         88
        .size:           8
        .value_kind:     by_value
      - .offset:         96
        .size:           8
        .value_kind:     by_value
      - .offset:         104
        .size:           4
        .value_kind:     by_value
    .group_segment_fixed_size: 8192
    .kernarg_segment_align: 8
    .kernarg_segment_size: 108
    .language:       OpenCL C
    .language_version:
      - 2
      - 0
    .max_flat_workgroup_size: 1024
    .name:           _ZL23rocblas_trmm_lNx_kernelILi32EfPKfS0_fEv13rocblas_fill_17rocblas_diagonal_iiT1_lPT2_llS6_llPT3_lli
    .private_segment_fixed_size: 0
    .sgpr_count:     29
    .sgpr_spill_count: 0
    .symbol:         _ZL23rocblas_trmm_lNx_kernelILi32EfPKfS0_fEv13rocblas_fill_17rocblas_diagonal_iiT1_lPT2_llS6_llPT3_lli.kd
    .uniform_work_group_size: 1
    .uses_dynamic_stack: false
    .vgpr_count:     25
    .vgpr_spill_count: 0
    .wavefront_size: 64
  - .agpr_count:     0
    .args:
      - .offset:         0
        .size:           4
        .value_kind:     by_value
      - .offset:         4
        .size:           4
        .value_kind:     by_value
      - .offset:         8
        .size:           4
        .value_kind:     by_value
      - .offset:         12
        .size:           4
        .value_kind:     by_value
      - .offset:         16
        .size:           4
        .value_kind:     by_value
      - .offset:         24
        .size:           8
        .value_kind:     by_value
      - .address_space:  global
        .offset:         32
        .size:           8
        .value_kind:     global_buffer
      - .offset:         40
        .size:           8
        .value_kind:     by_value
      - .offset:         48
        .size:           8
        .value_kind:     by_value
      - .address_space:  global
        .offset:         56
        .size:           8
        .value_kind:     global_buffer
      - .offset:         64
        .size:           8
        .value_kind:     by_value
      - .offset:         72
        .size:           8
        .value_kind:     by_value
      - .address_space:  global
        .offset:         80
        .size:           8
        .value_kind:     global_buffer
      - .offset:         88
        .size:           8
        .value_kind:     by_value
      - .offset:         96
        .size:           8
        .value_kind:     by_value
      - .offset:         104
        .size:           4
        .value_kind:     by_value
    .group_segment_fixed_size: 8192
    .kernarg_segment_align: 8
    .kernarg_segment_size: 108
    .language:       OpenCL C
    .language_version:
      - 2
      - 0
    .max_flat_workgroup_size: 1024
    .name:           _ZL23rocblas_trmm_lNx_kernelILi32EffKffEv13rocblas_fill_17rocblas_diagonal_iiT1_lPT2_llS5_llPT3_lli
    .private_segment_fixed_size: 0
    .sgpr_count:     33
    .sgpr_spill_count: 0
    .symbol:         _ZL23rocblas_trmm_lNx_kernelILi32EffKffEv13rocblas_fill_17rocblas_diagonal_iiT1_lPT2_llS5_llPT3_lli.kd
    .uniform_work_group_size: 1
    .uses_dynamic_stack: false
    .vgpr_count:     25
    .vgpr_spill_count: 0
    .wavefront_size: 64
  - .agpr_count:     0
    .args:
      - .offset:         0
        .size:           4
        .value_kind:     by_value
      - .offset:         4
        .size:           4
        .value_kind:     by_value
      - .offset:         8
        .size:           4
        .value_kind:     by_value
      - .offset:         12
        .size:           4
        .value_kind:     by_value
      - .address_space:  global
        .offset:         16
        .size:           8
        .value_kind:     global_buffer
      - .offset:         24
        .size:           8
        .value_kind:     by_value
      - .address_space:  global
        .offset:         32
        .size:           8
        .value_kind:     global_buffer
      - .offset:         40
        .size:           8
        .value_kind:     by_value
      - .offset:         48
        .size:           8
        .value_kind:     by_value
      - .address_space:  global
        .offset:         56
        .size:           8
        .value_kind:     global_buffer
      - .offset:         64
        .size:           8
        .value_kind:     by_value
      - .offset:         72
        .size:           8
        .value_kind:     by_value
      - .address_space:  global
        .offset:         80
        .size:           8
        .value_kind:     global_buffer
      - .offset:         88
        .size:           8
        .value_kind:     by_value
      - .offset:         96
        .size:           8
        .value_kind:     by_value
      - .offset:         104
        .size:           4
        .value_kind:     by_value
    .group_segment_fixed_size: 8192
    .kernarg_segment_align: 8
    .kernarg_segment_size: 108
    .language:       OpenCL C
    .language_version:
      - 2
      - 0
    .max_flat_workgroup_size: 1024
    .name:           _ZL23rocblas_trmm_lTx_kernelILi32ELb0EfPKfS0_fEv13rocblas_fill_17rocblas_diagonal_iiT2_lPT3_llS6_llPT4_lli
    .private_segment_fixed_size: 0
    .sgpr_count:     29
    .sgpr_spill_count: 0
    .symbol:         _ZL23rocblas_trmm_lTx_kernelILi32ELb0EfPKfS0_fEv13rocblas_fill_17rocblas_diagonal_iiT2_lPT3_llS6_llPT4_lli.kd
    .uniform_work_group_size: 1
    .uses_dynamic_stack: false
    .vgpr_count:     25
    .vgpr_spill_count: 0
    .wavefront_size: 64
  - .agpr_count:     0
    .args:
      - .offset:         0
        .size:           4
        .value_kind:     by_value
      - .offset:         4
        .size:           4
        .value_kind:     by_value
      - .offset:         8
        .size:           4
        .value_kind:     by_value
      - .offset:         12
        .size:           4
        .value_kind:     by_value
      - .offset:         16
        .size:           4
        .value_kind:     by_value
      - .offset:         24
        .size:           8
        .value_kind:     by_value
      - .address_space:  global
        .offset:         32
        .size:           8
        .value_kind:     global_buffer
      - .offset:         40
        .size:           8
        .value_kind:     by_value
      - .offset:         48
        .size:           8
        .value_kind:     by_value
      - .address_space:  global
        .offset:         56
        .size:           8
        .value_kind:     global_buffer
      - .offset:         64
        .size:           8
        .value_kind:     by_value
      - .offset:         72
        .size:           8
        .value_kind:     by_value
      - .address_space:  global
        .offset:         80
        .size:           8
        .value_kind:     global_buffer
      - .offset:         88
        .size:           8
        .value_kind:     by_value
      - .offset:         96
        .size:           8
        .value_kind:     by_value
      - .offset:         104
        .size:           4
        .value_kind:     by_value
    .group_segment_fixed_size: 8192
    .kernarg_segment_align: 8
    .kernarg_segment_size: 108
    .language:       OpenCL C
    .language_version:
      - 2
      - 0
    .max_flat_workgroup_size: 1024
    .name:           _ZL23rocblas_trmm_lTx_kernelILi32ELb0EffKffEv13rocblas_fill_17rocblas_diagonal_iiT2_lPT3_llS5_llPT4_lli
    .private_segment_fixed_size: 0
    .sgpr_count:     33
    .sgpr_spill_count: 0
    .symbol:         _ZL23rocblas_trmm_lTx_kernelILi32ELb0EffKffEv13rocblas_fill_17rocblas_diagonal_iiT2_lPT3_llS5_llPT4_lli.kd
    .uniform_work_group_size: 1
    .uses_dynamic_stack: false
    .vgpr_count:     25
    .vgpr_spill_count: 0
    .wavefront_size: 64
  - .agpr_count:     0
    .args:
      - .offset:         0
        .size:           4
        .value_kind:     by_value
      - .offset:         4
        .size:           4
        .value_kind:     by_value
      - .offset:         8
        .size:           4
        .value_kind:     by_value
      - .offset:         12
        .size:           4
        .value_kind:     by_value
      - .address_space:  global
        .offset:         16
        .size:           8
        .value_kind:     global_buffer
      - .offset:         24
        .size:           8
        .value_kind:     by_value
      - .address_space:  global
        .offset:         32
        .size:           8
        .value_kind:     global_buffer
      - .offset:         40
        .size:           8
        .value_kind:     by_value
      - .offset:         48
        .size:           8
        .value_kind:     by_value
      - .address_space:  global
        .offset:         56
        .size:           8
        .value_kind:     global_buffer
      - .offset:         64
        .size:           8
        .value_kind:     by_value
      - .offset:         72
        .size:           8
        .value_kind:     by_value
      - .address_space:  global
        .offset:         80
        .size:           8
        .value_kind:     global_buffer
      - .offset:         88
        .size:           8
        .value_kind:     by_value
      - .offset:         96
        .size:           8
        .value_kind:     by_value
      - .offset:         104
        .size:           4
        .value_kind:     by_value
    .group_segment_fixed_size: 8192
    .kernarg_segment_align: 8
    .kernarg_segment_size: 108
    .language:       OpenCL C
    .language_version:
      - 2
      - 0
    .max_flat_workgroup_size: 1024
    .name:           _ZL23rocblas_trmm_lTx_kernelILi32ELb1EfPKfS0_fEv13rocblas_fill_17rocblas_diagonal_iiT2_lPT3_llS6_llPT4_lli
    .private_segment_fixed_size: 0
    .sgpr_count:     29
    .sgpr_spill_count: 0
    .symbol:         _ZL23rocblas_trmm_lTx_kernelILi32ELb1EfPKfS0_fEv13rocblas_fill_17rocblas_diagonal_iiT2_lPT3_llS6_llPT4_lli.kd
    .uniform_work_group_size: 1
    .uses_dynamic_stack: false
    .vgpr_count:     25
    .vgpr_spill_count: 0
    .wavefront_size: 64
  - .agpr_count:     0
    .args:
      - .offset:         0
        .size:           4
        .value_kind:     by_value
      - .offset:         4
        .size:           4
        .value_kind:     by_value
      - .offset:         8
        .size:           4
        .value_kind:     by_value
      - .offset:         12
        .size:           4
        .value_kind:     by_value
      - .offset:         16
        .size:           4
        .value_kind:     by_value
      - .offset:         24
        .size:           8
        .value_kind:     by_value
      - .address_space:  global
        .offset:         32
        .size:           8
        .value_kind:     global_buffer
      - .offset:         40
        .size:           8
        .value_kind:     by_value
      - .offset:         48
        .size:           8
        .value_kind:     by_value
      - .address_space:  global
        .offset:         56
        .size:           8
        .value_kind:     global_buffer
      - .offset:         64
        .size:           8
        .value_kind:     by_value
      - .offset:         72
        .size:           8
        .value_kind:     by_value
      - .address_space:  global
        .offset:         80
        .size:           8
        .value_kind:     global_buffer
      - .offset:         88
        .size:           8
        .value_kind:     by_value
      - .offset:         96
        .size:           8
        .value_kind:     by_value
      - .offset:         104
        .size:           4
        .value_kind:     by_value
    .group_segment_fixed_size: 8192
    .kernarg_segment_align: 8
    .kernarg_segment_size: 108
    .language:       OpenCL C
    .language_version:
      - 2
      - 0
    .max_flat_workgroup_size: 1024
    .name:           _ZL23rocblas_trmm_lTx_kernelILi32ELb1EffKffEv13rocblas_fill_17rocblas_diagonal_iiT2_lPT3_llS5_llPT4_lli
    .private_segment_fixed_size: 0
    .sgpr_count:     33
    .sgpr_spill_count: 0
    .symbol:         _ZL23rocblas_trmm_lTx_kernelILi32ELb1EffKffEv13rocblas_fill_17rocblas_diagonal_iiT2_lPT3_llS5_llPT4_lli.kd
    .uniform_work_group_size: 1
    .uses_dynamic_stack: false
    .vgpr_count:     25
    .vgpr_spill_count: 0
    .wavefront_size: 64
  - .agpr_count:     0
    .args:
      - .offset:         0
        .size:           4
        .value_kind:     by_value
      - .offset:         4
        .size:           4
        .value_kind:     by_value
      - .offset:         8
        .size:           4
        .value_kind:     by_value
      - .offset:         12
        .size:           4
        .value_kind:     by_value
      - .address_space:  global
        .offset:         16
        .size:           8
        .value_kind:     global_buffer
      - .offset:         24
        .size:           8
        .value_kind:     by_value
      - .address_space:  global
        .offset:         32
        .size:           8
        .value_kind:     global_buffer
      - .offset:         40
        .size:           8
        .value_kind:     by_value
      - .offset:         48
        .size:           8
        .value_kind:     by_value
      - .address_space:  global
        .offset:         56
        .size:           8
        .value_kind:     global_buffer
      - .offset:         64
        .size:           8
        .value_kind:     by_value
      - .offset:         72
        .size:           8
        .value_kind:     by_value
      - .address_space:  global
        .offset:         80
        .size:           8
        .value_kind:     global_buffer
      - .offset:         88
        .size:           8
        .value_kind:     by_value
      - .offset:         96
        .size:           8
        .value_kind:     by_value
      - .offset:         104
        .size:           4
        .value_kind:     by_value
    .group_segment_fixed_size: 8192
    .kernarg_segment_align: 8
    .kernarg_segment_size: 108
    .language:       OpenCL C
    .language_version:
      - 2
      - 0
    .max_flat_workgroup_size: 1024
    .name:           _ZL23rocblas_trmm_rNx_kernelILi32EfPKfS0_fEv13rocblas_fill_17rocblas_diagonal_iiT1_lPT2_llS6_llPT3_lli
    .private_segment_fixed_size: 0
    .sgpr_count:     29
    .sgpr_spill_count: 0
    .symbol:         _ZL23rocblas_trmm_rNx_kernelILi32EfPKfS0_fEv13rocblas_fill_17rocblas_diagonal_iiT1_lPT2_llS6_llPT3_lli.kd
    .uniform_work_group_size: 1
    .uses_dynamic_stack: false
    .vgpr_count:     26
    .vgpr_spill_count: 0
    .wavefront_size: 64
  - .agpr_count:     0
    .args:
      - .offset:         0
        .size:           4
        .value_kind:     by_value
      - .offset:         4
        .size:           4
        .value_kind:     by_value
      - .offset:         8
        .size:           4
        .value_kind:     by_value
      - .offset:         12
        .size:           4
        .value_kind:     by_value
      - .offset:         16
        .size:           4
        .value_kind:     by_value
      - .offset:         24
        .size:           8
        .value_kind:     by_value
      - .address_space:  global
        .offset:         32
        .size:           8
        .value_kind:     global_buffer
      - .offset:         40
        .size:           8
        .value_kind:     by_value
      - .offset:         48
        .size:           8
        .value_kind:     by_value
      - .address_space:  global
        .offset:         56
        .size:           8
        .value_kind:     global_buffer
      - .offset:         64
        .size:           8
        .value_kind:     by_value
      - .offset:         72
        .size:           8
        .value_kind:     by_value
      - .address_space:  global
        .offset:         80
        .size:           8
        .value_kind:     global_buffer
      - .offset:         88
        .size:           8
        .value_kind:     by_value
      - .offset:         96
        .size:           8
        .value_kind:     by_value
      - .offset:         104
        .size:           4
        .value_kind:     by_value
    .group_segment_fixed_size: 8192
    .kernarg_segment_align: 8
    .kernarg_segment_size: 108
    .language:       OpenCL C
    .language_version:
      - 2
      - 0
    .max_flat_workgroup_size: 1024
    .name:           _ZL23rocblas_trmm_rNx_kernelILi32EffKffEv13rocblas_fill_17rocblas_diagonal_iiT1_lPT2_llS5_llPT3_lli
    .private_segment_fixed_size: 0
    .sgpr_count:     33
    .sgpr_spill_count: 0
    .symbol:         _ZL23rocblas_trmm_rNx_kernelILi32EffKffEv13rocblas_fill_17rocblas_diagonal_iiT1_lPT2_llS5_llPT3_lli.kd
    .uniform_work_group_size: 1
    .uses_dynamic_stack: false
    .vgpr_count:     26
    .vgpr_spill_count: 0
    .wavefront_size: 64
  - .agpr_count:     0
    .args:
      - .offset:         0
        .size:           4
        .value_kind:     by_value
      - .offset:         4
        .size:           4
        .value_kind:     by_value
      - .offset:         8
        .size:           4
        .value_kind:     by_value
      - .offset:         12
        .size:           4
        .value_kind:     by_value
      - .address_space:  global
        .offset:         16
        .size:           8
        .value_kind:     global_buffer
      - .offset:         24
        .size:           8
        .value_kind:     by_value
      - .address_space:  global
        .offset:         32
        .size:           8
        .value_kind:     global_buffer
      - .offset:         40
        .size:           8
        .value_kind:     by_value
      - .offset:         48
        .size:           8
        .value_kind:     by_value
      - .address_space:  global
        .offset:         56
        .size:           8
        .value_kind:     global_buffer
      - .offset:         64
        .size:           8
        .value_kind:     by_value
      - .offset:         72
        .size:           8
        .value_kind:     by_value
      - .address_space:  global
        .offset:         80
        .size:           8
        .value_kind:     global_buffer
      - .offset:         88
        .size:           8
        .value_kind:     by_value
      - .offset:         96
        .size:           8
        .value_kind:     by_value
      - .offset:         104
        .size:           4
        .value_kind:     by_value
    .group_segment_fixed_size: 8192
    .kernarg_segment_align: 8
    .kernarg_segment_size: 108
    .language:       OpenCL C
    .language_version:
      - 2
      - 0
    .max_flat_workgroup_size: 1024
    .name:           _ZL23rocblas_trmm_rTx_kernelILi32ELb0EfPKfS0_fEv13rocblas_fill_17rocblas_diagonal_iiT2_lPT3_llS6_llPT4_lli
    .private_segment_fixed_size: 0
    .sgpr_count:     29
    .sgpr_spill_count: 0
    .symbol:         _ZL23rocblas_trmm_rTx_kernelILi32ELb0EfPKfS0_fEv13rocblas_fill_17rocblas_diagonal_iiT2_lPT3_llS6_llPT4_lli.kd
    .uniform_work_group_size: 1
    .uses_dynamic_stack: false
    .vgpr_count:     18
    .vgpr_spill_count: 0
    .wavefront_size: 64
  - .agpr_count:     0
    .args:
      - .offset:         0
        .size:           4
        .value_kind:     by_value
      - .offset:         4
        .size:           4
        .value_kind:     by_value
      - .offset:         8
        .size:           4
        .value_kind:     by_value
      - .offset:         12
        .size:           4
        .value_kind:     by_value
      - .offset:         16
        .size:           4
        .value_kind:     by_value
      - .offset:         24
        .size:           8
        .value_kind:     by_value
      - .address_space:  global
        .offset:         32
        .size:           8
        .value_kind:     global_buffer
      - .offset:         40
        .size:           8
        .value_kind:     by_value
      - .offset:         48
        .size:           8
        .value_kind:     by_value
      - .address_space:  global
        .offset:         56
        .size:           8
        .value_kind:     global_buffer
      - .offset:         64
        .size:           8
        .value_kind:     by_value
      - .offset:         72
        .size:           8
        .value_kind:     by_value
      - .address_space:  global
        .offset:         80
        .size:           8
        .value_kind:     global_buffer
      - .offset:         88
        .size:           8
        .value_kind:     by_value
      - .offset:         96
        .size:           8
        .value_kind:     by_value
      - .offset:         104
        .size:           4
        .value_kind:     by_value
    .group_segment_fixed_size: 8192
    .kernarg_segment_align: 8
    .kernarg_segment_size: 108
    .language:       OpenCL C
    .language_version:
      - 2
      - 0
    .max_flat_workgroup_size: 1024
    .name:           _ZL23rocblas_trmm_rTx_kernelILi32ELb0EffKffEv13rocblas_fill_17rocblas_diagonal_iiT2_lPT3_llS5_llPT4_lli
    .private_segment_fixed_size: 0
    .sgpr_count:     33
    .sgpr_spill_count: 0
    .symbol:         _ZL23rocblas_trmm_rTx_kernelILi32ELb0EffKffEv13rocblas_fill_17rocblas_diagonal_iiT2_lPT3_llS5_llPT4_lli.kd
    .uniform_work_group_size: 1
    .uses_dynamic_stack: false
    .vgpr_count:     18
    .vgpr_spill_count: 0
    .wavefront_size: 64
  - .agpr_count:     0
    .args:
      - .offset:         0
        .size:           4
        .value_kind:     by_value
      - .offset:         4
        .size:           4
        .value_kind:     by_value
      - .offset:         8
        .size:           4
        .value_kind:     by_value
      - .offset:         12
        .size:           4
        .value_kind:     by_value
      - .address_space:  global
        .offset:         16
        .size:           8
        .value_kind:     global_buffer
      - .offset:         24
        .size:           8
        .value_kind:     by_value
      - .address_space:  global
        .offset:         32
        .size:           8
        .value_kind:     global_buffer
      - .offset:         40
        .size:           8
        .value_kind:     by_value
      - .offset:         48
        .size:           8
        .value_kind:     by_value
      - .address_space:  global
        .offset:         56
        .size:           8
        .value_kind:     global_buffer
      - .offset:         64
        .size:           8
        .value_kind:     by_value
      - .offset:         72
        .size:           8
        .value_kind:     by_value
      - .address_space:  global
        .offset:         80
        .size:           8
        .value_kind:     global_buffer
      - .offset:         88
        .size:           8
        .value_kind:     by_value
      - .offset:         96
        .size:           8
        .value_kind:     by_value
      - .offset:         104
        .size:           4
        .value_kind:     by_value
    .group_segment_fixed_size: 8192
    .kernarg_segment_align: 8
    .kernarg_segment_size: 108
    .language:       OpenCL C
    .language_version:
      - 2
      - 0
    .max_flat_workgroup_size: 1024
    .name:           _ZL23rocblas_trmm_rTx_kernelILi32ELb1EfPKfS0_fEv13rocblas_fill_17rocblas_diagonal_iiT2_lPT3_llS6_llPT4_lli
    .private_segment_fixed_size: 0
    .sgpr_count:     29
    .sgpr_spill_count: 0
    .symbol:         _ZL23rocblas_trmm_rTx_kernelILi32ELb1EfPKfS0_fEv13rocblas_fill_17rocblas_diagonal_iiT2_lPT3_llS6_llPT4_lli.kd
    .uniform_work_group_size: 1
    .uses_dynamic_stack: false
    .vgpr_count:     18
    .vgpr_spill_count: 0
    .wavefront_size: 64
  - .agpr_count:     0
    .args:
      - .offset:         0
        .size:           4
        .value_kind:     by_value
      - .offset:         4
        .size:           4
        .value_kind:     by_value
      - .offset:         8
        .size:           4
        .value_kind:     by_value
      - .offset:         12
        .size:           4
        .value_kind:     by_value
      - .offset:         16
        .size:           4
        .value_kind:     by_value
      - .offset:         24
        .size:           8
        .value_kind:     by_value
      - .address_space:  global
        .offset:         32
        .size:           8
        .value_kind:     global_buffer
      - .offset:         40
        .size:           8
        .value_kind:     by_value
      - .offset:         48
        .size:           8
        .value_kind:     by_value
      - .address_space:  global
        .offset:         56
        .size:           8
        .value_kind:     global_buffer
      - .offset:         64
        .size:           8
        .value_kind:     by_value
      - .offset:         72
        .size:           8
        .value_kind:     by_value
      - .address_space:  global
        .offset:         80
        .size:           8
        .value_kind:     global_buffer
      - .offset:         88
        .size:           8
        .value_kind:     by_value
      - .offset:         96
        .size:           8
        .value_kind:     by_value
      - .offset:         104
        .size:           4
        .value_kind:     by_value
    .group_segment_fixed_size: 8192
    .kernarg_segment_align: 8
    .kernarg_segment_size: 108
    .language:       OpenCL C
    .language_version:
      - 2
      - 0
    .max_flat_workgroup_size: 1024
    .name:           _ZL23rocblas_trmm_rTx_kernelILi32ELb1EffKffEv13rocblas_fill_17rocblas_diagonal_iiT2_lPT3_llS5_llPT4_lli
    .private_segment_fixed_size: 0
    .sgpr_count:     33
    .sgpr_spill_count: 0
    .symbol:         _ZL23rocblas_trmm_rTx_kernelILi32ELb1EffKffEv13rocblas_fill_17rocblas_diagonal_iiT2_lPT3_llS5_llPT4_lli.kd
    .uniform_work_group_size: 1
    .uses_dynamic_stack: false
    .vgpr_count:     18
    .vgpr_spill_count: 0
    .wavefront_size: 64
  - .agpr_count:     0
    .args:
      - .offset:         0
        .size:           4
        .value_kind:     by_value
      - .offset:         4
        .size:           4
        .value_kind:     by_value
      - .offset:         8
        .size:           4
        .value_kind:     by_value
      - .address_space:  global
        .offset:         16
        .size:           8
        .value_kind:     global_buffer
      - .offset:         24
        .size:           8
        .value_kind:     by_value
      - .address_space:  global
        .offset:         32
        .size:           8
        .value_kind:     global_buffer
      - .offset:         40
        .size:           8
        .value_kind:     by_value
      - .offset:         48
        .size:           8
        .value_kind:     by_value
      - .offset:         56
        .size:           8
        .value_kind:     by_value
      - .address_space:  global
        .offset:         64
        .size:           8
        .value_kind:     global_buffer
      - .offset:         72
        .size:           8
        .value_kind:     by_value
      - .offset:         80
        .size:           8
        .value_kind:     by_value
      - .offset:         88
        .size:           8
        .value_kind:     by_value
      - .address_space:  global
        .offset:         96
        .size:           8
        .value_kind:     global_buffer
      - .offset:         104
        .size:           8
        .value_kind:     by_value
      - .offset:         112
        .size:           8
        .value_kind:     by_value
      - .offset:         120
        .size:           8
        .value_kind:     by_value
      - .offset:         128
        .size:           4
        .value_kind:     by_value
      - .offset:         136
        .size:           4
        .value_kind:     hidden_block_count_x
      - .offset:         140
        .size:           4
        .value_kind:     hidden_block_count_y
      - .offset:         144
        .size:           4
        .value_kind:     hidden_block_count_z
      - .offset:         148
        .size:           2
        .value_kind:     hidden_group_size_x
      - .offset:         150
        .size:           2
        .value_kind:     hidden_group_size_y
      - .offset:         152
        .size:           2
        .value_kind:     hidden_group_size_z
      - .offset:         154
        .size:           2
        .value_kind:     hidden_remainder_x
      - .offset:         156
        .size:           2
        .value_kind:     hidden_remainder_y
      - .offset:         158
        .size:           2
        .value_kind:     hidden_remainder_z
      - .offset:         176
        .size:           8
        .value_kind:     hidden_global_offset_x
      - .offset:         184
        .size:           8
        .value_kind:     hidden_global_offset_y
      - .offset:         192
        .size:           8
        .value_kind:     hidden_global_offset_z
      - .offset:         200
        .size:           2
        .value_kind:     hidden_grid_dims
    .group_segment_fixed_size: 16384
    .kernarg_segment_align: 8
    .kernarg_segment_size: 392
    .language:       OpenCL C
    .language_version:
      - 2
      - 0
    .max_flat_workgroup_size: 1024
    .name:           _ZL30rocblas_trmm_outofplace_kernelIdLi32ELi2ELb1ELb0ELb0ELb0EPKdS0_dEv17rocblas_diagonal_iiT6_lPT7_lllS5_lllPT8_llli
    .private_segment_fixed_size: 0
    .sgpr_count:     59
    .sgpr_spill_count: 0
    .symbol:         _ZL30rocblas_trmm_outofplace_kernelIdLi32ELi2ELb1ELb0ELb0ELb0EPKdS0_dEv17rocblas_diagonal_iiT6_lPT7_lllS5_lllPT8_llli.kd
    .uniform_work_group_size: 1
    .uses_dynamic_stack: false
    .vgpr_count:     80
    .vgpr_spill_count: 0
    .wavefront_size: 64
  - .agpr_count:     0
    .args:
      - .offset:         0
        .size:           4
        .value_kind:     by_value
      - .offset:         4
        .size:           4
        .value_kind:     by_value
      - .offset:         8
        .size:           4
        .value_kind:     by_value
      - .offset:         16
        .size:           8
        .value_kind:     by_value
      - .offset:         24
        .size:           8
        .value_kind:     by_value
      - .address_space:  global
        .offset:         32
        .size:           8
        .value_kind:     global_buffer
      - .offset:         40
        .size:           8
        .value_kind:     by_value
      - .offset:         48
        .size:           8
        .value_kind:     by_value
      - .offset:         56
        .size:           8
        .value_kind:     by_value
      - .address_space:  global
        .offset:         64
        .size:           8
        .value_kind:     global_buffer
      - .offset:         72
        .size:           8
        .value_kind:     by_value
      - .offset:         80
        .size:           8
        .value_kind:     by_value
      - .offset:         88
        .size:           8
        .value_kind:     by_value
      - .address_space:  global
        .offset:         96
        .size:           8
        .value_kind:     global_buffer
      - .offset:         104
        .size:           8
        .value_kind:     by_value
      - .offset:         112
        .size:           8
        .value_kind:     by_value
      - .offset:         120
        .size:           8
        .value_kind:     by_value
      - .offset:         128
        .size:           4
        .value_kind:     by_value
      - .offset:         136
        .size:           4
        .value_kind:     hidden_block_count_x
      - .offset:         140
        .size:           4
        .value_kind:     hidden_block_count_y
      - .offset:         144
        .size:           4
        .value_kind:     hidden_block_count_z
      - .offset:         148
        .size:           2
        .value_kind:     hidden_group_size_x
      - .offset:         150
        .size:           2
        .value_kind:     hidden_group_size_y
      - .offset:         152
        .size:           2
        .value_kind:     hidden_group_size_z
      - .offset:         154
        .size:           2
        .value_kind:     hidden_remainder_x
      - .offset:         156
        .size:           2
        .value_kind:     hidden_remainder_y
      - .offset:         158
        .size:           2
        .value_kind:     hidden_remainder_z
      - .offset:         176
        .size:           8
        .value_kind:     hidden_global_offset_x
      - .offset:         184
        .size:           8
        .value_kind:     hidden_global_offset_y
      - .offset:         192
        .size:           8
        .value_kind:     hidden_global_offset_z
      - .offset:         200
        .size:           2
        .value_kind:     hidden_grid_dims
    .group_segment_fixed_size: 16384
    .kernarg_segment_align: 8
    .kernarg_segment_size: 392
    .language:       OpenCL C
    .language_version:
      - 2
      - 0
    .max_flat_workgroup_size: 1024
    .name:           _ZL30rocblas_trmm_outofplace_kernelIdLi32ELi2ELb1ELb0ELb0ELb0EdKddEv17rocblas_diagonal_iiT6_lPT7_lllS4_lllPT8_llli
    .private_segment_fixed_size: 0
    .sgpr_count:     59
    .sgpr_spill_count: 0
    .symbol:         _ZL30rocblas_trmm_outofplace_kernelIdLi32ELi2ELb1ELb0ELb0ELb0EdKddEv17rocblas_diagonal_iiT6_lPT7_lllS4_lllPT8_llli.kd
    .uniform_work_group_size: 1
    .uses_dynamic_stack: false
    .vgpr_count:     80
    .vgpr_spill_count: 0
    .wavefront_size: 64
  - .agpr_count:     0
    .args:
      - .offset:         0
        .size:           4
        .value_kind:     by_value
      - .offset:         4
        .size:           4
        .value_kind:     by_value
      - .offset:         8
        .size:           4
        .value_kind:     by_value
      - .address_space:  global
        .offset:         16
        .size:           8
        .value_kind:     global_buffer
      - .offset:         24
        .size:           8
        .value_kind:     by_value
      - .address_space:  global
        .offset:         32
        .size:           8
        .value_kind:     global_buffer
      - .offset:         40
        .size:           8
        .value_kind:     by_value
      - .offset:         48
        .size:           8
        .value_kind:     by_value
      - .offset:         56
        .size:           8
        .value_kind:     by_value
      - .address_space:  global
        .offset:         64
        .size:           8
        .value_kind:     global_buffer
      - .offset:         72
        .size:           8
        .value_kind:     by_value
      - .offset:         80
        .size:           8
        .value_kind:     by_value
      - .offset:         88
        .size:           8
        .value_kind:     by_value
      - .address_space:  global
        .offset:         96
        .size:           8
        .value_kind:     global_buffer
      - .offset:         104
        .size:           8
        .value_kind:     by_value
      - .offset:         112
        .size:           8
        .value_kind:     by_value
      - .offset:         120
        .size:           8
        .value_kind:     by_value
      - .offset:         128
        .size:           4
        .value_kind:     by_value
      - .offset:         136
        .size:           4
        .value_kind:     hidden_block_count_x
      - .offset:         140
        .size:           4
        .value_kind:     hidden_block_count_y
      - .offset:         144
        .size:           4
        .value_kind:     hidden_block_count_z
      - .offset:         148
        .size:           2
        .value_kind:     hidden_group_size_x
      - .offset:         150
        .size:           2
        .value_kind:     hidden_group_size_y
      - .offset:         152
        .size:           2
        .value_kind:     hidden_group_size_z
      - .offset:         154
        .size:           2
        .value_kind:     hidden_remainder_x
      - .offset:         156
        .size:           2
        .value_kind:     hidden_remainder_y
      - .offset:         158
        .size:           2
        .value_kind:     hidden_remainder_z
      - .offset:         176
        .size:           8
        .value_kind:     hidden_global_offset_x
      - .offset:         184
        .size:           8
        .value_kind:     hidden_global_offset_y
      - .offset:         192
        .size:           8
        .value_kind:     hidden_global_offset_z
      - .offset:         200
        .size:           2
        .value_kind:     hidden_grid_dims
    .group_segment_fixed_size: 16384
    .kernarg_segment_align: 8
    .kernarg_segment_size: 392
    .language:       OpenCL C
    .language_version:
      - 2
      - 0
    .max_flat_workgroup_size: 1024
    .name:           _ZL30rocblas_trmm_outofplace_kernelIdLi32ELi2ELb1ELb1ELb0ELb0EPKdS0_dEv17rocblas_diagonal_iiT6_lPT7_lllS5_lllPT8_llli
    .private_segment_fixed_size: 0
    .sgpr_count:     61
    .sgpr_spill_count: 0
    .symbol:         _ZL30rocblas_trmm_outofplace_kernelIdLi32ELi2ELb1ELb1ELb0ELb0EPKdS0_dEv17rocblas_diagonal_iiT6_lPT7_lllS5_lllPT8_llli.kd
    .uniform_work_group_size: 1
    .uses_dynamic_stack: false
    .vgpr_count:     80
    .vgpr_spill_count: 0
    .wavefront_size: 64
  - .agpr_count:     0
    .args:
      - .offset:         0
        .size:           4
        .value_kind:     by_value
      - .offset:         4
        .size:           4
        .value_kind:     by_value
      - .offset:         8
        .size:           4
        .value_kind:     by_value
      - .offset:         16
        .size:           8
        .value_kind:     by_value
      - .offset:         24
        .size:           8
        .value_kind:     by_value
      - .address_space:  global
        .offset:         32
        .size:           8
        .value_kind:     global_buffer
      - .offset:         40
        .size:           8
        .value_kind:     by_value
      - .offset:         48
        .size:           8
        .value_kind:     by_value
      - .offset:         56
        .size:           8
        .value_kind:     by_value
      - .address_space:  global
        .offset:         64
        .size:           8
        .value_kind:     global_buffer
      - .offset:         72
        .size:           8
        .value_kind:     by_value
      - .offset:         80
        .size:           8
        .value_kind:     by_value
      - .offset:         88
        .size:           8
        .value_kind:     by_value
      - .address_space:  global
        .offset:         96
        .size:           8
        .value_kind:     global_buffer
      - .offset:         104
        .size:           8
        .value_kind:     by_value
      - .offset:         112
        .size:           8
        .value_kind:     by_value
      - .offset:         120
        .size:           8
        .value_kind:     by_value
      - .offset:         128
        .size:           4
        .value_kind:     by_value
      - .offset:         136
        .size:           4
        .value_kind:     hidden_block_count_x
      - .offset:         140
        .size:           4
        .value_kind:     hidden_block_count_y
      - .offset:         144
        .size:           4
        .value_kind:     hidden_block_count_z
      - .offset:         148
        .size:           2
        .value_kind:     hidden_group_size_x
      - .offset:         150
        .size:           2
        .value_kind:     hidden_group_size_y
      - .offset:         152
        .size:           2
        .value_kind:     hidden_group_size_z
      - .offset:         154
        .size:           2
        .value_kind:     hidden_remainder_x
      - .offset:         156
        .size:           2
        .value_kind:     hidden_remainder_y
      - .offset:         158
        .size:           2
        .value_kind:     hidden_remainder_z
      - .offset:         176
        .size:           8
        .value_kind:     hidden_global_offset_x
      - .offset:         184
        .size:           8
        .value_kind:     hidden_global_offset_y
      - .offset:         192
        .size:           8
        .value_kind:     hidden_global_offset_z
      - .offset:         200
        .size:           2
        .value_kind:     hidden_grid_dims
    .group_segment_fixed_size: 16384
    .kernarg_segment_align: 8
    .kernarg_segment_size: 392
    .language:       OpenCL C
    .language_version:
      - 2
      - 0
    .max_flat_workgroup_size: 1024
    .name:           _ZL30rocblas_trmm_outofplace_kernelIdLi32ELi2ELb1ELb1ELb0ELb0EdKddEv17rocblas_diagonal_iiT6_lPT7_lllS4_lllPT8_llli
    .private_segment_fixed_size: 0
    .sgpr_count:     61
    .sgpr_spill_count: 0
    .symbol:         _ZL30rocblas_trmm_outofplace_kernelIdLi32ELi2ELb1ELb1ELb0ELb0EdKddEv17rocblas_diagonal_iiT6_lPT7_lllS4_lllPT8_llli.kd
    .uniform_work_group_size: 1
    .uses_dynamic_stack: false
    .vgpr_count:     80
    .vgpr_spill_count: 0
    .wavefront_size: 64
  - .agpr_count:     0
    .args:
      - .offset:         0
        .size:           4
        .value_kind:     by_value
      - .offset:         4
        .size:           4
        .value_kind:     by_value
      - .offset:         8
        .size:           4
        .value_kind:     by_value
      - .address_space:  global
        .offset:         16
        .size:           8
        .value_kind:     global_buffer
      - .offset:         24
        .size:           8
        .value_kind:     by_value
      - .address_space:  global
        .offset:         32
        .size:           8
        .value_kind:     global_buffer
      - .offset:         40
        .size:           8
        .value_kind:     by_value
      - .offset:         48
        .size:           8
        .value_kind:     by_value
      - .offset:         56
        .size:           8
        .value_kind:     by_value
      - .address_space:  global
        .offset:         64
        .size:           8
        .value_kind:     global_buffer
      - .offset:         72
        .size:           8
        .value_kind:     by_value
      - .offset:         80
        .size:           8
        .value_kind:     by_value
      - .offset:         88
        .size:           8
        .value_kind:     by_value
      - .address_space:  global
        .offset:         96
        .size:           8
        .value_kind:     global_buffer
      - .offset:         104
        .size:           8
        .value_kind:     by_value
      - .offset:         112
        .size:           8
        .value_kind:     by_value
      - .offset:         120
        .size:           8
        .value_kind:     by_value
      - .offset:         128
        .size:           4
        .value_kind:     by_value
      - .offset:         136
        .size:           4
        .value_kind:     hidden_block_count_x
      - .offset:         140
        .size:           4
        .value_kind:     hidden_block_count_y
      - .offset:         144
        .size:           4
        .value_kind:     hidden_block_count_z
      - .offset:         148
        .size:           2
        .value_kind:     hidden_group_size_x
      - .offset:         150
        .size:           2
        .value_kind:     hidden_group_size_y
      - .offset:         152
        .size:           2
        .value_kind:     hidden_group_size_z
      - .offset:         154
        .size:           2
        .value_kind:     hidden_remainder_x
      - .offset:         156
        .size:           2
        .value_kind:     hidden_remainder_y
      - .offset:         158
        .size:           2
        .value_kind:     hidden_remainder_z
      - .offset:         176
        .size:           8
        .value_kind:     hidden_global_offset_x
      - .offset:         184
        .size:           8
        .value_kind:     hidden_global_offset_y
      - .offset:         192
        .size:           8
        .value_kind:     hidden_global_offset_z
      - .offset:         200
        .size:           2
        .value_kind:     hidden_grid_dims
    .group_segment_fixed_size: 16384
    .kernarg_segment_align: 8
    .kernarg_segment_size: 392
    .language:       OpenCL C
    .language_version:
      - 2
      - 0
    .max_flat_workgroup_size: 1024
    .name:           _ZL30rocblas_trmm_outofplace_kernelIdLi32ELi2ELb1ELb0ELb1ELb0EPKdS0_dEv17rocblas_diagonal_iiT6_lPT7_lllS5_lllPT8_llli
    .private_segment_fixed_size: 0
    .sgpr_count:     58
    .sgpr_spill_count: 0
    .symbol:         _ZL30rocblas_trmm_outofplace_kernelIdLi32ELi2ELb1ELb0ELb1ELb0EPKdS0_dEv17rocblas_diagonal_iiT6_lPT7_lllS5_lllPT8_llli.kd
    .uniform_work_group_size: 1
    .uses_dynamic_stack: false
    .vgpr_count:     78
    .vgpr_spill_count: 0
    .wavefront_size: 64
  - .agpr_count:     0
    .args:
      - .offset:         0
        .size:           4
        .value_kind:     by_value
      - .offset:         4
        .size:           4
        .value_kind:     by_value
      - .offset:         8
        .size:           4
        .value_kind:     by_value
      - .offset:         16
        .size:           8
        .value_kind:     by_value
      - .offset:         24
        .size:           8
        .value_kind:     by_value
      - .address_space:  global
        .offset:         32
        .size:           8
        .value_kind:     global_buffer
      - .offset:         40
        .size:           8
        .value_kind:     by_value
      - .offset:         48
        .size:           8
        .value_kind:     by_value
      - .offset:         56
        .size:           8
        .value_kind:     by_value
      - .address_space:  global
        .offset:         64
        .size:           8
        .value_kind:     global_buffer
      - .offset:         72
        .size:           8
        .value_kind:     by_value
      - .offset:         80
        .size:           8
        .value_kind:     by_value
      - .offset:         88
        .size:           8
        .value_kind:     by_value
      - .address_space:  global
        .offset:         96
        .size:           8
        .value_kind:     global_buffer
      - .offset:         104
        .size:           8
        .value_kind:     by_value
      - .offset:         112
        .size:           8
        .value_kind:     by_value
      - .offset:         120
        .size:           8
        .value_kind:     by_value
      - .offset:         128
        .size:           4
        .value_kind:     by_value
      - .offset:         136
        .size:           4
        .value_kind:     hidden_block_count_x
      - .offset:         140
        .size:           4
        .value_kind:     hidden_block_count_y
      - .offset:         144
        .size:           4
        .value_kind:     hidden_block_count_z
      - .offset:         148
        .size:           2
        .value_kind:     hidden_group_size_x
      - .offset:         150
        .size:           2
        .value_kind:     hidden_group_size_y
      - .offset:         152
        .size:           2
        .value_kind:     hidden_group_size_z
      - .offset:         154
        .size:           2
        .value_kind:     hidden_remainder_x
      - .offset:         156
        .size:           2
        .value_kind:     hidden_remainder_y
      - .offset:         158
        .size:           2
        .value_kind:     hidden_remainder_z
      - .offset:         176
        .size:           8
        .value_kind:     hidden_global_offset_x
      - .offset:         184
        .size:           8
        .value_kind:     hidden_global_offset_y
      - .offset:         192
        .size:           8
        .value_kind:     hidden_global_offset_z
      - .offset:         200
        .size:           2
        .value_kind:     hidden_grid_dims
    .group_segment_fixed_size: 16384
    .kernarg_segment_align: 8
    .kernarg_segment_size: 392
    .language:       OpenCL C
    .language_version:
      - 2
      - 0
    .max_flat_workgroup_size: 1024
    .name:           _ZL30rocblas_trmm_outofplace_kernelIdLi32ELi2ELb1ELb0ELb1ELb0EdKddEv17rocblas_diagonal_iiT6_lPT7_lllS4_lllPT8_llli
    .private_segment_fixed_size: 0
    .sgpr_count:     58
    .sgpr_spill_count: 0
    .symbol:         _ZL30rocblas_trmm_outofplace_kernelIdLi32ELi2ELb1ELb0ELb1ELb0EdKddEv17rocblas_diagonal_iiT6_lPT7_lllS4_lllPT8_llli.kd
    .uniform_work_group_size: 1
    .uses_dynamic_stack: false
    .vgpr_count:     78
    .vgpr_spill_count: 0
    .wavefront_size: 64
  - .agpr_count:     0
    .args:
      - .offset:         0
        .size:           4
        .value_kind:     by_value
      - .offset:         4
        .size:           4
        .value_kind:     by_value
      - .offset:         8
        .size:           4
        .value_kind:     by_value
      - .address_space:  global
        .offset:         16
        .size:           8
        .value_kind:     global_buffer
      - .offset:         24
        .size:           8
        .value_kind:     by_value
      - .address_space:  global
        .offset:         32
        .size:           8
        .value_kind:     global_buffer
      - .offset:         40
        .size:           8
        .value_kind:     by_value
      - .offset:         48
        .size:           8
        .value_kind:     by_value
      - .offset:         56
        .size:           8
        .value_kind:     by_value
      - .address_space:  global
        .offset:         64
        .size:           8
        .value_kind:     global_buffer
      - .offset:         72
        .size:           8
        .value_kind:     by_value
      - .offset:         80
        .size:           8
        .value_kind:     by_value
      - .offset:         88
        .size:           8
        .value_kind:     by_value
      - .address_space:  global
        .offset:         96
        .size:           8
        .value_kind:     global_buffer
      - .offset:         104
        .size:           8
        .value_kind:     by_value
      - .offset:         112
        .size:           8
        .value_kind:     by_value
      - .offset:         120
        .size:           8
        .value_kind:     by_value
      - .offset:         128
        .size:           4
        .value_kind:     by_value
      - .offset:         136
        .size:           4
        .value_kind:     hidden_block_count_x
      - .offset:         140
        .size:           4
        .value_kind:     hidden_block_count_y
      - .offset:         144
        .size:           4
        .value_kind:     hidden_block_count_z
      - .offset:         148
        .size:           2
        .value_kind:     hidden_group_size_x
      - .offset:         150
        .size:           2
        .value_kind:     hidden_group_size_y
      - .offset:         152
        .size:           2
        .value_kind:     hidden_group_size_z
      - .offset:         154
        .size:           2
        .value_kind:     hidden_remainder_x
      - .offset:         156
        .size:           2
        .value_kind:     hidden_remainder_y
      - .offset:         158
        .size:           2
        .value_kind:     hidden_remainder_z
      - .offset:         176
        .size:           8
        .value_kind:     hidden_global_offset_x
      - .offset:         184
        .size:           8
        .value_kind:     hidden_global_offset_y
      - .offset:         192
        .size:           8
        .value_kind:     hidden_global_offset_z
      - .offset:         200
        .size:           2
        .value_kind:     hidden_grid_dims
    .group_segment_fixed_size: 16384
    .kernarg_segment_align: 8
    .kernarg_segment_size: 392
    .language:       OpenCL C
    .language_version:
      - 2
      - 0
    .max_flat_workgroup_size: 1024
    .name:           _ZL30rocblas_trmm_outofplace_kernelIdLi32ELi2ELb1ELb1ELb1ELb0EPKdS0_dEv17rocblas_diagonal_iiT6_lPT7_lllS5_lllPT8_llli
    .private_segment_fixed_size: 0
    .sgpr_count:     58
    .sgpr_spill_count: 0
    .symbol:         _ZL30rocblas_trmm_outofplace_kernelIdLi32ELi2ELb1ELb1ELb1ELb0EPKdS0_dEv17rocblas_diagonal_iiT6_lPT7_lllS5_lllPT8_llli.kd
    .uniform_work_group_size: 1
    .uses_dynamic_stack: false
    .vgpr_count:     76
    .vgpr_spill_count: 0
    .wavefront_size: 64
  - .agpr_count:     0
    .args:
      - .offset:         0
        .size:           4
        .value_kind:     by_value
      - .offset:         4
        .size:           4
        .value_kind:     by_value
      - .offset:         8
        .size:           4
        .value_kind:     by_value
      - .offset:         16
        .size:           8
        .value_kind:     by_value
      - .offset:         24
        .size:           8
        .value_kind:     by_value
      - .address_space:  global
        .offset:         32
        .size:           8
        .value_kind:     global_buffer
      - .offset:         40
        .size:           8
        .value_kind:     by_value
      - .offset:         48
        .size:           8
        .value_kind:     by_value
      - .offset:         56
        .size:           8
        .value_kind:     by_value
      - .address_space:  global
        .offset:         64
        .size:           8
        .value_kind:     global_buffer
      - .offset:         72
        .size:           8
        .value_kind:     by_value
      - .offset:         80
        .size:           8
        .value_kind:     by_value
      - .offset:         88
        .size:           8
        .value_kind:     by_value
      - .address_space:  global
        .offset:         96
        .size:           8
        .value_kind:     global_buffer
      - .offset:         104
        .size:           8
        .value_kind:     by_value
      - .offset:         112
        .size:           8
        .value_kind:     by_value
      - .offset:         120
        .size:           8
        .value_kind:     by_value
      - .offset:         128
        .size:           4
        .value_kind:     by_value
      - .offset:         136
        .size:           4
        .value_kind:     hidden_block_count_x
      - .offset:         140
        .size:           4
        .value_kind:     hidden_block_count_y
      - .offset:         144
        .size:           4
        .value_kind:     hidden_block_count_z
      - .offset:         148
        .size:           2
        .value_kind:     hidden_group_size_x
      - .offset:         150
        .size:           2
        .value_kind:     hidden_group_size_y
      - .offset:         152
        .size:           2
        .value_kind:     hidden_group_size_z
      - .offset:         154
        .size:           2
        .value_kind:     hidden_remainder_x
      - .offset:         156
        .size:           2
        .value_kind:     hidden_remainder_y
      - .offset:         158
        .size:           2
        .value_kind:     hidden_remainder_z
      - .offset:         176
        .size:           8
        .value_kind:     hidden_global_offset_x
      - .offset:         184
        .size:           8
        .value_kind:     hidden_global_offset_y
      - .offset:         192
        .size:           8
        .value_kind:     hidden_global_offset_z
      - .offset:         200
        .size:           2
        .value_kind:     hidden_grid_dims
    .group_segment_fixed_size: 16384
    .kernarg_segment_align: 8
    .kernarg_segment_size: 392
    .language:       OpenCL C
    .language_version:
      - 2
      - 0
    .max_flat_workgroup_size: 1024
    .name:           _ZL30rocblas_trmm_outofplace_kernelIdLi32ELi2ELb1ELb1ELb1ELb0EdKddEv17rocblas_diagonal_iiT6_lPT7_lllS4_lllPT8_llli
    .private_segment_fixed_size: 0
    .sgpr_count:     58
    .sgpr_spill_count: 0
    .symbol:         _ZL30rocblas_trmm_outofplace_kernelIdLi32ELi2ELb1ELb1ELb1ELb0EdKddEv17rocblas_diagonal_iiT6_lPT7_lllS4_lllPT8_llli.kd
    .uniform_work_group_size: 1
    .uses_dynamic_stack: false
    .vgpr_count:     76
    .vgpr_spill_count: 0
    .wavefront_size: 64
  - .agpr_count:     0
    .args:
      - .offset:         0
        .size:           4
        .value_kind:     by_value
      - .offset:         4
        .size:           4
        .value_kind:     by_value
      - .offset:         8
        .size:           4
        .value_kind:     by_value
      - .address_space:  global
        .offset:         16
        .size:           8
        .value_kind:     global_buffer
      - .offset:         24
        .size:           8
        .value_kind:     by_value
      - .address_space:  global
        .offset:         32
        .size:           8
        .value_kind:     global_buffer
      - .offset:         40
        .size:           8
        .value_kind:     by_value
      - .offset:         48
        .size:           8
        .value_kind:     by_value
      - .offset:         56
        .size:           8
        .value_kind:     by_value
      - .address_space:  global
        .offset:         64
        .size:           8
        .value_kind:     global_buffer
      - .offset:         72
        .size:           8
        .value_kind:     by_value
      - .offset:         80
        .size:           8
        .value_kind:     by_value
      - .offset:         88
        .size:           8
        .value_kind:     by_value
      - .address_space:  global
        .offset:         96
        .size:           8
        .value_kind:     global_buffer
      - .offset:         104
        .size:           8
        .value_kind:     by_value
      - .offset:         112
        .size:           8
        .value_kind:     by_value
      - .offset:         120
        .size:           8
        .value_kind:     by_value
      - .offset:         128
        .size:           4
        .value_kind:     by_value
      - .offset:         136
        .size:           4
        .value_kind:     hidden_block_count_x
      - .offset:         140
        .size:           4
        .value_kind:     hidden_block_count_y
      - .offset:         144
        .size:           4
        .value_kind:     hidden_block_count_z
      - .offset:         148
        .size:           2
        .value_kind:     hidden_group_size_x
      - .offset:         150
        .size:           2
        .value_kind:     hidden_group_size_y
      - .offset:         152
        .size:           2
        .value_kind:     hidden_group_size_z
      - .offset:         154
        .size:           2
        .value_kind:     hidden_remainder_x
      - .offset:         156
        .size:           2
        .value_kind:     hidden_remainder_y
      - .offset:         158
        .size:           2
        .value_kind:     hidden_remainder_z
      - .offset:         176
        .size:           8
        .value_kind:     hidden_global_offset_x
      - .offset:         184
        .size:           8
        .value_kind:     hidden_global_offset_y
      - .offset:         192
        .size:           8
        .value_kind:     hidden_global_offset_z
      - .offset:         200
        .size:           2
        .value_kind:     hidden_grid_dims
    .group_segment_fixed_size: 16384
    .kernarg_segment_align: 8
    .kernarg_segment_size: 392
    .language:       OpenCL C
    .language_version:
      - 2
      - 0
    .max_flat_workgroup_size: 1024
    .name:           _ZL30rocblas_trmm_outofplace_kernelIdLi32ELi2ELb1ELb0ELb1ELb1EPKdS0_dEv17rocblas_diagonal_iiT6_lPT7_lllS5_lllPT8_llli
    .private_segment_fixed_size: 0
    .sgpr_count:     58
    .sgpr_spill_count: 0
    .symbol:         _ZL30rocblas_trmm_outofplace_kernelIdLi32ELi2ELb1ELb0ELb1ELb1EPKdS0_dEv17rocblas_diagonal_iiT6_lPT7_lllS5_lllPT8_llli.kd
    .uniform_work_group_size: 1
    .uses_dynamic_stack: false
    .vgpr_count:     78
    .vgpr_spill_count: 0
    .wavefront_size: 64
  - .agpr_count:     0
    .args:
      - .offset:         0
        .size:           4
        .value_kind:     by_value
      - .offset:         4
        .size:           4
        .value_kind:     by_value
      - .offset:         8
        .size:           4
        .value_kind:     by_value
      - .offset:         16
        .size:           8
        .value_kind:     by_value
      - .offset:         24
        .size:           8
        .value_kind:     by_value
      - .address_space:  global
        .offset:         32
        .size:           8
        .value_kind:     global_buffer
      - .offset:         40
        .size:           8
        .value_kind:     by_value
      - .offset:         48
        .size:           8
        .value_kind:     by_value
      - .offset:         56
        .size:           8
        .value_kind:     by_value
      - .address_space:  global
        .offset:         64
        .size:           8
        .value_kind:     global_buffer
      - .offset:         72
        .size:           8
        .value_kind:     by_value
      - .offset:         80
        .size:           8
        .value_kind:     by_value
      - .offset:         88
        .size:           8
        .value_kind:     by_value
      - .address_space:  global
        .offset:         96
        .size:           8
        .value_kind:     global_buffer
      - .offset:         104
        .size:           8
        .value_kind:     by_value
      - .offset:         112
        .size:           8
        .value_kind:     by_value
      - .offset:         120
        .size:           8
        .value_kind:     by_value
      - .offset:         128
        .size:           4
        .value_kind:     by_value
      - .offset:         136
        .size:           4
        .value_kind:     hidden_block_count_x
      - .offset:         140
        .size:           4
        .value_kind:     hidden_block_count_y
      - .offset:         144
        .size:           4
        .value_kind:     hidden_block_count_z
      - .offset:         148
        .size:           2
        .value_kind:     hidden_group_size_x
      - .offset:         150
        .size:           2
        .value_kind:     hidden_group_size_y
      - .offset:         152
        .size:           2
        .value_kind:     hidden_group_size_z
      - .offset:         154
        .size:           2
        .value_kind:     hidden_remainder_x
      - .offset:         156
        .size:           2
        .value_kind:     hidden_remainder_y
      - .offset:         158
        .size:           2
        .value_kind:     hidden_remainder_z
      - .offset:         176
        .size:           8
        .value_kind:     hidden_global_offset_x
      - .offset:         184
        .size:           8
        .value_kind:     hidden_global_offset_y
      - .offset:         192
        .size:           8
        .value_kind:     hidden_global_offset_z
      - .offset:         200
        .size:           2
        .value_kind:     hidden_grid_dims
    .group_segment_fixed_size: 16384
    .kernarg_segment_align: 8
    .kernarg_segment_size: 392
    .language:       OpenCL C
    .language_version:
      - 2
      - 0
    .max_flat_workgroup_size: 1024
    .name:           _ZL30rocblas_trmm_outofplace_kernelIdLi32ELi2ELb1ELb0ELb1ELb1EdKddEv17rocblas_diagonal_iiT6_lPT7_lllS4_lllPT8_llli
    .private_segment_fixed_size: 0
    .sgpr_count:     58
    .sgpr_spill_count: 0
    .symbol:         _ZL30rocblas_trmm_outofplace_kernelIdLi32ELi2ELb1ELb0ELb1ELb1EdKddEv17rocblas_diagonal_iiT6_lPT7_lllS4_lllPT8_llli.kd
    .uniform_work_group_size: 1
    .uses_dynamic_stack: false
    .vgpr_count:     78
    .vgpr_spill_count: 0
    .wavefront_size: 64
  - .agpr_count:     0
    .args:
      - .offset:         0
        .size:           4
        .value_kind:     by_value
      - .offset:         4
        .size:           4
        .value_kind:     by_value
      - .offset:         8
        .size:           4
        .value_kind:     by_value
      - .address_space:  global
        .offset:         16
        .size:           8
        .value_kind:     global_buffer
      - .offset:         24
        .size:           8
        .value_kind:     by_value
      - .address_space:  global
        .offset:         32
        .size:           8
        .value_kind:     global_buffer
      - .offset:         40
        .size:           8
        .value_kind:     by_value
      - .offset:         48
        .size:           8
        .value_kind:     by_value
      - .offset:         56
        .size:           8
        .value_kind:     by_value
      - .address_space:  global
        .offset:         64
        .size:           8
        .value_kind:     global_buffer
      - .offset:         72
        .size:           8
        .value_kind:     by_value
      - .offset:         80
        .size:           8
        .value_kind:     by_value
      - .offset:         88
        .size:           8
        .value_kind:     by_value
      - .address_space:  global
        .offset:         96
        .size:           8
        .value_kind:     global_buffer
      - .offset:         104
        .size:           8
        .value_kind:     by_value
      - .offset:         112
        .size:           8
        .value_kind:     by_value
      - .offset:         120
        .size:           8
        .value_kind:     by_value
      - .offset:         128
        .size:           4
        .value_kind:     by_value
      - .offset:         136
        .size:           4
        .value_kind:     hidden_block_count_x
      - .offset:         140
        .size:           4
        .value_kind:     hidden_block_count_y
      - .offset:         144
        .size:           4
        .value_kind:     hidden_block_count_z
      - .offset:         148
        .size:           2
        .value_kind:     hidden_group_size_x
      - .offset:         150
        .size:           2
        .value_kind:     hidden_group_size_y
      - .offset:         152
        .size:           2
        .value_kind:     hidden_group_size_z
      - .offset:         154
        .size:           2
        .value_kind:     hidden_remainder_x
      - .offset:         156
        .size:           2
        .value_kind:     hidden_remainder_y
      - .offset:         158
        .size:           2
        .value_kind:     hidden_remainder_z
      - .offset:         176
        .size:           8
        .value_kind:     hidden_global_offset_x
      - .offset:         184
        .size:           8
        .value_kind:     hidden_global_offset_y
      - .offset:         192
        .size:           8
        .value_kind:     hidden_global_offset_z
      - .offset:         200
        .size:           2
        .value_kind:     hidden_grid_dims
    .group_segment_fixed_size: 16384
    .kernarg_segment_align: 8
    .kernarg_segment_size: 392
    .language:       OpenCL C
    .language_version:
      - 2
      - 0
    .max_flat_workgroup_size: 1024
    .name:           _ZL30rocblas_trmm_outofplace_kernelIdLi32ELi2ELb1ELb1ELb1ELb1EPKdS0_dEv17rocblas_diagonal_iiT6_lPT7_lllS5_lllPT8_llli
    .private_segment_fixed_size: 0
    .sgpr_count:     58
    .sgpr_spill_count: 0
    .symbol:         _ZL30rocblas_trmm_outofplace_kernelIdLi32ELi2ELb1ELb1ELb1ELb1EPKdS0_dEv17rocblas_diagonal_iiT6_lPT7_lllS5_lllPT8_llli.kd
    .uniform_work_group_size: 1
    .uses_dynamic_stack: false
    .vgpr_count:     76
    .vgpr_spill_count: 0
    .wavefront_size: 64
  - .agpr_count:     0
    .args:
      - .offset:         0
        .size:           4
        .value_kind:     by_value
      - .offset:         4
        .size:           4
        .value_kind:     by_value
      - .offset:         8
        .size:           4
        .value_kind:     by_value
      - .offset:         16
        .size:           8
        .value_kind:     by_value
      - .offset:         24
        .size:           8
        .value_kind:     by_value
      - .address_space:  global
        .offset:         32
        .size:           8
        .value_kind:     global_buffer
      - .offset:         40
        .size:           8
        .value_kind:     by_value
      - .offset:         48
        .size:           8
        .value_kind:     by_value
      - .offset:         56
        .size:           8
        .value_kind:     by_value
      - .address_space:  global
        .offset:         64
        .size:           8
        .value_kind:     global_buffer
      - .offset:         72
        .size:           8
        .value_kind:     by_value
      - .offset:         80
        .size:           8
        .value_kind:     by_value
      - .offset:         88
        .size:           8
        .value_kind:     by_value
      - .address_space:  global
        .offset:         96
        .size:           8
        .value_kind:     global_buffer
      - .offset:         104
        .size:           8
        .value_kind:     by_value
      - .offset:         112
        .size:           8
        .value_kind:     by_value
      - .offset:         120
        .size:           8
        .value_kind:     by_value
      - .offset:         128
        .size:           4
        .value_kind:     by_value
      - .offset:         136
        .size:           4
        .value_kind:     hidden_block_count_x
      - .offset:         140
        .size:           4
        .value_kind:     hidden_block_count_y
      - .offset:         144
        .size:           4
        .value_kind:     hidden_block_count_z
      - .offset:         148
        .size:           2
        .value_kind:     hidden_group_size_x
      - .offset:         150
        .size:           2
        .value_kind:     hidden_group_size_y
      - .offset:         152
        .size:           2
        .value_kind:     hidden_group_size_z
      - .offset:         154
        .size:           2
        .value_kind:     hidden_remainder_x
      - .offset:         156
        .size:           2
        .value_kind:     hidden_remainder_y
      - .offset:         158
        .size:           2
        .value_kind:     hidden_remainder_z
      - .offset:         176
        .size:           8
        .value_kind:     hidden_global_offset_x
      - .offset:         184
        .size:           8
        .value_kind:     hidden_global_offset_y
      - .offset:         192
        .size:           8
        .value_kind:     hidden_global_offset_z
      - .offset:         200
        .size:           2
        .value_kind:     hidden_grid_dims
    .group_segment_fixed_size: 16384
    .kernarg_segment_align: 8
    .kernarg_segment_size: 392
    .language:       OpenCL C
    .language_version:
      - 2
      - 0
    .max_flat_workgroup_size: 1024
    .name:           _ZL30rocblas_trmm_outofplace_kernelIdLi32ELi2ELb1ELb1ELb1ELb1EdKddEv17rocblas_diagonal_iiT6_lPT7_lllS4_lllPT8_llli
    .private_segment_fixed_size: 0
    .sgpr_count:     58
    .sgpr_spill_count: 0
    .symbol:         _ZL30rocblas_trmm_outofplace_kernelIdLi32ELi2ELb1ELb1ELb1ELb1EdKddEv17rocblas_diagonal_iiT6_lPT7_lllS4_lllPT8_llli.kd
    .uniform_work_group_size: 1
    .uses_dynamic_stack: false
    .vgpr_count:     76
    .vgpr_spill_count: 0
    .wavefront_size: 64
  - .agpr_count:     0
    .args:
      - .offset:         0
        .size:           4
        .value_kind:     by_value
      - .offset:         4
        .size:           4
        .value_kind:     by_value
      - .offset:         8
        .size:           4
        .value_kind:     by_value
      - .address_space:  global
        .offset:         16
        .size:           8
        .value_kind:     global_buffer
      - .offset:         24
        .size:           8
        .value_kind:     by_value
      - .address_space:  global
        .offset:         32
        .size:           8
        .value_kind:     global_buffer
      - .offset:         40
        .size:           8
        .value_kind:     by_value
      - .offset:         48
        .size:           8
        .value_kind:     by_value
      - .offset:         56
        .size:           8
        .value_kind:     by_value
      - .address_space:  global
        .offset:         64
        .size:           8
        .value_kind:     global_buffer
      - .offset:         72
        .size:           8
        .value_kind:     by_value
      - .offset:         80
        .size:           8
        .value_kind:     by_value
      - .offset:         88
        .size:           8
        .value_kind:     by_value
      - .address_space:  global
        .offset:         96
        .size:           8
        .value_kind:     global_buffer
      - .offset:         104
        .size:           8
        .value_kind:     by_value
      - .offset:         112
        .size:           8
        .value_kind:     by_value
      - .offset:         120
        .size:           8
        .value_kind:     by_value
      - .offset:         128
        .size:           4
        .value_kind:     by_value
      - .offset:         136
        .size:           4
        .value_kind:     hidden_block_count_x
      - .offset:         140
        .size:           4
        .value_kind:     hidden_block_count_y
      - .offset:         144
        .size:           4
        .value_kind:     hidden_block_count_z
      - .offset:         148
        .size:           2
        .value_kind:     hidden_group_size_x
      - .offset:         150
        .size:           2
        .value_kind:     hidden_group_size_y
      - .offset:         152
        .size:           2
        .value_kind:     hidden_group_size_z
      - .offset:         154
        .size:           2
        .value_kind:     hidden_remainder_x
      - .offset:         156
        .size:           2
        .value_kind:     hidden_remainder_y
      - .offset:         158
        .size:           2
        .value_kind:     hidden_remainder_z
      - .offset:         176
        .size:           8
        .value_kind:     hidden_global_offset_x
      - .offset:         184
        .size:           8
        .value_kind:     hidden_global_offset_y
      - .offset:         192
        .size:           8
        .value_kind:     hidden_global_offset_z
      - .offset:         200
        .size:           2
        .value_kind:     hidden_grid_dims
    .group_segment_fixed_size: 16384
    .kernarg_segment_align: 8
    .kernarg_segment_size: 392
    .language:       OpenCL C
    .language_version:
      - 2
      - 0
    .max_flat_workgroup_size: 1024
    .name:           _ZL30rocblas_trmm_outofplace_kernelIdLi32ELi2ELb0ELb0ELb0ELb0EPKdS0_dEv17rocblas_diagonal_iiT6_lPT7_lllS5_lllPT8_llli
    .private_segment_fixed_size: 0
    .sgpr_count:     64
    .sgpr_spill_count: 0
    .symbol:         _ZL30rocblas_trmm_outofplace_kernelIdLi32ELi2ELb0ELb0ELb0ELb0EPKdS0_dEv17rocblas_diagonal_iiT6_lPT7_lllS5_lllPT8_llli.kd
    .uniform_work_group_size: 1
    .uses_dynamic_stack: false
    .vgpr_count:     80
    .vgpr_spill_count: 0
    .wavefront_size: 64
  - .agpr_count:     0
    .args:
      - .offset:         0
        .size:           4
        .value_kind:     by_value
      - .offset:         4
        .size:           4
        .value_kind:     by_value
      - .offset:         8
        .size:           4
        .value_kind:     by_value
      - .offset:         16
        .size:           8
        .value_kind:     by_value
      - .offset:         24
        .size:           8
        .value_kind:     by_value
      - .address_space:  global
        .offset:         32
        .size:           8
        .value_kind:     global_buffer
      - .offset:         40
        .size:           8
        .value_kind:     by_value
      - .offset:         48
        .size:           8
        .value_kind:     by_value
      - .offset:         56
        .size:           8
        .value_kind:     by_value
      - .address_space:  global
        .offset:         64
        .size:           8
        .value_kind:     global_buffer
      - .offset:         72
        .size:           8
        .value_kind:     by_value
      - .offset:         80
        .size:           8
        .value_kind:     by_value
      - .offset:         88
        .size:           8
        .value_kind:     by_value
      - .address_space:  global
        .offset:         96
        .size:           8
        .value_kind:     global_buffer
      - .offset:         104
        .size:           8
        .value_kind:     by_value
      - .offset:         112
        .size:           8
        .value_kind:     by_value
      - .offset:         120
        .size:           8
        .value_kind:     by_value
      - .offset:         128
        .size:           4
        .value_kind:     by_value
      - .offset:         136
        .size:           4
        .value_kind:     hidden_block_count_x
      - .offset:         140
        .size:           4
        .value_kind:     hidden_block_count_y
      - .offset:         144
        .size:           4
        .value_kind:     hidden_block_count_z
      - .offset:         148
        .size:           2
        .value_kind:     hidden_group_size_x
      - .offset:         150
        .size:           2
        .value_kind:     hidden_group_size_y
      - .offset:         152
        .size:           2
        .value_kind:     hidden_group_size_z
      - .offset:         154
        .size:           2
        .value_kind:     hidden_remainder_x
      - .offset:         156
        .size:           2
        .value_kind:     hidden_remainder_y
      - .offset:         158
        .size:           2
        .value_kind:     hidden_remainder_z
      - .offset:         176
        .size:           8
        .value_kind:     hidden_global_offset_x
      - .offset:         184
        .size:           8
        .value_kind:     hidden_global_offset_y
      - .offset:         192
        .size:           8
        .value_kind:     hidden_global_offset_z
      - .offset:         200
        .size:           2
        .value_kind:     hidden_grid_dims
    .group_segment_fixed_size: 16384
    .kernarg_segment_align: 8
    .kernarg_segment_size: 392
    .language:       OpenCL C
    .language_version:
      - 2
      - 0
    .max_flat_workgroup_size: 1024
    .name:           _ZL30rocblas_trmm_outofplace_kernelIdLi32ELi2ELb0ELb0ELb0ELb0EdKddEv17rocblas_diagonal_iiT6_lPT7_lllS4_lllPT8_llli
    .private_segment_fixed_size: 0
    .sgpr_count:     64
    .sgpr_spill_count: 0
    .symbol:         _ZL30rocblas_trmm_outofplace_kernelIdLi32ELi2ELb0ELb0ELb0ELb0EdKddEv17rocblas_diagonal_iiT6_lPT7_lllS4_lllPT8_llli.kd
    .uniform_work_group_size: 1
    .uses_dynamic_stack: false
    .vgpr_count:     80
    .vgpr_spill_count: 0
    .wavefront_size: 64
  - .agpr_count:     0
    .args:
      - .offset:         0
        .size:           4
        .value_kind:     by_value
      - .offset:         4
        .size:           4
        .value_kind:     by_value
      - .offset:         8
        .size:           4
        .value_kind:     by_value
      - .address_space:  global
        .offset:         16
        .size:           8
        .value_kind:     global_buffer
      - .offset:         24
        .size:           8
        .value_kind:     by_value
      - .address_space:  global
        .offset:         32
        .size:           8
        .value_kind:     global_buffer
      - .offset:         40
        .size:           8
        .value_kind:     by_value
      - .offset:         48
        .size:           8
        .value_kind:     by_value
      - .offset:         56
        .size:           8
        .value_kind:     by_value
      - .address_space:  global
        .offset:         64
        .size:           8
        .value_kind:     global_buffer
      - .offset:         72
        .size:           8
        .value_kind:     by_value
      - .offset:         80
        .size:           8
        .value_kind:     by_value
      - .offset:         88
        .size:           8
        .value_kind:     by_value
      - .address_space:  global
        .offset:         96
        .size:           8
        .value_kind:     global_buffer
      - .offset:         104
        .size:           8
        .value_kind:     by_value
      - .offset:         112
        .size:           8
        .value_kind:     by_value
      - .offset:         120
        .size:           8
        .value_kind:     by_value
      - .offset:         128
        .size:           4
        .value_kind:     by_value
      - .offset:         136
        .size:           4
        .value_kind:     hidden_block_count_x
      - .offset:         140
        .size:           4
        .value_kind:     hidden_block_count_y
      - .offset:         144
        .size:           4
        .value_kind:     hidden_block_count_z
      - .offset:         148
        .size:           2
        .value_kind:     hidden_group_size_x
      - .offset:         150
        .size:           2
        .value_kind:     hidden_group_size_y
      - .offset:         152
        .size:           2
        .value_kind:     hidden_group_size_z
      - .offset:         154
        .size:           2
        .value_kind:     hidden_remainder_x
      - .offset:         156
        .size:           2
        .value_kind:     hidden_remainder_y
      - .offset:         158
        .size:           2
        .value_kind:     hidden_remainder_z
      - .offset:         176
        .size:           8
        .value_kind:     hidden_global_offset_x
      - .offset:         184
        .size:           8
        .value_kind:     hidden_global_offset_y
      - .offset:         192
        .size:           8
        .value_kind:     hidden_global_offset_z
      - .offset:         200
        .size:           2
        .value_kind:     hidden_grid_dims
    .group_segment_fixed_size: 16384
    .kernarg_segment_align: 8
    .kernarg_segment_size: 392
    .language:       OpenCL C
    .language_version:
      - 2
      - 0
    .max_flat_workgroup_size: 1024
    .name:           _ZL30rocblas_trmm_outofplace_kernelIdLi32ELi2ELb0ELb1ELb0ELb0EPKdS0_dEv17rocblas_diagonal_iiT6_lPT7_lllS5_lllPT8_llli
    .private_segment_fixed_size: 0
    .sgpr_count:     58
    .sgpr_spill_count: 0
    .symbol:         _ZL30rocblas_trmm_outofplace_kernelIdLi32ELi2ELb0ELb1ELb0ELb0EPKdS0_dEv17rocblas_diagonal_iiT6_lPT7_lllS5_lllPT8_llli.kd
    .uniform_work_group_size: 1
    .uses_dynamic_stack: false
    .vgpr_count:     80
    .vgpr_spill_count: 0
    .wavefront_size: 64
  - .agpr_count:     0
    .args:
      - .offset:         0
        .size:           4
        .value_kind:     by_value
      - .offset:         4
        .size:           4
        .value_kind:     by_value
      - .offset:         8
        .size:           4
        .value_kind:     by_value
      - .offset:         16
        .size:           8
        .value_kind:     by_value
      - .offset:         24
        .size:           8
        .value_kind:     by_value
      - .address_space:  global
        .offset:         32
        .size:           8
        .value_kind:     global_buffer
      - .offset:         40
        .size:           8
        .value_kind:     by_value
      - .offset:         48
        .size:           8
        .value_kind:     by_value
      - .offset:         56
        .size:           8
        .value_kind:     by_value
      - .address_space:  global
        .offset:         64
        .size:           8
        .value_kind:     global_buffer
      - .offset:         72
        .size:           8
        .value_kind:     by_value
      - .offset:         80
        .size:           8
        .value_kind:     by_value
      - .offset:         88
        .size:           8
        .value_kind:     by_value
      - .address_space:  global
        .offset:         96
        .size:           8
        .value_kind:     global_buffer
      - .offset:         104
        .size:           8
        .value_kind:     by_value
      - .offset:         112
        .size:           8
        .value_kind:     by_value
      - .offset:         120
        .size:           8
        .value_kind:     by_value
      - .offset:         128
        .size:           4
        .value_kind:     by_value
      - .offset:         136
        .size:           4
        .value_kind:     hidden_block_count_x
      - .offset:         140
        .size:           4
        .value_kind:     hidden_block_count_y
      - .offset:         144
        .size:           4
        .value_kind:     hidden_block_count_z
      - .offset:         148
        .size:           2
        .value_kind:     hidden_group_size_x
      - .offset:         150
        .size:           2
        .value_kind:     hidden_group_size_y
      - .offset:         152
        .size:           2
        .value_kind:     hidden_group_size_z
      - .offset:         154
        .size:           2
        .value_kind:     hidden_remainder_x
      - .offset:         156
        .size:           2
        .value_kind:     hidden_remainder_y
      - .offset:         158
        .size:           2
        .value_kind:     hidden_remainder_z
      - .offset:         176
        .size:           8
        .value_kind:     hidden_global_offset_x
      - .offset:         184
        .size:           8
        .value_kind:     hidden_global_offset_y
      - .offset:         192
        .size:           8
        .value_kind:     hidden_global_offset_z
      - .offset:         200
        .size:           2
        .value_kind:     hidden_grid_dims
    .group_segment_fixed_size: 16384
    .kernarg_segment_align: 8
    .kernarg_segment_size: 392
    .language:       OpenCL C
    .language_version:
      - 2
      - 0
    .max_flat_workgroup_size: 1024
    .name:           _ZL30rocblas_trmm_outofplace_kernelIdLi32ELi2ELb0ELb1ELb0ELb0EdKddEv17rocblas_diagonal_iiT6_lPT7_lllS4_lllPT8_llli
    .private_segment_fixed_size: 0
    .sgpr_count:     59
    .sgpr_spill_count: 0
    .symbol:         _ZL30rocblas_trmm_outofplace_kernelIdLi32ELi2ELb0ELb1ELb0ELb0EdKddEv17rocblas_diagonal_iiT6_lPT7_lllS4_lllPT8_llli.kd
    .uniform_work_group_size: 1
    .uses_dynamic_stack: false
    .vgpr_count:     80
    .vgpr_spill_count: 0
    .wavefront_size: 64
  - .agpr_count:     0
    .args:
      - .offset:         0
        .size:           4
        .value_kind:     by_value
      - .offset:         4
        .size:           4
        .value_kind:     by_value
      - .offset:         8
        .size:           4
        .value_kind:     by_value
      - .address_space:  global
        .offset:         16
        .size:           8
        .value_kind:     global_buffer
      - .offset:         24
        .size:           8
        .value_kind:     by_value
      - .address_space:  global
        .offset:         32
        .size:           8
        .value_kind:     global_buffer
      - .offset:         40
        .size:           8
        .value_kind:     by_value
      - .offset:         48
        .size:           8
        .value_kind:     by_value
      - .offset:         56
        .size:           8
        .value_kind:     by_value
      - .address_space:  global
        .offset:         64
        .size:           8
        .value_kind:     global_buffer
      - .offset:         72
        .size:           8
        .value_kind:     by_value
      - .offset:         80
        .size:           8
        .value_kind:     by_value
      - .offset:         88
        .size:           8
        .value_kind:     by_value
      - .address_space:  global
        .offset:         96
        .size:           8
        .value_kind:     global_buffer
      - .offset:         104
        .size:           8
        .value_kind:     by_value
      - .offset:         112
        .size:           8
        .value_kind:     by_value
      - .offset:         120
        .size:           8
        .value_kind:     by_value
      - .offset:         128
        .size:           4
        .value_kind:     by_value
      - .offset:         136
        .size:           4
        .value_kind:     hidden_block_count_x
      - .offset:         140
        .size:           4
        .value_kind:     hidden_block_count_y
      - .offset:         144
        .size:           4
        .value_kind:     hidden_block_count_z
      - .offset:         148
        .size:           2
        .value_kind:     hidden_group_size_x
      - .offset:         150
        .size:           2
        .value_kind:     hidden_group_size_y
      - .offset:         152
        .size:           2
        .value_kind:     hidden_group_size_z
      - .offset:         154
        .size:           2
        .value_kind:     hidden_remainder_x
      - .offset:         156
        .size:           2
        .value_kind:     hidden_remainder_y
      - .offset:         158
        .size:           2
        .value_kind:     hidden_remainder_z
      - .offset:         176
        .size:           8
        .value_kind:     hidden_global_offset_x
      - .offset:         184
        .size:           8
        .value_kind:     hidden_global_offset_y
      - .offset:         192
        .size:           8
        .value_kind:     hidden_global_offset_z
      - .offset:         200
        .size:           2
        .value_kind:     hidden_grid_dims
    .group_segment_fixed_size: 16384
    .kernarg_segment_align: 8
    .kernarg_segment_size: 392
    .language:       OpenCL C
    .language_version:
      - 2
      - 0
    .max_flat_workgroup_size: 1024
    .name:           _ZL30rocblas_trmm_outofplace_kernelIdLi32ELi2ELb0ELb0ELb1ELb0EPKdS0_dEv17rocblas_diagonal_iiT6_lPT7_lllS5_lllPT8_llli
    .private_segment_fixed_size: 0
    .sgpr_count:     55
    .sgpr_spill_count: 0
    .symbol:         _ZL30rocblas_trmm_outofplace_kernelIdLi32ELi2ELb0ELb0ELb1ELb0EPKdS0_dEv17rocblas_diagonal_iiT6_lPT7_lllS5_lllPT8_llli.kd
    .uniform_work_group_size: 1
    .uses_dynamic_stack: false
    .vgpr_count:     86
    .vgpr_spill_count: 0
    .wavefront_size: 64
  - .agpr_count:     0
    .args:
      - .offset:         0
        .size:           4
        .value_kind:     by_value
      - .offset:         4
        .size:           4
        .value_kind:     by_value
      - .offset:         8
        .size:           4
        .value_kind:     by_value
      - .offset:         16
        .size:           8
        .value_kind:     by_value
      - .offset:         24
        .size:           8
        .value_kind:     by_value
      - .address_space:  global
        .offset:         32
        .size:           8
        .value_kind:     global_buffer
      - .offset:         40
        .size:           8
        .value_kind:     by_value
      - .offset:         48
        .size:           8
        .value_kind:     by_value
      - .offset:         56
        .size:           8
        .value_kind:     by_value
      - .address_space:  global
        .offset:         64
        .size:           8
        .value_kind:     global_buffer
      - .offset:         72
        .size:           8
        .value_kind:     by_value
      - .offset:         80
        .size:           8
        .value_kind:     by_value
      - .offset:         88
        .size:           8
        .value_kind:     by_value
      - .address_space:  global
        .offset:         96
        .size:           8
        .value_kind:     global_buffer
      - .offset:         104
        .size:           8
        .value_kind:     by_value
      - .offset:         112
        .size:           8
        .value_kind:     by_value
      - .offset:         120
        .size:           8
        .value_kind:     by_value
      - .offset:         128
        .size:           4
        .value_kind:     by_value
      - .offset:         136
        .size:           4
        .value_kind:     hidden_block_count_x
      - .offset:         140
        .size:           4
        .value_kind:     hidden_block_count_y
      - .offset:         144
        .size:           4
        .value_kind:     hidden_block_count_z
      - .offset:         148
        .size:           2
        .value_kind:     hidden_group_size_x
      - .offset:         150
        .size:           2
        .value_kind:     hidden_group_size_y
      - .offset:         152
        .size:           2
        .value_kind:     hidden_group_size_z
      - .offset:         154
        .size:           2
        .value_kind:     hidden_remainder_x
      - .offset:         156
        .size:           2
        .value_kind:     hidden_remainder_y
      - .offset:         158
        .size:           2
        .value_kind:     hidden_remainder_z
      - .offset:         176
        .size:           8
        .value_kind:     hidden_global_offset_x
      - .offset:         184
        .size:           8
        .value_kind:     hidden_global_offset_y
      - .offset:         192
        .size:           8
        .value_kind:     hidden_global_offset_z
      - .offset:         200
        .size:           2
        .value_kind:     hidden_grid_dims
    .group_segment_fixed_size: 16384
    .kernarg_segment_align: 8
    .kernarg_segment_size: 392
    .language:       OpenCL C
    .language_version:
      - 2
      - 0
    .max_flat_workgroup_size: 1024
    .name:           _ZL30rocblas_trmm_outofplace_kernelIdLi32ELi2ELb0ELb0ELb1ELb0EdKddEv17rocblas_diagonal_iiT6_lPT7_lllS4_lllPT8_llli
    .private_segment_fixed_size: 0
    .sgpr_count:     54
    .sgpr_spill_count: 0
    .symbol:         _ZL30rocblas_trmm_outofplace_kernelIdLi32ELi2ELb0ELb0ELb1ELb0EdKddEv17rocblas_diagonal_iiT6_lPT7_lllS4_lllPT8_llli.kd
    .uniform_work_group_size: 1
    .uses_dynamic_stack: false
    .vgpr_count:     86
    .vgpr_spill_count: 0
    .wavefront_size: 64
  - .agpr_count:     0
    .args:
      - .offset:         0
        .size:           4
        .value_kind:     by_value
      - .offset:         4
        .size:           4
        .value_kind:     by_value
      - .offset:         8
        .size:           4
        .value_kind:     by_value
      - .address_space:  global
        .offset:         16
        .size:           8
        .value_kind:     global_buffer
      - .offset:         24
        .size:           8
        .value_kind:     by_value
      - .address_space:  global
        .offset:         32
        .size:           8
        .value_kind:     global_buffer
      - .offset:         40
        .size:           8
        .value_kind:     by_value
      - .offset:         48
        .size:           8
        .value_kind:     by_value
      - .offset:         56
        .size:           8
        .value_kind:     by_value
      - .address_space:  global
        .offset:         64
        .size:           8
        .value_kind:     global_buffer
      - .offset:         72
        .size:           8
        .value_kind:     by_value
      - .offset:         80
        .size:           8
        .value_kind:     by_value
      - .offset:         88
        .size:           8
        .value_kind:     by_value
      - .address_space:  global
        .offset:         96
        .size:           8
        .value_kind:     global_buffer
      - .offset:         104
        .size:           8
        .value_kind:     by_value
      - .offset:         112
        .size:           8
        .value_kind:     by_value
      - .offset:         120
        .size:           8
        .value_kind:     by_value
      - .offset:         128
        .size:           4
        .value_kind:     by_value
      - .offset:         136
        .size:           4
        .value_kind:     hidden_block_count_x
      - .offset:         140
        .size:           4
        .value_kind:     hidden_block_count_y
      - .offset:         144
        .size:           4
        .value_kind:     hidden_block_count_z
      - .offset:         148
        .size:           2
        .value_kind:     hidden_group_size_x
      - .offset:         150
        .size:           2
        .value_kind:     hidden_group_size_y
      - .offset:         152
        .size:           2
        .value_kind:     hidden_group_size_z
      - .offset:         154
        .size:           2
        .value_kind:     hidden_remainder_x
      - .offset:         156
        .size:           2
        .value_kind:     hidden_remainder_y
      - .offset:         158
        .size:           2
        .value_kind:     hidden_remainder_z
      - .offset:         176
        .size:           8
        .value_kind:     hidden_global_offset_x
      - .offset:         184
        .size:           8
        .value_kind:     hidden_global_offset_y
      - .offset:         192
        .size:           8
        .value_kind:     hidden_global_offset_z
      - .offset:         200
        .size:           2
        .value_kind:     hidden_grid_dims
    .group_segment_fixed_size: 16384
    .kernarg_segment_align: 8
    .kernarg_segment_size: 392
    .language:       OpenCL C
    .language_version:
      - 2
      - 0
    .max_flat_workgroup_size: 1024
    .name:           _ZL30rocblas_trmm_outofplace_kernelIdLi32ELi2ELb0ELb1ELb1ELb0EPKdS0_dEv17rocblas_diagonal_iiT6_lPT7_lllS5_lllPT8_llli
    .private_segment_fixed_size: 0
    .sgpr_count:     65
    .sgpr_spill_count: 0
    .symbol:         _ZL30rocblas_trmm_outofplace_kernelIdLi32ELi2ELb0ELb1ELb1ELb0EPKdS0_dEv17rocblas_diagonal_iiT6_lPT7_lllS5_lllPT8_llli.kd
    .uniform_work_group_size: 1
    .uses_dynamic_stack: false
    .vgpr_count:     80
    .vgpr_spill_count: 0
    .wavefront_size: 64
  - .agpr_count:     0
    .args:
      - .offset:         0
        .size:           4
        .value_kind:     by_value
      - .offset:         4
        .size:           4
        .value_kind:     by_value
      - .offset:         8
        .size:           4
        .value_kind:     by_value
      - .offset:         16
        .size:           8
        .value_kind:     by_value
      - .offset:         24
        .size:           8
        .value_kind:     by_value
      - .address_space:  global
        .offset:         32
        .size:           8
        .value_kind:     global_buffer
      - .offset:         40
        .size:           8
        .value_kind:     by_value
      - .offset:         48
        .size:           8
        .value_kind:     by_value
      - .offset:         56
        .size:           8
        .value_kind:     by_value
      - .address_space:  global
        .offset:         64
        .size:           8
        .value_kind:     global_buffer
      - .offset:         72
        .size:           8
        .value_kind:     by_value
      - .offset:         80
        .size:           8
        .value_kind:     by_value
      - .offset:         88
        .size:           8
        .value_kind:     by_value
      - .address_space:  global
        .offset:         96
        .size:           8
        .value_kind:     global_buffer
      - .offset:         104
        .size:           8
        .value_kind:     by_value
      - .offset:         112
        .size:           8
        .value_kind:     by_value
      - .offset:         120
        .size:           8
        .value_kind:     by_value
      - .offset:         128
        .size:           4
        .value_kind:     by_value
      - .offset:         136
        .size:           4
        .value_kind:     hidden_block_count_x
      - .offset:         140
        .size:           4
        .value_kind:     hidden_block_count_y
      - .offset:         144
        .size:           4
        .value_kind:     hidden_block_count_z
      - .offset:         148
        .size:           2
        .value_kind:     hidden_group_size_x
      - .offset:         150
        .size:           2
        .value_kind:     hidden_group_size_y
      - .offset:         152
        .size:           2
        .value_kind:     hidden_group_size_z
      - .offset:         154
        .size:           2
        .value_kind:     hidden_remainder_x
      - .offset:         156
        .size:           2
        .value_kind:     hidden_remainder_y
      - .offset:         158
        .size:           2
        .value_kind:     hidden_remainder_z
      - .offset:         176
        .size:           8
        .value_kind:     hidden_global_offset_x
      - .offset:         184
        .size:           8
        .value_kind:     hidden_global_offset_y
      - .offset:         192
        .size:           8
        .value_kind:     hidden_global_offset_z
      - .offset:         200
        .size:           2
        .value_kind:     hidden_grid_dims
    .group_segment_fixed_size: 16384
    .kernarg_segment_align: 8
    .kernarg_segment_size: 392
    .language:       OpenCL C
    .language_version:
      - 2
      - 0
    .max_flat_workgroup_size: 1024
    .name:           _ZL30rocblas_trmm_outofplace_kernelIdLi32ELi2ELb0ELb1ELb1ELb0EdKddEv17rocblas_diagonal_iiT6_lPT7_lllS4_lllPT8_llli
    .private_segment_fixed_size: 0
    .sgpr_count:     65
    .sgpr_spill_count: 0
    .symbol:         _ZL30rocblas_trmm_outofplace_kernelIdLi32ELi2ELb0ELb1ELb1ELb0EdKddEv17rocblas_diagonal_iiT6_lPT7_lllS4_lllPT8_llli.kd
    .uniform_work_group_size: 1
    .uses_dynamic_stack: false
    .vgpr_count:     80
    .vgpr_spill_count: 0
    .wavefront_size: 64
  - .agpr_count:     0
    .args:
      - .offset:         0
        .size:           4
        .value_kind:     by_value
      - .offset:         4
        .size:           4
        .value_kind:     by_value
      - .offset:         8
        .size:           4
        .value_kind:     by_value
      - .address_space:  global
        .offset:         16
        .size:           8
        .value_kind:     global_buffer
      - .offset:         24
        .size:           8
        .value_kind:     by_value
      - .address_space:  global
        .offset:         32
        .size:           8
        .value_kind:     global_buffer
      - .offset:         40
        .size:           8
        .value_kind:     by_value
      - .offset:         48
        .size:           8
        .value_kind:     by_value
      - .offset:         56
        .size:           8
        .value_kind:     by_value
      - .address_space:  global
        .offset:         64
        .size:           8
        .value_kind:     global_buffer
      - .offset:         72
        .size:           8
        .value_kind:     by_value
      - .offset:         80
        .size:           8
        .value_kind:     by_value
      - .offset:         88
        .size:           8
        .value_kind:     by_value
      - .address_space:  global
        .offset:         96
        .size:           8
        .value_kind:     global_buffer
      - .offset:         104
        .size:           8
        .value_kind:     by_value
      - .offset:         112
        .size:           8
        .value_kind:     by_value
      - .offset:         120
        .size:           8
        .value_kind:     by_value
      - .offset:         128
        .size:           4
        .value_kind:     by_value
      - .offset:         136
        .size:           4
        .value_kind:     hidden_block_count_x
      - .offset:         140
        .size:           4
        .value_kind:     hidden_block_count_y
      - .offset:         144
        .size:           4
        .value_kind:     hidden_block_count_z
      - .offset:         148
        .size:           2
        .value_kind:     hidden_group_size_x
      - .offset:         150
        .size:           2
        .value_kind:     hidden_group_size_y
      - .offset:         152
        .size:           2
        .value_kind:     hidden_group_size_z
      - .offset:         154
        .size:           2
        .value_kind:     hidden_remainder_x
      - .offset:         156
        .size:           2
        .value_kind:     hidden_remainder_y
      - .offset:         158
        .size:           2
        .value_kind:     hidden_remainder_z
      - .offset:         176
        .size:           8
        .value_kind:     hidden_global_offset_x
      - .offset:         184
        .size:           8
        .value_kind:     hidden_global_offset_y
      - .offset:         192
        .size:           8
        .value_kind:     hidden_global_offset_z
      - .offset:         200
        .size:           2
        .value_kind:     hidden_grid_dims
    .group_segment_fixed_size: 16384
    .kernarg_segment_align: 8
    .kernarg_segment_size: 392
    .language:       OpenCL C
    .language_version:
      - 2
      - 0
    .max_flat_workgroup_size: 1024
    .name:           _ZL30rocblas_trmm_outofplace_kernelIdLi32ELi2ELb0ELb0ELb1ELb1EPKdS0_dEv17rocblas_diagonal_iiT6_lPT7_lllS5_lllPT8_llli
    .private_segment_fixed_size: 0
    .sgpr_count:     55
    .sgpr_spill_count: 0
    .symbol:         _ZL30rocblas_trmm_outofplace_kernelIdLi32ELi2ELb0ELb0ELb1ELb1EPKdS0_dEv17rocblas_diagonal_iiT6_lPT7_lllS5_lllPT8_llli.kd
    .uniform_work_group_size: 1
    .uses_dynamic_stack: false
    .vgpr_count:     86
    .vgpr_spill_count: 0
    .wavefront_size: 64
  - .agpr_count:     0
    .args:
      - .offset:         0
        .size:           4
        .value_kind:     by_value
      - .offset:         4
        .size:           4
        .value_kind:     by_value
      - .offset:         8
        .size:           4
        .value_kind:     by_value
      - .offset:         16
        .size:           8
        .value_kind:     by_value
      - .offset:         24
        .size:           8
        .value_kind:     by_value
      - .address_space:  global
        .offset:         32
        .size:           8
        .value_kind:     global_buffer
      - .offset:         40
        .size:           8
        .value_kind:     by_value
      - .offset:         48
        .size:           8
        .value_kind:     by_value
      - .offset:         56
        .size:           8
        .value_kind:     by_value
      - .address_space:  global
        .offset:         64
        .size:           8
        .value_kind:     global_buffer
      - .offset:         72
        .size:           8
        .value_kind:     by_value
      - .offset:         80
        .size:           8
        .value_kind:     by_value
      - .offset:         88
        .size:           8
        .value_kind:     by_value
      - .address_space:  global
        .offset:         96
        .size:           8
        .value_kind:     global_buffer
      - .offset:         104
        .size:           8
        .value_kind:     by_value
      - .offset:         112
        .size:           8
        .value_kind:     by_value
      - .offset:         120
        .size:           8
        .value_kind:     by_value
      - .offset:         128
        .size:           4
        .value_kind:     by_value
      - .offset:         136
        .size:           4
        .value_kind:     hidden_block_count_x
      - .offset:         140
        .size:           4
        .value_kind:     hidden_block_count_y
      - .offset:         144
        .size:           4
        .value_kind:     hidden_block_count_z
      - .offset:         148
        .size:           2
        .value_kind:     hidden_group_size_x
      - .offset:         150
        .size:           2
        .value_kind:     hidden_group_size_y
      - .offset:         152
        .size:           2
        .value_kind:     hidden_group_size_z
      - .offset:         154
        .size:           2
        .value_kind:     hidden_remainder_x
      - .offset:         156
        .size:           2
        .value_kind:     hidden_remainder_y
      - .offset:         158
        .size:           2
        .value_kind:     hidden_remainder_z
      - .offset:         176
        .size:           8
        .value_kind:     hidden_global_offset_x
      - .offset:         184
        .size:           8
        .value_kind:     hidden_global_offset_y
      - .offset:         192
        .size:           8
        .value_kind:     hidden_global_offset_z
      - .offset:         200
        .size:           2
        .value_kind:     hidden_grid_dims
    .group_segment_fixed_size: 16384
    .kernarg_segment_align: 8
    .kernarg_segment_size: 392
    .language:       OpenCL C
    .language_version:
      - 2
      - 0
    .max_flat_workgroup_size: 1024
    .name:           _ZL30rocblas_trmm_outofplace_kernelIdLi32ELi2ELb0ELb0ELb1ELb1EdKddEv17rocblas_diagonal_iiT6_lPT7_lllS4_lllPT8_llli
    .private_segment_fixed_size: 0
    .sgpr_count:     54
    .sgpr_spill_count: 0
    .symbol:         _ZL30rocblas_trmm_outofplace_kernelIdLi32ELi2ELb0ELb0ELb1ELb1EdKddEv17rocblas_diagonal_iiT6_lPT7_lllS4_lllPT8_llli.kd
    .uniform_work_group_size: 1
    .uses_dynamic_stack: false
    .vgpr_count:     86
    .vgpr_spill_count: 0
    .wavefront_size: 64
  - .agpr_count:     0
    .args:
      - .offset:         0
        .size:           4
        .value_kind:     by_value
      - .offset:         4
        .size:           4
        .value_kind:     by_value
      - .offset:         8
        .size:           4
        .value_kind:     by_value
      - .address_space:  global
        .offset:         16
        .size:           8
        .value_kind:     global_buffer
      - .offset:         24
        .size:           8
        .value_kind:     by_value
      - .address_space:  global
        .offset:         32
        .size:           8
        .value_kind:     global_buffer
      - .offset:         40
        .size:           8
        .value_kind:     by_value
      - .offset:         48
        .size:           8
        .value_kind:     by_value
      - .offset:         56
        .size:           8
        .value_kind:     by_value
      - .address_space:  global
        .offset:         64
        .size:           8
        .value_kind:     global_buffer
      - .offset:         72
        .size:           8
        .value_kind:     by_value
      - .offset:         80
        .size:           8
        .value_kind:     by_value
      - .offset:         88
        .size:           8
        .value_kind:     by_value
      - .address_space:  global
        .offset:         96
        .size:           8
        .value_kind:     global_buffer
      - .offset:         104
        .size:           8
        .value_kind:     by_value
      - .offset:         112
        .size:           8
        .value_kind:     by_value
      - .offset:         120
        .size:           8
        .value_kind:     by_value
      - .offset:         128
        .size:           4
        .value_kind:     by_value
      - .offset:         136
        .size:           4
        .value_kind:     hidden_block_count_x
      - .offset:         140
        .size:           4
        .value_kind:     hidden_block_count_y
      - .offset:         144
        .size:           4
        .value_kind:     hidden_block_count_z
      - .offset:         148
        .size:           2
        .value_kind:     hidden_group_size_x
      - .offset:         150
        .size:           2
        .value_kind:     hidden_group_size_y
      - .offset:         152
        .size:           2
        .value_kind:     hidden_group_size_z
      - .offset:         154
        .size:           2
        .value_kind:     hidden_remainder_x
      - .offset:         156
        .size:           2
        .value_kind:     hidden_remainder_y
      - .offset:         158
        .size:           2
        .value_kind:     hidden_remainder_z
      - .offset:         176
        .size:           8
        .value_kind:     hidden_global_offset_x
      - .offset:         184
        .size:           8
        .value_kind:     hidden_global_offset_y
      - .offset:         192
        .size:           8
        .value_kind:     hidden_global_offset_z
      - .offset:         200
        .size:           2
        .value_kind:     hidden_grid_dims
    .group_segment_fixed_size: 16384
    .kernarg_segment_align: 8
    .kernarg_segment_size: 392
    .language:       OpenCL C
    .language_version:
      - 2
      - 0
    .max_flat_workgroup_size: 1024
    .name:           _ZL30rocblas_trmm_outofplace_kernelIdLi32ELi2ELb0ELb1ELb1ELb1EPKdS0_dEv17rocblas_diagonal_iiT6_lPT7_lllS5_lllPT8_llli
    .private_segment_fixed_size: 0
    .sgpr_count:     65
    .sgpr_spill_count: 0
    .symbol:         _ZL30rocblas_trmm_outofplace_kernelIdLi32ELi2ELb0ELb1ELb1ELb1EPKdS0_dEv17rocblas_diagonal_iiT6_lPT7_lllS5_lllPT8_llli.kd
    .uniform_work_group_size: 1
    .uses_dynamic_stack: false
    .vgpr_count:     80
    .vgpr_spill_count: 0
    .wavefront_size: 64
  - .agpr_count:     0
    .args:
      - .offset:         0
        .size:           4
        .value_kind:     by_value
      - .offset:         4
        .size:           4
        .value_kind:     by_value
      - .offset:         8
        .size:           4
        .value_kind:     by_value
      - .offset:         16
        .size:           8
        .value_kind:     by_value
      - .offset:         24
        .size:           8
        .value_kind:     by_value
      - .address_space:  global
        .offset:         32
        .size:           8
        .value_kind:     global_buffer
      - .offset:         40
        .size:           8
        .value_kind:     by_value
      - .offset:         48
        .size:           8
        .value_kind:     by_value
      - .offset:         56
        .size:           8
        .value_kind:     by_value
      - .address_space:  global
        .offset:         64
        .size:           8
        .value_kind:     global_buffer
      - .offset:         72
        .size:           8
        .value_kind:     by_value
      - .offset:         80
        .size:           8
        .value_kind:     by_value
      - .offset:         88
        .size:           8
        .value_kind:     by_value
      - .address_space:  global
        .offset:         96
        .size:           8
        .value_kind:     global_buffer
      - .offset:         104
        .size:           8
        .value_kind:     by_value
      - .offset:         112
        .size:           8
        .value_kind:     by_value
      - .offset:         120
        .size:           8
        .value_kind:     by_value
      - .offset:         128
        .size:           4
        .value_kind:     by_value
      - .offset:         136
        .size:           4
        .value_kind:     hidden_block_count_x
      - .offset:         140
        .size:           4
        .value_kind:     hidden_block_count_y
      - .offset:         144
        .size:           4
        .value_kind:     hidden_block_count_z
      - .offset:         148
        .size:           2
        .value_kind:     hidden_group_size_x
      - .offset:         150
        .size:           2
        .value_kind:     hidden_group_size_y
      - .offset:         152
        .size:           2
        .value_kind:     hidden_group_size_z
      - .offset:         154
        .size:           2
        .value_kind:     hidden_remainder_x
      - .offset:         156
        .size:           2
        .value_kind:     hidden_remainder_y
      - .offset:         158
        .size:           2
        .value_kind:     hidden_remainder_z
      - .offset:         176
        .size:           8
        .value_kind:     hidden_global_offset_x
      - .offset:         184
        .size:           8
        .value_kind:     hidden_global_offset_y
      - .offset:         192
        .size:           8
        .value_kind:     hidden_global_offset_z
      - .offset:         200
        .size:           2
        .value_kind:     hidden_grid_dims
    .group_segment_fixed_size: 16384
    .kernarg_segment_align: 8
    .kernarg_segment_size: 392
    .language:       OpenCL C
    .language_version:
      - 2
      - 0
    .max_flat_workgroup_size: 1024
    .name:           _ZL30rocblas_trmm_outofplace_kernelIdLi32ELi2ELb0ELb1ELb1ELb1EdKddEv17rocblas_diagonal_iiT6_lPT7_lllS4_lllPT8_llli
    .private_segment_fixed_size: 0
    .sgpr_count:     65
    .sgpr_spill_count: 0
    .symbol:         _ZL30rocblas_trmm_outofplace_kernelIdLi32ELi2ELb0ELb1ELb1ELb1EdKddEv17rocblas_diagonal_iiT6_lPT7_lllS4_lllPT8_llli.kd
    .uniform_work_group_size: 1
    .uses_dynamic_stack: false
    .vgpr_count:     80
    .vgpr_spill_count: 0
    .wavefront_size: 64
  - .agpr_count:     0
    .args:
      - .offset:         0
        .size:           4
        .value_kind:     by_value
      - .offset:         4
        .size:           4
        .value_kind:     by_value
      - .offset:         8
        .size:           4
        .value_kind:     by_value
      - .offset:         12
        .size:           4
        .value_kind:     by_value
      - .address_space:  global
        .offset:         16
        .size:           8
        .value_kind:     global_buffer
      - .offset:         24
        .size:           8
        .value_kind:     by_value
      - .address_space:  global
        .offset:         32
        .size:           8
        .value_kind:     global_buffer
      - .offset:         40
        .size:           8
        .value_kind:     by_value
      - .offset:         48
        .size:           8
        .value_kind:     by_value
      - .address_space:  global
        .offset:         56
        .size:           8
        .value_kind:     global_buffer
      - .offset:         64
        .size:           8
        .value_kind:     by_value
      - .offset:         72
        .size:           8
        .value_kind:     by_value
      - .address_space:  global
        .offset:         80
        .size:           8
        .value_kind:     global_buffer
      - .offset:         88
        .size:           8
        .value_kind:     by_value
      - .offset:         96
        .size:           8
        .value_kind:     by_value
      - .offset:         104
        .size:           4
        .value_kind:     by_value
    .group_segment_fixed_size: 16384
    .kernarg_segment_align: 8
    .kernarg_segment_size: 108
    .language:       OpenCL C
    .language_version:
      - 2
      - 0
    .max_flat_workgroup_size: 1024
    .name:           _ZL23rocblas_trmm_lNx_kernelILi32EdPKdS0_dEv13rocblas_fill_17rocblas_diagonal_iiT1_lPT2_llS6_llPT3_lli
    .private_segment_fixed_size: 0
    .sgpr_count:     30
    .sgpr_spill_count: 0
    .symbol:         _ZL23rocblas_trmm_lNx_kernelILi32EdPKdS0_dEv13rocblas_fill_17rocblas_diagonal_iiT1_lPT2_llS6_llPT3_lli.kd
    .uniform_work_group_size: 1
    .uses_dynamic_stack: false
    .vgpr_count:     33
    .vgpr_spill_count: 0
    .wavefront_size: 64
  - .agpr_count:     0
    .args:
      - .offset:         0
        .size:           4
        .value_kind:     by_value
      - .offset:         4
        .size:           4
        .value_kind:     by_value
      - .offset:         8
        .size:           4
        .value_kind:     by_value
      - .offset:         12
        .size:           4
        .value_kind:     by_value
      - .offset:         16
        .size:           8
        .value_kind:     by_value
      - .offset:         24
        .size:           8
        .value_kind:     by_value
      - .address_space:  global
        .offset:         32
        .size:           8
        .value_kind:     global_buffer
      - .offset:         40
        .size:           8
        .value_kind:     by_value
      - .offset:         48
        .size:           8
        .value_kind:     by_value
      - .address_space:  global
        .offset:         56
        .size:           8
        .value_kind:     global_buffer
      - .offset:         64
        .size:           8
        .value_kind:     by_value
      - .offset:         72
        .size:           8
        .value_kind:     by_value
      - .address_space:  global
        .offset:         80
        .size:           8
        .value_kind:     global_buffer
      - .offset:         88
        .size:           8
        .value_kind:     by_value
      - .offset:         96
        .size:           8
        .value_kind:     by_value
      - .offset:         104
        .size:           4
        .value_kind:     by_value
    .group_segment_fixed_size: 16384
    .kernarg_segment_align: 8
    .kernarg_segment_size: 108
    .language:       OpenCL C
    .language_version:
      - 2
      - 0
    .max_flat_workgroup_size: 1024
    .name:           _ZL23rocblas_trmm_lNx_kernelILi32EddKddEv13rocblas_fill_17rocblas_diagonal_iiT1_lPT2_llS5_llPT3_lli
    .private_segment_fixed_size: 0
    .sgpr_count:     34
    .sgpr_spill_count: 0
    .symbol:         _ZL23rocblas_trmm_lNx_kernelILi32EddKddEv13rocblas_fill_17rocblas_diagonal_iiT1_lPT2_llS5_llPT3_lli.kd
    .uniform_work_group_size: 1
    .uses_dynamic_stack: false
    .vgpr_count:     33
    .vgpr_spill_count: 0
    .wavefront_size: 64
  - .agpr_count:     0
    .args:
      - .offset:         0
        .size:           4
        .value_kind:     by_value
      - .offset:         4
        .size:           4
        .value_kind:     by_value
      - .offset:         8
        .size:           4
        .value_kind:     by_value
      - .offset:         12
        .size:           4
        .value_kind:     by_value
      - .address_space:  global
        .offset:         16
        .size:           8
        .value_kind:     global_buffer
      - .offset:         24
        .size:           8
        .value_kind:     by_value
      - .address_space:  global
        .offset:         32
        .size:           8
        .value_kind:     global_buffer
      - .offset:         40
        .size:           8
        .value_kind:     by_value
      - .offset:         48
        .size:           8
        .value_kind:     by_value
      - .address_space:  global
        .offset:         56
        .size:           8
        .value_kind:     global_buffer
      - .offset:         64
        .size:           8
        .value_kind:     by_value
      - .offset:         72
        .size:           8
        .value_kind:     by_value
      - .address_space:  global
        .offset:         80
        .size:           8
        .value_kind:     global_buffer
      - .offset:         88
        .size:           8
        .value_kind:     by_value
      - .offset:         96
        .size:           8
        .value_kind:     by_value
      - .offset:         104
        .size:           4
        .value_kind:     by_value
    .group_segment_fixed_size: 16384
    .kernarg_segment_align: 8
    .kernarg_segment_size: 108
    .language:       OpenCL C
    .language_version:
      - 2
      - 0
    .max_flat_workgroup_size: 1024
    .name:           _ZL23rocblas_trmm_lTx_kernelILi32ELb0EdPKdS0_dEv13rocblas_fill_17rocblas_diagonal_iiT2_lPT3_llS6_llPT4_lli
    .private_segment_fixed_size: 0
    .sgpr_count:     30
    .sgpr_spill_count: 0
    .symbol:         _ZL23rocblas_trmm_lTx_kernelILi32ELb0EdPKdS0_dEv13rocblas_fill_17rocblas_diagonal_iiT2_lPT3_llS6_llPT4_lli.kd
    .uniform_work_group_size: 1
    .uses_dynamic_stack: false
    .vgpr_count:     33
    .vgpr_spill_count: 0
    .wavefront_size: 64
  - .agpr_count:     0
    .args:
      - .offset:         0
        .size:           4
        .value_kind:     by_value
      - .offset:         4
        .size:           4
        .value_kind:     by_value
      - .offset:         8
        .size:           4
        .value_kind:     by_value
      - .offset:         12
        .size:           4
        .value_kind:     by_value
      - .offset:         16
        .size:           8
        .value_kind:     by_value
      - .offset:         24
        .size:           8
        .value_kind:     by_value
      - .address_space:  global
        .offset:         32
        .size:           8
        .value_kind:     global_buffer
      - .offset:         40
        .size:           8
        .value_kind:     by_value
      - .offset:         48
        .size:           8
        .value_kind:     by_value
      - .address_space:  global
        .offset:         56
        .size:           8
        .value_kind:     global_buffer
      - .offset:         64
        .size:           8
        .value_kind:     by_value
      - .offset:         72
        .size:           8
        .value_kind:     by_value
      - .address_space:  global
        .offset:         80
        .size:           8
        .value_kind:     global_buffer
      - .offset:         88
        .size:           8
        .value_kind:     by_value
      - .offset:         96
        .size:           8
        .value_kind:     by_value
      - .offset:         104
        .size:           4
        .value_kind:     by_value
    .group_segment_fixed_size: 16384
    .kernarg_segment_align: 8
    .kernarg_segment_size: 108
    .language:       OpenCL C
    .language_version:
      - 2
      - 0
    .max_flat_workgroup_size: 1024
    .name:           _ZL23rocblas_trmm_lTx_kernelILi32ELb0EddKddEv13rocblas_fill_17rocblas_diagonal_iiT2_lPT3_llS5_llPT4_lli
    .private_segment_fixed_size: 0
    .sgpr_count:     34
    .sgpr_spill_count: 0
    .symbol:         _ZL23rocblas_trmm_lTx_kernelILi32ELb0EddKddEv13rocblas_fill_17rocblas_diagonal_iiT2_lPT3_llS5_llPT4_lli.kd
    .uniform_work_group_size: 1
    .uses_dynamic_stack: false
    .vgpr_count:     33
    .vgpr_spill_count: 0
    .wavefront_size: 64
  - .agpr_count:     0
    .args:
      - .offset:         0
        .size:           4
        .value_kind:     by_value
      - .offset:         4
        .size:           4
        .value_kind:     by_value
      - .offset:         8
        .size:           4
        .value_kind:     by_value
      - .offset:         12
        .size:           4
        .value_kind:     by_value
      - .address_space:  global
        .offset:         16
        .size:           8
        .value_kind:     global_buffer
      - .offset:         24
        .size:           8
        .value_kind:     by_value
      - .address_space:  global
        .offset:         32
        .size:           8
        .value_kind:     global_buffer
      - .offset:         40
        .size:           8
        .value_kind:     by_value
      - .offset:         48
        .size:           8
        .value_kind:     by_value
      - .address_space:  global
        .offset:         56
        .size:           8
        .value_kind:     global_buffer
      - .offset:         64
        .size:           8
        .value_kind:     by_value
      - .offset:         72
        .size:           8
        .value_kind:     by_value
      - .address_space:  global
        .offset:         80
        .size:           8
        .value_kind:     global_buffer
      - .offset:         88
        .size:           8
        .value_kind:     by_value
      - .offset:         96
        .size:           8
        .value_kind:     by_value
      - .offset:         104
        .size:           4
        .value_kind:     by_value
    .group_segment_fixed_size: 16384
    .kernarg_segment_align: 8
    .kernarg_segment_size: 108
    .language:       OpenCL C
    .language_version:
      - 2
      - 0
    .max_flat_workgroup_size: 1024
    .name:           _ZL23rocblas_trmm_lTx_kernelILi32ELb1EdPKdS0_dEv13rocblas_fill_17rocblas_diagonal_iiT2_lPT3_llS6_llPT4_lli
    .private_segment_fixed_size: 0
    .sgpr_count:     30
    .sgpr_spill_count: 0
    .symbol:         _ZL23rocblas_trmm_lTx_kernelILi32ELb1EdPKdS0_dEv13rocblas_fill_17rocblas_diagonal_iiT2_lPT3_llS6_llPT4_lli.kd
    .uniform_work_group_size: 1
    .uses_dynamic_stack: false
    .vgpr_count:     33
    .vgpr_spill_count: 0
    .wavefront_size: 64
  - .agpr_count:     0
    .args:
      - .offset:         0
        .size:           4
        .value_kind:     by_value
      - .offset:         4
        .size:           4
        .value_kind:     by_value
      - .offset:         8
        .size:           4
        .value_kind:     by_value
      - .offset:         12
        .size:           4
        .value_kind:     by_value
      - .offset:         16
        .size:           8
        .value_kind:     by_value
      - .offset:         24
        .size:           8
        .value_kind:     by_value
      - .address_space:  global
        .offset:         32
        .size:           8
        .value_kind:     global_buffer
      - .offset:         40
        .size:           8
        .value_kind:     by_value
      - .offset:         48
        .size:           8
        .value_kind:     by_value
      - .address_space:  global
        .offset:         56
        .size:           8
        .value_kind:     global_buffer
      - .offset:         64
        .size:           8
        .value_kind:     by_value
      - .offset:         72
        .size:           8
        .value_kind:     by_value
      - .address_space:  global
        .offset:         80
        .size:           8
        .value_kind:     global_buffer
      - .offset:         88
        .size:           8
        .value_kind:     by_value
      - .offset:         96
        .size:           8
        .value_kind:     by_value
      - .offset:         104
        .size:           4
        .value_kind:     by_value
    .group_segment_fixed_size: 16384
    .kernarg_segment_align: 8
    .kernarg_segment_size: 108
    .language:       OpenCL C
    .language_version:
      - 2
      - 0
    .max_flat_workgroup_size: 1024
    .name:           _ZL23rocblas_trmm_lTx_kernelILi32ELb1EddKddEv13rocblas_fill_17rocblas_diagonal_iiT2_lPT3_llS5_llPT4_lli
    .private_segment_fixed_size: 0
    .sgpr_count:     34
    .sgpr_spill_count: 0
    .symbol:         _ZL23rocblas_trmm_lTx_kernelILi32ELb1EddKddEv13rocblas_fill_17rocblas_diagonal_iiT2_lPT3_llS5_llPT4_lli.kd
    .uniform_work_group_size: 1
    .uses_dynamic_stack: false
    .vgpr_count:     33
    .vgpr_spill_count: 0
    .wavefront_size: 64
  - .agpr_count:     0
    .args:
      - .offset:         0
        .size:           4
        .value_kind:     by_value
      - .offset:         4
        .size:           4
        .value_kind:     by_value
      - .offset:         8
        .size:           4
        .value_kind:     by_value
      - .offset:         12
        .size:           4
        .value_kind:     by_value
      - .address_space:  global
        .offset:         16
        .size:           8
        .value_kind:     global_buffer
      - .offset:         24
        .size:           8
        .value_kind:     by_value
      - .address_space:  global
        .offset:         32
        .size:           8
        .value_kind:     global_buffer
      - .offset:         40
        .size:           8
        .value_kind:     by_value
      - .offset:         48
        .size:           8
        .value_kind:     by_value
      - .address_space:  global
        .offset:         56
        .size:           8
        .value_kind:     global_buffer
      - .offset:         64
        .size:           8
        .value_kind:     by_value
      - .offset:         72
        .size:           8
        .value_kind:     by_value
      - .address_space:  global
        .offset:         80
        .size:           8
        .value_kind:     global_buffer
      - .offset:         88
        .size:           8
        .value_kind:     by_value
      - .offset:         96
        .size:           8
        .value_kind:     by_value
      - .offset:         104
        .size:           4
        .value_kind:     by_value
    .group_segment_fixed_size: 16384
    .kernarg_segment_align: 8
    .kernarg_segment_size: 108
    .language:       OpenCL C
    .language_version:
      - 2
      - 0
    .max_flat_workgroup_size: 1024
    .name:           _ZL23rocblas_trmm_rNx_kernelILi32EdPKdS0_dEv13rocblas_fill_17rocblas_diagonal_iiT1_lPT2_llS6_llPT3_lli
    .private_segment_fixed_size: 0
    .sgpr_count:     30
    .sgpr_spill_count: 0
    .symbol:         _ZL23rocblas_trmm_rNx_kernelILi32EdPKdS0_dEv13rocblas_fill_17rocblas_diagonal_iiT1_lPT2_llS6_llPT3_lli.kd
    .uniform_work_group_size: 1
    .uses_dynamic_stack: false
    .vgpr_count:     34
    .vgpr_spill_count: 0
    .wavefront_size: 64
  - .agpr_count:     0
    .args:
      - .offset:         0
        .size:           4
        .value_kind:     by_value
      - .offset:         4
        .size:           4
        .value_kind:     by_value
      - .offset:         8
        .size:           4
        .value_kind:     by_value
      - .offset:         12
        .size:           4
        .value_kind:     by_value
      - .offset:         16
        .size:           8
        .value_kind:     by_value
      - .offset:         24
        .size:           8
        .value_kind:     by_value
      - .address_space:  global
        .offset:         32
        .size:           8
        .value_kind:     global_buffer
      - .offset:         40
        .size:           8
        .value_kind:     by_value
      - .offset:         48
        .size:           8
        .value_kind:     by_value
      - .address_space:  global
        .offset:         56
        .size:           8
        .value_kind:     global_buffer
      - .offset:         64
        .size:           8
        .value_kind:     by_value
      - .offset:         72
        .size:           8
        .value_kind:     by_value
      - .address_space:  global
        .offset:         80
        .size:           8
        .value_kind:     global_buffer
      - .offset:         88
        .size:           8
        .value_kind:     by_value
      - .offset:         96
        .size:           8
        .value_kind:     by_value
      - .offset:         104
        .size:           4
        .value_kind:     by_value
    .group_segment_fixed_size: 16384
    .kernarg_segment_align: 8
    .kernarg_segment_size: 108
    .language:       OpenCL C
    .language_version:
      - 2
      - 0
    .max_flat_workgroup_size: 1024
    .name:           _ZL23rocblas_trmm_rNx_kernelILi32EddKddEv13rocblas_fill_17rocblas_diagonal_iiT1_lPT2_llS5_llPT3_lli
    .private_segment_fixed_size: 0
    .sgpr_count:     34
    .sgpr_spill_count: 0
    .symbol:         _ZL23rocblas_trmm_rNx_kernelILi32EddKddEv13rocblas_fill_17rocblas_diagonal_iiT1_lPT2_llS5_llPT3_lli.kd
    .uniform_work_group_size: 1
    .uses_dynamic_stack: false
    .vgpr_count:     34
    .vgpr_spill_count: 0
    .wavefront_size: 64
  - .agpr_count:     0
    .args:
      - .offset:         0
        .size:           4
        .value_kind:     by_value
      - .offset:         4
        .size:           4
        .value_kind:     by_value
      - .offset:         8
        .size:           4
        .value_kind:     by_value
      - .offset:         12
        .size:           4
        .value_kind:     by_value
      - .address_space:  global
        .offset:         16
        .size:           8
        .value_kind:     global_buffer
      - .offset:         24
        .size:           8
        .value_kind:     by_value
      - .address_space:  global
        .offset:         32
        .size:           8
        .value_kind:     global_buffer
      - .offset:         40
        .size:           8
        .value_kind:     by_value
      - .offset:         48
        .size:           8
        .value_kind:     by_value
      - .address_space:  global
        .offset:         56
        .size:           8
        .value_kind:     global_buffer
      - .offset:         64
        .size:           8
        .value_kind:     by_value
      - .offset:         72
        .size:           8
        .value_kind:     by_value
      - .address_space:  global
        .offset:         80
        .size:           8
        .value_kind:     global_buffer
      - .offset:         88
        .size:           8
        .value_kind:     by_value
      - .offset:         96
        .size:           8
        .value_kind:     by_value
      - .offset:         104
        .size:           4
        .value_kind:     by_value
    .group_segment_fixed_size: 16384
    .kernarg_segment_align: 8
    .kernarg_segment_size: 108
    .language:       OpenCL C
    .language_version:
      - 2
      - 0
    .max_flat_workgroup_size: 1024
    .name:           _ZL23rocblas_trmm_rTx_kernelILi32ELb0EdPKdS0_dEv13rocblas_fill_17rocblas_diagonal_iiT2_lPT3_llS6_llPT4_lli
    .private_segment_fixed_size: 0
    .sgpr_count:     30
    .sgpr_spill_count: 0
    .symbol:         _ZL23rocblas_trmm_rTx_kernelILi32ELb0EdPKdS0_dEv13rocblas_fill_17rocblas_diagonal_iiT2_lPT3_llS6_llPT4_lli.kd
    .uniform_work_group_size: 1
    .uses_dynamic_stack: false
    .vgpr_count:     31
    .vgpr_spill_count: 0
    .wavefront_size: 64
  - .agpr_count:     0
    .args:
      - .offset:         0
        .size:           4
        .value_kind:     by_value
      - .offset:         4
        .size:           4
        .value_kind:     by_value
      - .offset:         8
        .size:           4
        .value_kind:     by_value
      - .offset:         12
        .size:           4
        .value_kind:     by_value
      - .offset:         16
        .size:           8
        .value_kind:     by_value
      - .offset:         24
        .size:           8
        .value_kind:     by_value
      - .address_space:  global
        .offset:         32
        .size:           8
        .value_kind:     global_buffer
      - .offset:         40
        .size:           8
        .value_kind:     by_value
      - .offset:         48
        .size:           8
        .value_kind:     by_value
      - .address_space:  global
        .offset:         56
        .size:           8
        .value_kind:     global_buffer
      - .offset:         64
        .size:           8
        .value_kind:     by_value
      - .offset:         72
        .size:           8
        .value_kind:     by_value
      - .address_space:  global
        .offset:         80
        .size:           8
        .value_kind:     global_buffer
      - .offset:         88
        .size:           8
        .value_kind:     by_value
      - .offset:         96
        .size:           8
        .value_kind:     by_value
      - .offset:         104
        .size:           4
        .value_kind:     by_value
    .group_segment_fixed_size: 16384
    .kernarg_segment_align: 8
    .kernarg_segment_size: 108
    .language:       OpenCL C
    .language_version:
      - 2
      - 0
    .max_flat_workgroup_size: 1024
    .name:           _ZL23rocblas_trmm_rTx_kernelILi32ELb0EddKddEv13rocblas_fill_17rocblas_diagonal_iiT2_lPT3_llS5_llPT4_lli
    .private_segment_fixed_size: 0
    .sgpr_count:     34
    .sgpr_spill_count: 0
    .symbol:         _ZL23rocblas_trmm_rTx_kernelILi32ELb0EddKddEv13rocblas_fill_17rocblas_diagonal_iiT2_lPT3_llS5_llPT4_lli.kd
    .uniform_work_group_size: 1
    .uses_dynamic_stack: false
    .vgpr_count:     31
    .vgpr_spill_count: 0
    .wavefront_size: 64
  - .agpr_count:     0
    .args:
      - .offset:         0
        .size:           4
        .value_kind:     by_value
      - .offset:         4
        .size:           4
        .value_kind:     by_value
      - .offset:         8
        .size:           4
        .value_kind:     by_value
      - .offset:         12
        .size:           4
        .value_kind:     by_value
      - .address_space:  global
        .offset:         16
        .size:           8
        .value_kind:     global_buffer
      - .offset:         24
        .size:           8
        .value_kind:     by_value
      - .address_space:  global
        .offset:         32
        .size:           8
        .value_kind:     global_buffer
      - .offset:         40
        .size:           8
        .value_kind:     by_value
      - .offset:         48
        .size:           8
        .value_kind:     by_value
      - .address_space:  global
        .offset:         56
        .size:           8
        .value_kind:     global_buffer
      - .offset:         64
        .size:           8
        .value_kind:     by_value
      - .offset:         72
        .size:           8
        .value_kind:     by_value
      - .address_space:  global
        .offset:         80
        .size:           8
        .value_kind:     global_buffer
      - .offset:         88
        .size:           8
        .value_kind:     by_value
      - .offset:         96
        .size:           8
        .value_kind:     by_value
      - .offset:         104
        .size:           4
        .value_kind:     by_value
    .group_segment_fixed_size: 16384
    .kernarg_segment_align: 8
    .kernarg_segment_size: 108
    .language:       OpenCL C
    .language_version:
      - 2
      - 0
    .max_flat_workgroup_size: 1024
    .name:           _ZL23rocblas_trmm_rTx_kernelILi32ELb1EdPKdS0_dEv13rocblas_fill_17rocblas_diagonal_iiT2_lPT3_llS6_llPT4_lli
    .private_segment_fixed_size: 0
    .sgpr_count:     30
    .sgpr_spill_count: 0
    .symbol:         _ZL23rocblas_trmm_rTx_kernelILi32ELb1EdPKdS0_dEv13rocblas_fill_17rocblas_diagonal_iiT2_lPT3_llS6_llPT4_lli.kd
    .uniform_work_group_size: 1
    .uses_dynamic_stack: false
    .vgpr_count:     31
    .vgpr_spill_count: 0
    .wavefront_size: 64
  - .agpr_count:     0
    .args:
      - .offset:         0
        .size:           4
        .value_kind:     by_value
      - .offset:         4
        .size:           4
        .value_kind:     by_value
      - .offset:         8
        .size:           4
        .value_kind:     by_value
      - .offset:         12
        .size:           4
        .value_kind:     by_value
      - .offset:         16
        .size:           8
        .value_kind:     by_value
      - .offset:         24
        .size:           8
        .value_kind:     by_value
      - .address_space:  global
        .offset:         32
        .size:           8
        .value_kind:     global_buffer
      - .offset:         40
        .size:           8
        .value_kind:     by_value
      - .offset:         48
        .size:           8
        .value_kind:     by_value
      - .address_space:  global
        .offset:         56
        .size:           8
        .value_kind:     global_buffer
      - .offset:         64
        .size:           8
        .value_kind:     by_value
      - .offset:         72
        .size:           8
        .value_kind:     by_value
      - .address_space:  global
        .offset:         80
        .size:           8
        .value_kind:     global_buffer
      - .offset:         88
        .size:           8
        .value_kind:     by_value
      - .offset:         96
        .size:           8
        .value_kind:     by_value
      - .offset:         104
        .size:           4
        .value_kind:     by_value
    .group_segment_fixed_size: 16384
    .kernarg_segment_align: 8
    .kernarg_segment_size: 108
    .language:       OpenCL C
    .language_version:
      - 2
      - 0
    .max_flat_workgroup_size: 1024
    .name:           _ZL23rocblas_trmm_rTx_kernelILi32ELb1EddKddEv13rocblas_fill_17rocblas_diagonal_iiT2_lPT3_llS5_llPT4_lli
    .private_segment_fixed_size: 0
    .sgpr_count:     34
    .sgpr_spill_count: 0
    .symbol:         _ZL23rocblas_trmm_rTx_kernelILi32ELb1EddKddEv13rocblas_fill_17rocblas_diagonal_iiT2_lPT3_llS5_llPT4_lli.kd
    .uniform_work_group_size: 1
    .uses_dynamic_stack: false
    .vgpr_count:     31
    .vgpr_spill_count: 0
    .wavefront_size: 64
  - .agpr_count:     0
    .args:
      - .offset:         0
        .size:           4
        .value_kind:     by_value
      - .offset:         4
        .size:           4
        .value_kind:     by_value
      - .offset:         8
        .size:           4
        .value_kind:     by_value
      - .address_space:  global
        .offset:         16
        .size:           8
        .value_kind:     global_buffer
      - .offset:         24
        .size:           8
        .value_kind:     by_value
      - .address_space:  global
        .offset:         32
        .size:           8
        .value_kind:     global_buffer
      - .offset:         40
        .size:           8
        .value_kind:     by_value
      - .offset:         48
        .size:           8
        .value_kind:     by_value
      - .offset:         56
        .size:           8
        .value_kind:     by_value
      - .address_space:  global
        .offset:         64
        .size:           8
        .value_kind:     global_buffer
      - .offset:         72
        .size:           8
        .value_kind:     by_value
      - .offset:         80
        .size:           8
        .value_kind:     by_value
      - .offset:         88
        .size:           8
        .value_kind:     by_value
      - .address_space:  global
        .offset:         96
        .size:           8
        .value_kind:     global_buffer
      - .offset:         104
        .size:           8
        .value_kind:     by_value
      - .offset:         112
        .size:           8
        .value_kind:     by_value
      - .offset:         120
        .size:           8
        .value_kind:     by_value
      - .offset:         128
        .size:           4
        .value_kind:     by_value
      - .offset:         136
        .size:           4
        .value_kind:     hidden_block_count_x
      - .offset:         140
        .size:           4
        .value_kind:     hidden_block_count_y
      - .offset:         144
        .size:           4
        .value_kind:     hidden_block_count_z
      - .offset:         148
        .size:           2
        .value_kind:     hidden_group_size_x
      - .offset:         150
        .size:           2
        .value_kind:     hidden_group_size_y
      - .offset:         152
        .size:           2
        .value_kind:     hidden_group_size_z
      - .offset:         154
        .size:           2
        .value_kind:     hidden_remainder_x
      - .offset:         156
        .size:           2
        .value_kind:     hidden_remainder_y
      - .offset:         158
        .size:           2
        .value_kind:     hidden_remainder_z
      - .offset:         176
        .size:           8
        .value_kind:     hidden_global_offset_x
      - .offset:         184
        .size:           8
        .value_kind:     hidden_global_offset_y
      - .offset:         192
        .size:           8
        .value_kind:     hidden_global_offset_z
      - .offset:         200
        .size:           2
        .value_kind:     hidden_grid_dims
    .group_segment_fixed_size: 16384
    .kernarg_segment_align: 8
    .kernarg_segment_size: 392
    .language:       OpenCL C
    .language_version:
      - 2
      - 0
    .max_flat_workgroup_size: 1024
    .name:           _ZL30rocblas_trmm_outofplace_kernelI19rocblas_complex_numIfELi32ELi2ELb1ELb0ELb0ELb0EPKS1_S2_S1_Ev17rocblas_diagonal_iiT6_lPT7_lllS7_lllPT8_llli
    .private_segment_fixed_size: 0
    .sgpr_count:     59
    .sgpr_spill_count: 0
    .symbol:         _ZL30rocblas_trmm_outofplace_kernelI19rocblas_complex_numIfELi32ELi2ELb1ELb0ELb0ELb0EPKS1_S2_S1_Ev17rocblas_diagonal_iiT6_lPT7_lllS7_lllPT8_llli.kd
    .uniform_work_group_size: 1
    .uses_dynamic_stack: false
    .vgpr_count:     77
    .vgpr_spill_count: 0
    .wavefront_size: 64
  - .agpr_count:     0
    .args:
      - .offset:         0
        .size:           4
        .value_kind:     by_value
      - .offset:         4
        .size:           4
        .value_kind:     by_value
      - .offset:         8
        .size:           4
        .value_kind:     by_value
      - .offset:         12
        .size:           8
        .value_kind:     by_value
      - .offset:         24
        .size:           8
        .value_kind:     by_value
      - .address_space:  global
        .offset:         32
        .size:           8
        .value_kind:     global_buffer
      - .offset:         40
        .size:           8
        .value_kind:     by_value
      - .offset:         48
        .size:           8
        .value_kind:     by_value
      - .offset:         56
        .size:           8
        .value_kind:     by_value
      - .address_space:  global
        .offset:         64
        .size:           8
        .value_kind:     global_buffer
      - .offset:         72
        .size:           8
        .value_kind:     by_value
      - .offset:         80
        .size:           8
        .value_kind:     by_value
      - .offset:         88
        .size:           8
        .value_kind:     by_value
      - .address_space:  global
        .offset:         96
        .size:           8
        .value_kind:     global_buffer
      - .offset:         104
        .size:           8
        .value_kind:     by_value
      - .offset:         112
        .size:           8
        .value_kind:     by_value
      - .offset:         120
        .size:           8
        .value_kind:     by_value
      - .offset:         128
        .size:           4
        .value_kind:     by_value
      - .offset:         136
        .size:           4
        .value_kind:     hidden_block_count_x
      - .offset:         140
        .size:           4
        .value_kind:     hidden_block_count_y
      - .offset:         144
        .size:           4
        .value_kind:     hidden_block_count_z
      - .offset:         148
        .size:           2
        .value_kind:     hidden_group_size_x
      - .offset:         150
        .size:           2
        .value_kind:     hidden_group_size_y
      - .offset:         152
        .size:           2
        .value_kind:     hidden_group_size_z
      - .offset:         154
        .size:           2
        .value_kind:     hidden_remainder_x
      - .offset:         156
        .size:           2
        .value_kind:     hidden_remainder_y
      - .offset:         158
        .size:           2
        .value_kind:     hidden_remainder_z
      - .offset:         176
        .size:           8
        .value_kind:     hidden_global_offset_x
      - .offset:         184
        .size:           8
        .value_kind:     hidden_global_offset_y
      - .offset:         192
        .size:           8
        .value_kind:     hidden_global_offset_z
      - .offset:         200
        .size:           2
        .value_kind:     hidden_grid_dims
    .group_segment_fixed_size: 16384
    .kernarg_segment_align: 8
    .kernarg_segment_size: 392
    .language:       OpenCL C
    .language_version:
      - 2
      - 0
    .max_flat_workgroup_size: 1024
    .name:           _ZL30rocblas_trmm_outofplace_kernelI19rocblas_complex_numIfELi32ELi2ELb1ELb0ELb0ELb0ES1_KS1_S1_Ev17rocblas_diagonal_iiT6_lPT7_lllS6_lllPT8_llli
    .private_segment_fixed_size: 0
    .sgpr_count:     59
    .sgpr_spill_count: 0
    .symbol:         _ZL30rocblas_trmm_outofplace_kernelI19rocblas_complex_numIfELi32ELi2ELb1ELb0ELb0ELb0ES1_KS1_S1_Ev17rocblas_diagonal_iiT6_lPT7_lllS6_lllPT8_llli.kd
    .uniform_work_group_size: 1
    .uses_dynamic_stack: false
    .vgpr_count:     77
    .vgpr_spill_count: 0
    .wavefront_size: 64
  - .agpr_count:     0
    .args:
      - .offset:         0
        .size:           4
        .value_kind:     by_value
      - .offset:         4
        .size:           4
        .value_kind:     by_value
      - .offset:         8
        .size:           4
        .value_kind:     by_value
      - .address_space:  global
        .offset:         16
        .size:           8
        .value_kind:     global_buffer
      - .offset:         24
        .size:           8
        .value_kind:     by_value
      - .address_space:  global
        .offset:         32
        .size:           8
        .value_kind:     global_buffer
      - .offset:         40
        .size:           8
        .value_kind:     by_value
      - .offset:         48
        .size:           8
        .value_kind:     by_value
      - .offset:         56
        .size:           8
        .value_kind:     by_value
      - .address_space:  global
        .offset:         64
        .size:           8
        .value_kind:     global_buffer
      - .offset:         72
        .size:           8
        .value_kind:     by_value
      - .offset:         80
        .size:           8
        .value_kind:     by_value
      - .offset:         88
        .size:           8
        .value_kind:     by_value
      - .address_space:  global
        .offset:         96
        .size:           8
        .value_kind:     global_buffer
      - .offset:         104
        .size:           8
        .value_kind:     by_value
      - .offset:         112
        .size:           8
        .value_kind:     by_value
      - .offset:         120
        .size:           8
        .value_kind:     by_value
      - .offset:         128
        .size:           4
        .value_kind:     by_value
      - .offset:         136
        .size:           4
        .value_kind:     hidden_block_count_x
      - .offset:         140
        .size:           4
        .value_kind:     hidden_block_count_y
      - .offset:         144
        .size:           4
        .value_kind:     hidden_block_count_z
      - .offset:         148
        .size:           2
        .value_kind:     hidden_group_size_x
      - .offset:         150
        .size:           2
        .value_kind:     hidden_group_size_y
      - .offset:         152
        .size:           2
        .value_kind:     hidden_group_size_z
      - .offset:         154
        .size:           2
        .value_kind:     hidden_remainder_x
      - .offset:         156
        .size:           2
        .value_kind:     hidden_remainder_y
      - .offset:         158
        .size:           2
        .value_kind:     hidden_remainder_z
      - .offset:         176
        .size:           8
        .value_kind:     hidden_global_offset_x
      - .offset:         184
        .size:           8
        .value_kind:     hidden_global_offset_y
      - .offset:         192
        .size:           8
        .value_kind:     hidden_global_offset_z
      - .offset:         200
        .size:           2
        .value_kind:     hidden_grid_dims
    .group_segment_fixed_size: 16384
    .kernarg_segment_align: 8
    .kernarg_segment_size: 392
    .language:       OpenCL C
    .language_version:
      - 2
      - 0
    .max_flat_workgroup_size: 1024
    .name:           _ZL30rocblas_trmm_outofplace_kernelI19rocblas_complex_numIfELi32ELi2ELb1ELb1ELb0ELb0EPKS1_S2_S1_Ev17rocblas_diagonal_iiT6_lPT7_lllS7_lllPT8_llli
    .private_segment_fixed_size: 0
    .sgpr_count:     61
    .sgpr_spill_count: 0
    .symbol:         _ZL30rocblas_trmm_outofplace_kernelI19rocblas_complex_numIfELi32ELi2ELb1ELb1ELb0ELb0EPKS1_S2_S1_Ev17rocblas_diagonal_iiT6_lPT7_lllS7_lllPT8_llli.kd
    .uniform_work_group_size: 1
    .uses_dynamic_stack: false
    .vgpr_count:     76
    .vgpr_spill_count: 0
    .wavefront_size: 64
  - .agpr_count:     0
    .args:
      - .offset:         0
        .size:           4
        .value_kind:     by_value
      - .offset:         4
        .size:           4
        .value_kind:     by_value
      - .offset:         8
        .size:           4
        .value_kind:     by_value
      - .offset:         12
        .size:           8
        .value_kind:     by_value
      - .offset:         24
        .size:           8
        .value_kind:     by_value
      - .address_space:  global
        .offset:         32
        .size:           8
        .value_kind:     global_buffer
      - .offset:         40
        .size:           8
        .value_kind:     by_value
      - .offset:         48
        .size:           8
        .value_kind:     by_value
      - .offset:         56
        .size:           8
        .value_kind:     by_value
      - .address_space:  global
        .offset:         64
        .size:           8
        .value_kind:     global_buffer
      - .offset:         72
        .size:           8
        .value_kind:     by_value
      - .offset:         80
        .size:           8
        .value_kind:     by_value
      - .offset:         88
        .size:           8
        .value_kind:     by_value
      - .address_space:  global
        .offset:         96
        .size:           8
        .value_kind:     global_buffer
      - .offset:         104
        .size:           8
        .value_kind:     by_value
      - .offset:         112
        .size:           8
        .value_kind:     by_value
      - .offset:         120
        .size:           8
        .value_kind:     by_value
      - .offset:         128
        .size:           4
        .value_kind:     by_value
      - .offset:         136
        .size:           4
        .value_kind:     hidden_block_count_x
      - .offset:         140
        .size:           4
        .value_kind:     hidden_block_count_y
      - .offset:         144
        .size:           4
        .value_kind:     hidden_block_count_z
      - .offset:         148
        .size:           2
        .value_kind:     hidden_group_size_x
      - .offset:         150
        .size:           2
        .value_kind:     hidden_group_size_y
      - .offset:         152
        .size:           2
        .value_kind:     hidden_group_size_z
      - .offset:         154
        .size:           2
        .value_kind:     hidden_remainder_x
      - .offset:         156
        .size:           2
        .value_kind:     hidden_remainder_y
      - .offset:         158
        .size:           2
        .value_kind:     hidden_remainder_z
      - .offset:         176
        .size:           8
        .value_kind:     hidden_global_offset_x
      - .offset:         184
        .size:           8
        .value_kind:     hidden_global_offset_y
      - .offset:         192
        .size:           8
        .value_kind:     hidden_global_offset_z
      - .offset:         200
        .size:           2
        .value_kind:     hidden_grid_dims
    .group_segment_fixed_size: 16384
    .kernarg_segment_align: 8
    .kernarg_segment_size: 392
    .language:       OpenCL C
    .language_version:
      - 2
      - 0
    .max_flat_workgroup_size: 1024
    .name:           _ZL30rocblas_trmm_outofplace_kernelI19rocblas_complex_numIfELi32ELi2ELb1ELb1ELb0ELb0ES1_KS1_S1_Ev17rocblas_diagonal_iiT6_lPT7_lllS6_lllPT8_llli
    .private_segment_fixed_size: 0
    .sgpr_count:     61
    .sgpr_spill_count: 0
    .symbol:         _ZL30rocblas_trmm_outofplace_kernelI19rocblas_complex_numIfELi32ELi2ELb1ELb1ELb0ELb0ES1_KS1_S1_Ev17rocblas_diagonal_iiT6_lPT7_lllS6_lllPT8_llli.kd
    .uniform_work_group_size: 1
    .uses_dynamic_stack: false
    .vgpr_count:     76
    .vgpr_spill_count: 0
    .wavefront_size: 64
  - .agpr_count:     0
    .args:
      - .offset:         0
        .size:           4
        .value_kind:     by_value
      - .offset:         4
        .size:           4
        .value_kind:     by_value
      - .offset:         8
        .size:           4
        .value_kind:     by_value
      - .address_space:  global
        .offset:         16
        .size:           8
        .value_kind:     global_buffer
      - .offset:         24
        .size:           8
        .value_kind:     by_value
      - .address_space:  global
        .offset:         32
        .size:           8
        .value_kind:     global_buffer
      - .offset:         40
        .size:           8
        .value_kind:     by_value
      - .offset:         48
        .size:           8
        .value_kind:     by_value
      - .offset:         56
        .size:           8
        .value_kind:     by_value
      - .address_space:  global
        .offset:         64
        .size:           8
        .value_kind:     global_buffer
      - .offset:         72
        .size:           8
        .value_kind:     by_value
      - .offset:         80
        .size:           8
        .value_kind:     by_value
      - .offset:         88
        .size:           8
        .value_kind:     by_value
      - .address_space:  global
        .offset:         96
        .size:           8
        .value_kind:     global_buffer
      - .offset:         104
        .size:           8
        .value_kind:     by_value
      - .offset:         112
        .size:           8
        .value_kind:     by_value
      - .offset:         120
        .size:           8
        .value_kind:     by_value
      - .offset:         128
        .size:           4
        .value_kind:     by_value
      - .offset:         136
        .size:           4
        .value_kind:     hidden_block_count_x
      - .offset:         140
        .size:           4
        .value_kind:     hidden_block_count_y
      - .offset:         144
        .size:           4
        .value_kind:     hidden_block_count_z
      - .offset:         148
        .size:           2
        .value_kind:     hidden_group_size_x
      - .offset:         150
        .size:           2
        .value_kind:     hidden_group_size_y
      - .offset:         152
        .size:           2
        .value_kind:     hidden_group_size_z
      - .offset:         154
        .size:           2
        .value_kind:     hidden_remainder_x
      - .offset:         156
        .size:           2
        .value_kind:     hidden_remainder_y
      - .offset:         158
        .size:           2
        .value_kind:     hidden_remainder_z
      - .offset:         176
        .size:           8
        .value_kind:     hidden_global_offset_x
      - .offset:         184
        .size:           8
        .value_kind:     hidden_global_offset_y
      - .offset:         192
        .size:           8
        .value_kind:     hidden_global_offset_z
      - .offset:         200
        .size:           2
        .value_kind:     hidden_grid_dims
    .group_segment_fixed_size: 16384
    .kernarg_segment_align: 8
    .kernarg_segment_size: 392
    .language:       OpenCL C
    .language_version:
      - 2
      - 0
    .max_flat_workgroup_size: 1024
    .name:           _ZL30rocblas_trmm_outofplace_kernelI19rocblas_complex_numIfELi32ELi2ELb1ELb0ELb1ELb0EPKS1_S2_S1_Ev17rocblas_diagonal_iiT6_lPT7_lllS7_lllPT8_llli
    .private_segment_fixed_size: 0
    .sgpr_count:     58
    .sgpr_spill_count: 0
    .symbol:         _ZL30rocblas_trmm_outofplace_kernelI19rocblas_complex_numIfELi32ELi2ELb1ELb0ELb1ELb0EPKS1_S2_S1_Ev17rocblas_diagonal_iiT6_lPT7_lllS7_lllPT8_llli.kd
    .uniform_work_group_size: 1
    .uses_dynamic_stack: false
    .vgpr_count:     78
    .vgpr_spill_count: 0
    .wavefront_size: 64
  - .agpr_count:     0
    .args:
      - .offset:         0
        .size:           4
        .value_kind:     by_value
      - .offset:         4
        .size:           4
        .value_kind:     by_value
      - .offset:         8
        .size:           4
        .value_kind:     by_value
      - .offset:         12
        .size:           8
        .value_kind:     by_value
      - .offset:         24
        .size:           8
        .value_kind:     by_value
      - .address_space:  global
        .offset:         32
        .size:           8
        .value_kind:     global_buffer
      - .offset:         40
        .size:           8
        .value_kind:     by_value
      - .offset:         48
        .size:           8
        .value_kind:     by_value
      - .offset:         56
        .size:           8
        .value_kind:     by_value
      - .address_space:  global
        .offset:         64
        .size:           8
        .value_kind:     global_buffer
      - .offset:         72
        .size:           8
        .value_kind:     by_value
      - .offset:         80
        .size:           8
        .value_kind:     by_value
      - .offset:         88
        .size:           8
        .value_kind:     by_value
      - .address_space:  global
        .offset:         96
        .size:           8
        .value_kind:     global_buffer
      - .offset:         104
        .size:           8
        .value_kind:     by_value
      - .offset:         112
        .size:           8
        .value_kind:     by_value
      - .offset:         120
        .size:           8
        .value_kind:     by_value
      - .offset:         128
        .size:           4
        .value_kind:     by_value
      - .offset:         136
        .size:           4
        .value_kind:     hidden_block_count_x
      - .offset:         140
        .size:           4
        .value_kind:     hidden_block_count_y
      - .offset:         144
        .size:           4
        .value_kind:     hidden_block_count_z
      - .offset:         148
        .size:           2
        .value_kind:     hidden_group_size_x
      - .offset:         150
        .size:           2
        .value_kind:     hidden_group_size_y
      - .offset:         152
        .size:           2
        .value_kind:     hidden_group_size_z
      - .offset:         154
        .size:           2
        .value_kind:     hidden_remainder_x
      - .offset:         156
        .size:           2
        .value_kind:     hidden_remainder_y
      - .offset:         158
        .size:           2
        .value_kind:     hidden_remainder_z
      - .offset:         176
        .size:           8
        .value_kind:     hidden_global_offset_x
      - .offset:         184
        .size:           8
        .value_kind:     hidden_global_offset_y
      - .offset:         192
        .size:           8
        .value_kind:     hidden_global_offset_z
      - .offset:         200
        .size:           2
        .value_kind:     hidden_grid_dims
    .group_segment_fixed_size: 16384
    .kernarg_segment_align: 8
    .kernarg_segment_size: 392
    .language:       OpenCL C
    .language_version:
      - 2
      - 0
    .max_flat_workgroup_size: 1024
    .name:           _ZL30rocblas_trmm_outofplace_kernelI19rocblas_complex_numIfELi32ELi2ELb1ELb0ELb1ELb0ES1_KS1_S1_Ev17rocblas_diagonal_iiT6_lPT7_lllS6_lllPT8_llli
    .private_segment_fixed_size: 0
    .sgpr_count:     58
    .sgpr_spill_count: 0
    .symbol:         _ZL30rocblas_trmm_outofplace_kernelI19rocblas_complex_numIfELi32ELi2ELb1ELb0ELb1ELb0ES1_KS1_S1_Ev17rocblas_diagonal_iiT6_lPT7_lllS6_lllPT8_llli.kd
    .uniform_work_group_size: 1
    .uses_dynamic_stack: false
    .vgpr_count:     78
    .vgpr_spill_count: 0
    .wavefront_size: 64
  - .agpr_count:     0
    .args:
      - .offset:         0
        .size:           4
        .value_kind:     by_value
      - .offset:         4
        .size:           4
        .value_kind:     by_value
      - .offset:         8
        .size:           4
        .value_kind:     by_value
      - .address_space:  global
        .offset:         16
        .size:           8
        .value_kind:     global_buffer
      - .offset:         24
        .size:           8
        .value_kind:     by_value
      - .address_space:  global
        .offset:         32
        .size:           8
        .value_kind:     global_buffer
      - .offset:         40
        .size:           8
        .value_kind:     by_value
      - .offset:         48
        .size:           8
        .value_kind:     by_value
      - .offset:         56
        .size:           8
        .value_kind:     by_value
      - .address_space:  global
        .offset:         64
        .size:           8
        .value_kind:     global_buffer
      - .offset:         72
        .size:           8
        .value_kind:     by_value
      - .offset:         80
        .size:           8
        .value_kind:     by_value
      - .offset:         88
        .size:           8
        .value_kind:     by_value
      - .address_space:  global
        .offset:         96
        .size:           8
        .value_kind:     global_buffer
      - .offset:         104
        .size:           8
        .value_kind:     by_value
      - .offset:         112
        .size:           8
        .value_kind:     by_value
      - .offset:         120
        .size:           8
        .value_kind:     by_value
      - .offset:         128
        .size:           4
        .value_kind:     by_value
      - .offset:         136
        .size:           4
        .value_kind:     hidden_block_count_x
      - .offset:         140
        .size:           4
        .value_kind:     hidden_block_count_y
      - .offset:         144
        .size:           4
        .value_kind:     hidden_block_count_z
      - .offset:         148
        .size:           2
        .value_kind:     hidden_group_size_x
      - .offset:         150
        .size:           2
        .value_kind:     hidden_group_size_y
      - .offset:         152
        .size:           2
        .value_kind:     hidden_group_size_z
      - .offset:         154
        .size:           2
        .value_kind:     hidden_remainder_x
      - .offset:         156
        .size:           2
        .value_kind:     hidden_remainder_y
      - .offset:         158
        .size:           2
        .value_kind:     hidden_remainder_z
      - .offset:         176
        .size:           8
        .value_kind:     hidden_global_offset_x
      - .offset:         184
        .size:           8
        .value_kind:     hidden_global_offset_y
      - .offset:         192
        .size:           8
        .value_kind:     hidden_global_offset_z
      - .offset:         200
        .size:           2
        .value_kind:     hidden_grid_dims
    .group_segment_fixed_size: 16384
    .kernarg_segment_align: 8
    .kernarg_segment_size: 392
    .language:       OpenCL C
    .language_version:
      - 2
      - 0
    .max_flat_workgroup_size: 1024
    .name:           _ZL30rocblas_trmm_outofplace_kernelI19rocblas_complex_numIfELi32ELi2ELb1ELb1ELb1ELb0EPKS1_S2_S1_Ev17rocblas_diagonal_iiT6_lPT7_lllS7_lllPT8_llli
    .private_segment_fixed_size: 0
    .sgpr_count:     58
    .sgpr_spill_count: 0
    .symbol:         _ZL30rocblas_trmm_outofplace_kernelI19rocblas_complex_numIfELi32ELi2ELb1ELb1ELb1ELb0EPKS1_S2_S1_Ev17rocblas_diagonal_iiT6_lPT7_lllS7_lllPT8_llli.kd
    .uniform_work_group_size: 1
    .uses_dynamic_stack: false
    .vgpr_count:     76
    .vgpr_spill_count: 0
    .wavefront_size: 64
  - .agpr_count:     0
    .args:
      - .offset:         0
        .size:           4
        .value_kind:     by_value
      - .offset:         4
        .size:           4
        .value_kind:     by_value
      - .offset:         8
        .size:           4
        .value_kind:     by_value
      - .offset:         12
        .size:           8
        .value_kind:     by_value
      - .offset:         24
        .size:           8
        .value_kind:     by_value
      - .address_space:  global
        .offset:         32
        .size:           8
        .value_kind:     global_buffer
      - .offset:         40
        .size:           8
        .value_kind:     by_value
      - .offset:         48
        .size:           8
        .value_kind:     by_value
      - .offset:         56
        .size:           8
        .value_kind:     by_value
      - .address_space:  global
        .offset:         64
        .size:           8
        .value_kind:     global_buffer
      - .offset:         72
        .size:           8
        .value_kind:     by_value
      - .offset:         80
        .size:           8
        .value_kind:     by_value
      - .offset:         88
        .size:           8
        .value_kind:     by_value
      - .address_space:  global
        .offset:         96
        .size:           8
        .value_kind:     global_buffer
      - .offset:         104
        .size:           8
        .value_kind:     by_value
      - .offset:         112
        .size:           8
        .value_kind:     by_value
      - .offset:         120
        .size:           8
        .value_kind:     by_value
      - .offset:         128
        .size:           4
        .value_kind:     by_value
      - .offset:         136
        .size:           4
        .value_kind:     hidden_block_count_x
      - .offset:         140
        .size:           4
        .value_kind:     hidden_block_count_y
      - .offset:         144
        .size:           4
        .value_kind:     hidden_block_count_z
      - .offset:         148
        .size:           2
        .value_kind:     hidden_group_size_x
      - .offset:         150
        .size:           2
        .value_kind:     hidden_group_size_y
      - .offset:         152
        .size:           2
        .value_kind:     hidden_group_size_z
      - .offset:         154
        .size:           2
        .value_kind:     hidden_remainder_x
      - .offset:         156
        .size:           2
        .value_kind:     hidden_remainder_y
      - .offset:         158
        .size:           2
        .value_kind:     hidden_remainder_z
      - .offset:         176
        .size:           8
        .value_kind:     hidden_global_offset_x
      - .offset:         184
        .size:           8
        .value_kind:     hidden_global_offset_y
      - .offset:         192
        .size:           8
        .value_kind:     hidden_global_offset_z
      - .offset:         200
        .size:           2
        .value_kind:     hidden_grid_dims
    .group_segment_fixed_size: 16384
    .kernarg_segment_align: 8
    .kernarg_segment_size: 392
    .language:       OpenCL C
    .language_version:
      - 2
      - 0
    .max_flat_workgroup_size: 1024
    .name:           _ZL30rocblas_trmm_outofplace_kernelI19rocblas_complex_numIfELi32ELi2ELb1ELb1ELb1ELb0ES1_KS1_S1_Ev17rocblas_diagonal_iiT6_lPT7_lllS6_lllPT8_llli
    .private_segment_fixed_size: 0
    .sgpr_count:     58
    .sgpr_spill_count: 0
    .symbol:         _ZL30rocblas_trmm_outofplace_kernelI19rocblas_complex_numIfELi32ELi2ELb1ELb1ELb1ELb0ES1_KS1_S1_Ev17rocblas_diagonal_iiT6_lPT7_lllS6_lllPT8_llli.kd
    .uniform_work_group_size: 1
    .uses_dynamic_stack: false
    .vgpr_count:     76
    .vgpr_spill_count: 0
    .wavefront_size: 64
  - .agpr_count:     0
    .args:
      - .offset:         0
        .size:           4
        .value_kind:     by_value
      - .offset:         4
        .size:           4
        .value_kind:     by_value
      - .offset:         8
        .size:           4
        .value_kind:     by_value
      - .address_space:  global
        .offset:         16
        .size:           8
        .value_kind:     global_buffer
      - .offset:         24
        .size:           8
        .value_kind:     by_value
      - .address_space:  global
        .offset:         32
        .size:           8
        .value_kind:     global_buffer
      - .offset:         40
        .size:           8
        .value_kind:     by_value
      - .offset:         48
        .size:           8
        .value_kind:     by_value
      - .offset:         56
        .size:           8
        .value_kind:     by_value
      - .address_space:  global
        .offset:         64
        .size:           8
        .value_kind:     global_buffer
      - .offset:         72
        .size:           8
        .value_kind:     by_value
      - .offset:         80
        .size:           8
        .value_kind:     by_value
      - .offset:         88
        .size:           8
        .value_kind:     by_value
      - .address_space:  global
        .offset:         96
        .size:           8
        .value_kind:     global_buffer
      - .offset:         104
        .size:           8
        .value_kind:     by_value
      - .offset:         112
        .size:           8
        .value_kind:     by_value
      - .offset:         120
        .size:           8
        .value_kind:     by_value
      - .offset:         128
        .size:           4
        .value_kind:     by_value
      - .offset:         136
        .size:           4
        .value_kind:     hidden_block_count_x
      - .offset:         140
        .size:           4
        .value_kind:     hidden_block_count_y
      - .offset:         144
        .size:           4
        .value_kind:     hidden_block_count_z
      - .offset:         148
        .size:           2
        .value_kind:     hidden_group_size_x
      - .offset:         150
        .size:           2
        .value_kind:     hidden_group_size_y
      - .offset:         152
        .size:           2
        .value_kind:     hidden_group_size_z
      - .offset:         154
        .size:           2
        .value_kind:     hidden_remainder_x
      - .offset:         156
        .size:           2
        .value_kind:     hidden_remainder_y
      - .offset:         158
        .size:           2
        .value_kind:     hidden_remainder_z
      - .offset:         176
        .size:           8
        .value_kind:     hidden_global_offset_x
      - .offset:         184
        .size:           8
        .value_kind:     hidden_global_offset_y
      - .offset:         192
        .size:           8
        .value_kind:     hidden_global_offset_z
      - .offset:         200
        .size:           2
        .value_kind:     hidden_grid_dims
    .group_segment_fixed_size: 16384
    .kernarg_segment_align: 8
    .kernarg_segment_size: 392
    .language:       OpenCL C
    .language_version:
      - 2
      - 0
    .max_flat_workgroup_size: 1024
    .name:           _ZL30rocblas_trmm_outofplace_kernelI19rocblas_complex_numIfELi32ELi2ELb1ELb0ELb1ELb1EPKS1_S2_S1_Ev17rocblas_diagonal_iiT6_lPT7_lllS7_lllPT8_llli
    .private_segment_fixed_size: 0
    .sgpr_count:     58
    .sgpr_spill_count: 0
    .symbol:         _ZL30rocblas_trmm_outofplace_kernelI19rocblas_complex_numIfELi32ELi2ELb1ELb0ELb1ELb1EPKS1_S2_S1_Ev17rocblas_diagonal_iiT6_lPT7_lllS7_lllPT8_llli.kd
    .uniform_work_group_size: 1
    .uses_dynamic_stack: false
    .vgpr_count:     72
    .vgpr_spill_count: 0
    .wavefront_size: 64
  - .agpr_count:     0
    .args:
      - .offset:         0
        .size:           4
        .value_kind:     by_value
      - .offset:         4
        .size:           4
        .value_kind:     by_value
      - .offset:         8
        .size:           4
        .value_kind:     by_value
      - .offset:         12
        .size:           8
        .value_kind:     by_value
      - .offset:         24
        .size:           8
        .value_kind:     by_value
      - .address_space:  global
        .offset:         32
        .size:           8
        .value_kind:     global_buffer
      - .offset:         40
        .size:           8
        .value_kind:     by_value
      - .offset:         48
        .size:           8
        .value_kind:     by_value
      - .offset:         56
        .size:           8
        .value_kind:     by_value
      - .address_space:  global
        .offset:         64
        .size:           8
        .value_kind:     global_buffer
      - .offset:         72
        .size:           8
        .value_kind:     by_value
      - .offset:         80
        .size:           8
        .value_kind:     by_value
      - .offset:         88
        .size:           8
        .value_kind:     by_value
      - .address_space:  global
        .offset:         96
        .size:           8
        .value_kind:     global_buffer
      - .offset:         104
        .size:           8
        .value_kind:     by_value
      - .offset:         112
        .size:           8
        .value_kind:     by_value
      - .offset:         120
        .size:           8
        .value_kind:     by_value
      - .offset:         128
        .size:           4
        .value_kind:     by_value
      - .offset:         136
        .size:           4
        .value_kind:     hidden_block_count_x
      - .offset:         140
        .size:           4
        .value_kind:     hidden_block_count_y
      - .offset:         144
        .size:           4
        .value_kind:     hidden_block_count_z
      - .offset:         148
        .size:           2
        .value_kind:     hidden_group_size_x
      - .offset:         150
        .size:           2
        .value_kind:     hidden_group_size_y
      - .offset:         152
        .size:           2
        .value_kind:     hidden_group_size_z
      - .offset:         154
        .size:           2
        .value_kind:     hidden_remainder_x
      - .offset:         156
        .size:           2
        .value_kind:     hidden_remainder_y
      - .offset:         158
        .size:           2
        .value_kind:     hidden_remainder_z
      - .offset:         176
        .size:           8
        .value_kind:     hidden_global_offset_x
      - .offset:         184
        .size:           8
        .value_kind:     hidden_global_offset_y
      - .offset:         192
        .size:           8
        .value_kind:     hidden_global_offset_z
      - .offset:         200
        .size:           2
        .value_kind:     hidden_grid_dims
    .group_segment_fixed_size: 16384
    .kernarg_segment_align: 8
    .kernarg_segment_size: 392
    .language:       OpenCL C
    .language_version:
      - 2
      - 0
    .max_flat_workgroup_size: 1024
    .name:           _ZL30rocblas_trmm_outofplace_kernelI19rocblas_complex_numIfELi32ELi2ELb1ELb0ELb1ELb1ES1_KS1_S1_Ev17rocblas_diagonal_iiT6_lPT7_lllS6_lllPT8_llli
    .private_segment_fixed_size: 0
    .sgpr_count:     58
    .sgpr_spill_count: 0
    .symbol:         _ZL30rocblas_trmm_outofplace_kernelI19rocblas_complex_numIfELi32ELi2ELb1ELb0ELb1ELb1ES1_KS1_S1_Ev17rocblas_diagonal_iiT6_lPT7_lllS6_lllPT8_llli.kd
    .uniform_work_group_size: 1
    .uses_dynamic_stack: false
    .vgpr_count:     72
    .vgpr_spill_count: 0
    .wavefront_size: 64
  - .agpr_count:     0
    .args:
      - .offset:         0
        .size:           4
        .value_kind:     by_value
      - .offset:         4
        .size:           4
        .value_kind:     by_value
      - .offset:         8
        .size:           4
        .value_kind:     by_value
      - .address_space:  global
        .offset:         16
        .size:           8
        .value_kind:     global_buffer
      - .offset:         24
        .size:           8
        .value_kind:     by_value
      - .address_space:  global
        .offset:         32
        .size:           8
        .value_kind:     global_buffer
      - .offset:         40
        .size:           8
        .value_kind:     by_value
      - .offset:         48
        .size:           8
        .value_kind:     by_value
      - .offset:         56
        .size:           8
        .value_kind:     by_value
      - .address_space:  global
        .offset:         64
        .size:           8
        .value_kind:     global_buffer
      - .offset:         72
        .size:           8
        .value_kind:     by_value
      - .offset:         80
        .size:           8
        .value_kind:     by_value
      - .offset:         88
        .size:           8
        .value_kind:     by_value
      - .address_space:  global
        .offset:         96
        .size:           8
        .value_kind:     global_buffer
      - .offset:         104
        .size:           8
        .value_kind:     by_value
      - .offset:         112
        .size:           8
        .value_kind:     by_value
      - .offset:         120
        .size:           8
        .value_kind:     by_value
      - .offset:         128
        .size:           4
        .value_kind:     by_value
      - .offset:         136
        .size:           4
        .value_kind:     hidden_block_count_x
      - .offset:         140
        .size:           4
        .value_kind:     hidden_block_count_y
      - .offset:         144
        .size:           4
        .value_kind:     hidden_block_count_z
      - .offset:         148
        .size:           2
        .value_kind:     hidden_group_size_x
      - .offset:         150
        .size:           2
        .value_kind:     hidden_group_size_y
      - .offset:         152
        .size:           2
        .value_kind:     hidden_group_size_z
      - .offset:         154
        .size:           2
        .value_kind:     hidden_remainder_x
      - .offset:         156
        .size:           2
        .value_kind:     hidden_remainder_y
      - .offset:         158
        .size:           2
        .value_kind:     hidden_remainder_z
      - .offset:         176
        .size:           8
        .value_kind:     hidden_global_offset_x
      - .offset:         184
        .size:           8
        .value_kind:     hidden_global_offset_y
      - .offset:         192
        .size:           8
        .value_kind:     hidden_global_offset_z
      - .offset:         200
        .size:           2
        .value_kind:     hidden_grid_dims
    .group_segment_fixed_size: 16384
    .kernarg_segment_align: 8
    .kernarg_segment_size: 392
    .language:       OpenCL C
    .language_version:
      - 2
      - 0
    .max_flat_workgroup_size: 1024
    .name:           _ZL30rocblas_trmm_outofplace_kernelI19rocblas_complex_numIfELi32ELi2ELb1ELb1ELb1ELb1EPKS1_S2_S1_Ev17rocblas_diagonal_iiT6_lPT7_lllS7_lllPT8_llli
    .private_segment_fixed_size: 0
    .sgpr_count:     58
    .sgpr_spill_count: 0
    .symbol:         _ZL30rocblas_trmm_outofplace_kernelI19rocblas_complex_numIfELi32ELi2ELb1ELb1ELb1ELb1EPKS1_S2_S1_Ev17rocblas_diagonal_iiT6_lPT7_lllS7_lllPT8_llli.kd
    .uniform_work_group_size: 1
    .uses_dynamic_stack: false
    .vgpr_count:     70
    .vgpr_spill_count: 0
    .wavefront_size: 64
  - .agpr_count:     0
    .args:
      - .offset:         0
        .size:           4
        .value_kind:     by_value
      - .offset:         4
        .size:           4
        .value_kind:     by_value
      - .offset:         8
        .size:           4
        .value_kind:     by_value
      - .offset:         12
        .size:           8
        .value_kind:     by_value
      - .offset:         24
        .size:           8
        .value_kind:     by_value
      - .address_space:  global
        .offset:         32
        .size:           8
        .value_kind:     global_buffer
      - .offset:         40
        .size:           8
        .value_kind:     by_value
      - .offset:         48
        .size:           8
        .value_kind:     by_value
      - .offset:         56
        .size:           8
        .value_kind:     by_value
      - .address_space:  global
        .offset:         64
        .size:           8
        .value_kind:     global_buffer
      - .offset:         72
        .size:           8
        .value_kind:     by_value
      - .offset:         80
        .size:           8
        .value_kind:     by_value
      - .offset:         88
        .size:           8
        .value_kind:     by_value
      - .address_space:  global
        .offset:         96
        .size:           8
        .value_kind:     global_buffer
      - .offset:         104
        .size:           8
        .value_kind:     by_value
      - .offset:         112
        .size:           8
        .value_kind:     by_value
      - .offset:         120
        .size:           8
        .value_kind:     by_value
      - .offset:         128
        .size:           4
        .value_kind:     by_value
      - .offset:         136
        .size:           4
        .value_kind:     hidden_block_count_x
      - .offset:         140
        .size:           4
        .value_kind:     hidden_block_count_y
      - .offset:         144
        .size:           4
        .value_kind:     hidden_block_count_z
      - .offset:         148
        .size:           2
        .value_kind:     hidden_group_size_x
      - .offset:         150
        .size:           2
        .value_kind:     hidden_group_size_y
      - .offset:         152
        .size:           2
        .value_kind:     hidden_group_size_z
      - .offset:         154
        .size:           2
        .value_kind:     hidden_remainder_x
      - .offset:         156
        .size:           2
        .value_kind:     hidden_remainder_y
      - .offset:         158
        .size:           2
        .value_kind:     hidden_remainder_z
      - .offset:         176
        .size:           8
        .value_kind:     hidden_global_offset_x
      - .offset:         184
        .size:           8
        .value_kind:     hidden_global_offset_y
      - .offset:         192
        .size:           8
        .value_kind:     hidden_global_offset_z
      - .offset:         200
        .size:           2
        .value_kind:     hidden_grid_dims
    .group_segment_fixed_size: 16384
    .kernarg_segment_align: 8
    .kernarg_segment_size: 392
    .language:       OpenCL C
    .language_version:
      - 2
      - 0
    .max_flat_workgroup_size: 1024
    .name:           _ZL30rocblas_trmm_outofplace_kernelI19rocblas_complex_numIfELi32ELi2ELb1ELb1ELb1ELb1ES1_KS1_S1_Ev17rocblas_diagonal_iiT6_lPT7_lllS6_lllPT8_llli
    .private_segment_fixed_size: 0
    .sgpr_count:     58
    .sgpr_spill_count: 0
    .symbol:         _ZL30rocblas_trmm_outofplace_kernelI19rocblas_complex_numIfELi32ELi2ELb1ELb1ELb1ELb1ES1_KS1_S1_Ev17rocblas_diagonal_iiT6_lPT7_lllS6_lllPT8_llli.kd
    .uniform_work_group_size: 1
    .uses_dynamic_stack: false
    .vgpr_count:     70
    .vgpr_spill_count: 0
    .wavefront_size: 64
  - .agpr_count:     0
    .args:
      - .offset:         0
        .size:           4
        .value_kind:     by_value
      - .offset:         4
        .size:           4
        .value_kind:     by_value
      - .offset:         8
        .size:           4
        .value_kind:     by_value
      - .address_space:  global
        .offset:         16
        .size:           8
        .value_kind:     global_buffer
      - .offset:         24
        .size:           8
        .value_kind:     by_value
      - .address_space:  global
        .offset:         32
        .size:           8
        .value_kind:     global_buffer
      - .offset:         40
        .size:           8
        .value_kind:     by_value
      - .offset:         48
        .size:           8
        .value_kind:     by_value
      - .offset:         56
        .size:           8
        .value_kind:     by_value
      - .address_space:  global
        .offset:         64
        .size:           8
        .value_kind:     global_buffer
      - .offset:         72
        .size:           8
        .value_kind:     by_value
      - .offset:         80
        .size:           8
        .value_kind:     by_value
      - .offset:         88
        .size:           8
        .value_kind:     by_value
      - .address_space:  global
        .offset:         96
        .size:           8
        .value_kind:     global_buffer
      - .offset:         104
        .size:           8
        .value_kind:     by_value
      - .offset:         112
        .size:           8
        .value_kind:     by_value
      - .offset:         120
        .size:           8
        .value_kind:     by_value
      - .offset:         128
        .size:           4
        .value_kind:     by_value
      - .offset:         136
        .size:           4
        .value_kind:     hidden_block_count_x
      - .offset:         140
        .size:           4
        .value_kind:     hidden_block_count_y
      - .offset:         144
        .size:           4
        .value_kind:     hidden_block_count_z
      - .offset:         148
        .size:           2
        .value_kind:     hidden_group_size_x
      - .offset:         150
        .size:           2
        .value_kind:     hidden_group_size_y
      - .offset:         152
        .size:           2
        .value_kind:     hidden_group_size_z
      - .offset:         154
        .size:           2
        .value_kind:     hidden_remainder_x
      - .offset:         156
        .size:           2
        .value_kind:     hidden_remainder_y
      - .offset:         158
        .size:           2
        .value_kind:     hidden_remainder_z
      - .offset:         176
        .size:           8
        .value_kind:     hidden_global_offset_x
      - .offset:         184
        .size:           8
        .value_kind:     hidden_global_offset_y
      - .offset:         192
        .size:           8
        .value_kind:     hidden_global_offset_z
      - .offset:         200
        .size:           2
        .value_kind:     hidden_grid_dims
    .group_segment_fixed_size: 16384
    .kernarg_segment_align: 8
    .kernarg_segment_size: 392
    .language:       OpenCL C
    .language_version:
      - 2
      - 0
    .max_flat_workgroup_size: 1024
    .name:           _ZL30rocblas_trmm_outofplace_kernelI19rocblas_complex_numIfELi32ELi2ELb0ELb0ELb0ELb0EPKS1_S2_S1_Ev17rocblas_diagonal_iiT6_lPT7_lllS7_lllPT8_llli
    .private_segment_fixed_size: 0
    .sgpr_count:     64
    .sgpr_spill_count: 0
    .symbol:         _ZL30rocblas_trmm_outofplace_kernelI19rocblas_complex_numIfELi32ELi2ELb0ELb0ELb0ELb0EPKS1_S2_S1_Ev17rocblas_diagonal_iiT6_lPT7_lllS7_lllPT8_llli.kd
    .uniform_work_group_size: 1
    .uses_dynamic_stack: false
    .vgpr_count:     80
    .vgpr_spill_count: 0
    .wavefront_size: 64
  - .agpr_count:     0
    .args:
      - .offset:         0
        .size:           4
        .value_kind:     by_value
      - .offset:         4
        .size:           4
        .value_kind:     by_value
      - .offset:         8
        .size:           4
        .value_kind:     by_value
      - .offset:         12
        .size:           8
        .value_kind:     by_value
      - .offset:         24
        .size:           8
        .value_kind:     by_value
      - .address_space:  global
        .offset:         32
        .size:           8
        .value_kind:     global_buffer
      - .offset:         40
        .size:           8
        .value_kind:     by_value
      - .offset:         48
        .size:           8
        .value_kind:     by_value
      - .offset:         56
        .size:           8
        .value_kind:     by_value
      - .address_space:  global
        .offset:         64
        .size:           8
        .value_kind:     global_buffer
      - .offset:         72
        .size:           8
        .value_kind:     by_value
      - .offset:         80
        .size:           8
        .value_kind:     by_value
      - .offset:         88
        .size:           8
        .value_kind:     by_value
      - .address_space:  global
        .offset:         96
        .size:           8
        .value_kind:     global_buffer
      - .offset:         104
        .size:           8
        .value_kind:     by_value
      - .offset:         112
        .size:           8
        .value_kind:     by_value
      - .offset:         120
        .size:           8
        .value_kind:     by_value
      - .offset:         128
        .size:           4
        .value_kind:     by_value
      - .offset:         136
        .size:           4
        .value_kind:     hidden_block_count_x
      - .offset:         140
        .size:           4
        .value_kind:     hidden_block_count_y
      - .offset:         144
        .size:           4
        .value_kind:     hidden_block_count_z
      - .offset:         148
        .size:           2
        .value_kind:     hidden_group_size_x
      - .offset:         150
        .size:           2
        .value_kind:     hidden_group_size_y
      - .offset:         152
        .size:           2
        .value_kind:     hidden_group_size_z
      - .offset:         154
        .size:           2
        .value_kind:     hidden_remainder_x
      - .offset:         156
        .size:           2
        .value_kind:     hidden_remainder_y
      - .offset:         158
        .size:           2
        .value_kind:     hidden_remainder_z
      - .offset:         176
        .size:           8
        .value_kind:     hidden_global_offset_x
      - .offset:         184
        .size:           8
        .value_kind:     hidden_global_offset_y
      - .offset:         192
        .size:           8
        .value_kind:     hidden_global_offset_z
      - .offset:         200
        .size:           2
        .value_kind:     hidden_grid_dims
    .group_segment_fixed_size: 16384
    .kernarg_segment_align: 8
    .kernarg_segment_size: 392
    .language:       OpenCL C
    .language_version:
      - 2
      - 0
    .max_flat_workgroup_size: 1024
    .name:           _ZL30rocblas_trmm_outofplace_kernelI19rocblas_complex_numIfELi32ELi2ELb0ELb0ELb0ELb0ES1_KS1_S1_Ev17rocblas_diagonal_iiT6_lPT7_lllS6_lllPT8_llli
    .private_segment_fixed_size: 0
    .sgpr_count:     64
    .sgpr_spill_count: 0
    .symbol:         _ZL30rocblas_trmm_outofplace_kernelI19rocblas_complex_numIfELi32ELi2ELb0ELb0ELb0ELb0ES1_KS1_S1_Ev17rocblas_diagonal_iiT6_lPT7_lllS6_lllPT8_llli.kd
    .uniform_work_group_size: 1
    .uses_dynamic_stack: false
    .vgpr_count:     80
    .vgpr_spill_count: 0
    .wavefront_size: 64
  - .agpr_count:     0
    .args:
      - .offset:         0
        .size:           4
        .value_kind:     by_value
      - .offset:         4
        .size:           4
        .value_kind:     by_value
      - .offset:         8
        .size:           4
        .value_kind:     by_value
      - .address_space:  global
        .offset:         16
        .size:           8
        .value_kind:     global_buffer
      - .offset:         24
        .size:           8
        .value_kind:     by_value
      - .address_space:  global
        .offset:         32
        .size:           8
        .value_kind:     global_buffer
      - .offset:         40
        .size:           8
        .value_kind:     by_value
      - .offset:         48
        .size:           8
        .value_kind:     by_value
      - .offset:         56
        .size:           8
        .value_kind:     by_value
      - .address_space:  global
        .offset:         64
        .size:           8
        .value_kind:     global_buffer
      - .offset:         72
        .size:           8
        .value_kind:     by_value
      - .offset:         80
        .size:           8
        .value_kind:     by_value
      - .offset:         88
        .size:           8
        .value_kind:     by_value
      - .address_space:  global
        .offset:         96
        .size:           8
        .value_kind:     global_buffer
      - .offset:         104
        .size:           8
        .value_kind:     by_value
      - .offset:         112
        .size:           8
        .value_kind:     by_value
      - .offset:         120
        .size:           8
        .value_kind:     by_value
      - .offset:         128
        .size:           4
        .value_kind:     by_value
      - .offset:         136
        .size:           4
        .value_kind:     hidden_block_count_x
      - .offset:         140
        .size:           4
        .value_kind:     hidden_block_count_y
      - .offset:         144
        .size:           4
        .value_kind:     hidden_block_count_z
      - .offset:         148
        .size:           2
        .value_kind:     hidden_group_size_x
      - .offset:         150
        .size:           2
        .value_kind:     hidden_group_size_y
      - .offset:         152
        .size:           2
        .value_kind:     hidden_group_size_z
      - .offset:         154
        .size:           2
        .value_kind:     hidden_remainder_x
      - .offset:         156
        .size:           2
        .value_kind:     hidden_remainder_y
      - .offset:         158
        .size:           2
        .value_kind:     hidden_remainder_z
      - .offset:         176
        .size:           8
        .value_kind:     hidden_global_offset_x
      - .offset:         184
        .size:           8
        .value_kind:     hidden_global_offset_y
      - .offset:         192
        .size:           8
        .value_kind:     hidden_global_offset_z
      - .offset:         200
        .size:           2
        .value_kind:     hidden_grid_dims
    .group_segment_fixed_size: 16384
    .kernarg_segment_align: 8
    .kernarg_segment_size: 392
    .language:       OpenCL C
    .language_version:
      - 2
      - 0
    .max_flat_workgroup_size: 1024
    .name:           _ZL30rocblas_trmm_outofplace_kernelI19rocblas_complex_numIfELi32ELi2ELb0ELb1ELb0ELb0EPKS1_S2_S1_Ev17rocblas_diagonal_iiT6_lPT7_lllS7_lllPT8_llli
    .private_segment_fixed_size: 0
    .sgpr_count:     58
    .sgpr_spill_count: 0
    .symbol:         _ZL30rocblas_trmm_outofplace_kernelI19rocblas_complex_numIfELi32ELi2ELb0ELb1ELb0ELb0EPKS1_S2_S1_Ev17rocblas_diagonal_iiT6_lPT7_lllS7_lllPT8_llli.kd
    .uniform_work_group_size: 1
    .uses_dynamic_stack: false
    .vgpr_count:     80
    .vgpr_spill_count: 0
    .wavefront_size: 64
  - .agpr_count:     0
    .args:
      - .offset:         0
        .size:           4
        .value_kind:     by_value
      - .offset:         4
        .size:           4
        .value_kind:     by_value
      - .offset:         8
        .size:           4
        .value_kind:     by_value
      - .offset:         12
        .size:           8
        .value_kind:     by_value
      - .offset:         24
        .size:           8
        .value_kind:     by_value
      - .address_space:  global
        .offset:         32
        .size:           8
        .value_kind:     global_buffer
      - .offset:         40
        .size:           8
        .value_kind:     by_value
      - .offset:         48
        .size:           8
        .value_kind:     by_value
      - .offset:         56
        .size:           8
        .value_kind:     by_value
      - .address_space:  global
        .offset:         64
        .size:           8
        .value_kind:     global_buffer
      - .offset:         72
        .size:           8
        .value_kind:     by_value
      - .offset:         80
        .size:           8
        .value_kind:     by_value
      - .offset:         88
        .size:           8
        .value_kind:     by_value
      - .address_space:  global
        .offset:         96
        .size:           8
        .value_kind:     global_buffer
      - .offset:         104
        .size:           8
        .value_kind:     by_value
      - .offset:         112
        .size:           8
        .value_kind:     by_value
      - .offset:         120
        .size:           8
        .value_kind:     by_value
      - .offset:         128
        .size:           4
        .value_kind:     by_value
      - .offset:         136
        .size:           4
        .value_kind:     hidden_block_count_x
      - .offset:         140
        .size:           4
        .value_kind:     hidden_block_count_y
      - .offset:         144
        .size:           4
        .value_kind:     hidden_block_count_z
      - .offset:         148
        .size:           2
        .value_kind:     hidden_group_size_x
      - .offset:         150
        .size:           2
        .value_kind:     hidden_group_size_y
      - .offset:         152
        .size:           2
        .value_kind:     hidden_group_size_z
      - .offset:         154
        .size:           2
        .value_kind:     hidden_remainder_x
      - .offset:         156
        .size:           2
        .value_kind:     hidden_remainder_y
      - .offset:         158
        .size:           2
        .value_kind:     hidden_remainder_z
      - .offset:         176
        .size:           8
        .value_kind:     hidden_global_offset_x
      - .offset:         184
        .size:           8
        .value_kind:     hidden_global_offset_y
      - .offset:         192
        .size:           8
        .value_kind:     hidden_global_offset_z
      - .offset:         200
        .size:           2
        .value_kind:     hidden_grid_dims
    .group_segment_fixed_size: 16384
    .kernarg_segment_align: 8
    .kernarg_segment_size: 392
    .language:       OpenCL C
    .language_version:
      - 2
      - 0
    .max_flat_workgroup_size: 1024
    .name:           _ZL30rocblas_trmm_outofplace_kernelI19rocblas_complex_numIfELi32ELi2ELb0ELb1ELb0ELb0ES1_KS1_S1_Ev17rocblas_diagonal_iiT6_lPT7_lllS6_lllPT8_llli
    .private_segment_fixed_size: 0
    .sgpr_count:     59
    .sgpr_spill_count: 0
    .symbol:         _ZL30rocblas_trmm_outofplace_kernelI19rocblas_complex_numIfELi32ELi2ELb0ELb1ELb0ELb0ES1_KS1_S1_Ev17rocblas_diagonal_iiT6_lPT7_lllS6_lllPT8_llli.kd
    .uniform_work_group_size: 1
    .uses_dynamic_stack: false
    .vgpr_count:     80
    .vgpr_spill_count: 0
    .wavefront_size: 64
  - .agpr_count:     0
    .args:
      - .offset:         0
        .size:           4
        .value_kind:     by_value
      - .offset:         4
        .size:           4
        .value_kind:     by_value
      - .offset:         8
        .size:           4
        .value_kind:     by_value
      - .address_space:  global
        .offset:         16
        .size:           8
        .value_kind:     global_buffer
      - .offset:         24
        .size:           8
        .value_kind:     by_value
      - .address_space:  global
        .offset:         32
        .size:           8
        .value_kind:     global_buffer
      - .offset:         40
        .size:           8
        .value_kind:     by_value
      - .offset:         48
        .size:           8
        .value_kind:     by_value
      - .offset:         56
        .size:           8
        .value_kind:     by_value
      - .address_space:  global
        .offset:         64
        .size:           8
        .value_kind:     global_buffer
      - .offset:         72
        .size:           8
        .value_kind:     by_value
      - .offset:         80
        .size:           8
        .value_kind:     by_value
      - .offset:         88
        .size:           8
        .value_kind:     by_value
      - .address_space:  global
        .offset:         96
        .size:           8
        .value_kind:     global_buffer
      - .offset:         104
        .size:           8
        .value_kind:     by_value
      - .offset:         112
        .size:           8
        .value_kind:     by_value
      - .offset:         120
        .size:           8
        .value_kind:     by_value
      - .offset:         128
        .size:           4
        .value_kind:     by_value
      - .offset:         136
        .size:           4
        .value_kind:     hidden_block_count_x
      - .offset:         140
        .size:           4
        .value_kind:     hidden_block_count_y
      - .offset:         144
        .size:           4
        .value_kind:     hidden_block_count_z
      - .offset:         148
        .size:           2
        .value_kind:     hidden_group_size_x
      - .offset:         150
        .size:           2
        .value_kind:     hidden_group_size_y
      - .offset:         152
        .size:           2
        .value_kind:     hidden_group_size_z
      - .offset:         154
        .size:           2
        .value_kind:     hidden_remainder_x
      - .offset:         156
        .size:           2
        .value_kind:     hidden_remainder_y
      - .offset:         158
        .size:           2
        .value_kind:     hidden_remainder_z
      - .offset:         176
        .size:           8
        .value_kind:     hidden_global_offset_x
      - .offset:         184
        .size:           8
        .value_kind:     hidden_global_offset_y
      - .offset:         192
        .size:           8
        .value_kind:     hidden_global_offset_z
      - .offset:         200
        .size:           2
        .value_kind:     hidden_grid_dims
    .group_segment_fixed_size: 16384
    .kernarg_segment_align: 8
    .kernarg_segment_size: 392
    .language:       OpenCL C
    .language_version:
      - 2
      - 0
    .max_flat_workgroup_size: 1024
    .name:           _ZL30rocblas_trmm_outofplace_kernelI19rocblas_complex_numIfELi32ELi2ELb0ELb0ELb1ELb0EPKS1_S2_S1_Ev17rocblas_diagonal_iiT6_lPT7_lllS7_lllPT8_llli
    .private_segment_fixed_size: 0
    .sgpr_count:     55
    .sgpr_spill_count: 0
    .symbol:         _ZL30rocblas_trmm_outofplace_kernelI19rocblas_complex_numIfELi32ELi2ELb0ELb0ELb1ELb0EPKS1_S2_S1_Ev17rocblas_diagonal_iiT6_lPT7_lllS7_lllPT8_llli.kd
    .uniform_work_group_size: 1
    .uses_dynamic_stack: false
    .vgpr_count:     84
    .vgpr_spill_count: 0
    .wavefront_size: 64
  - .agpr_count:     0
    .args:
      - .offset:         0
        .size:           4
        .value_kind:     by_value
      - .offset:         4
        .size:           4
        .value_kind:     by_value
      - .offset:         8
        .size:           4
        .value_kind:     by_value
      - .offset:         12
        .size:           8
        .value_kind:     by_value
      - .offset:         24
        .size:           8
        .value_kind:     by_value
      - .address_space:  global
        .offset:         32
        .size:           8
        .value_kind:     global_buffer
      - .offset:         40
        .size:           8
        .value_kind:     by_value
      - .offset:         48
        .size:           8
        .value_kind:     by_value
      - .offset:         56
        .size:           8
        .value_kind:     by_value
      - .address_space:  global
        .offset:         64
        .size:           8
        .value_kind:     global_buffer
      - .offset:         72
        .size:           8
        .value_kind:     by_value
      - .offset:         80
        .size:           8
        .value_kind:     by_value
      - .offset:         88
        .size:           8
        .value_kind:     by_value
      - .address_space:  global
        .offset:         96
        .size:           8
        .value_kind:     global_buffer
      - .offset:         104
        .size:           8
        .value_kind:     by_value
      - .offset:         112
        .size:           8
        .value_kind:     by_value
      - .offset:         120
        .size:           8
        .value_kind:     by_value
      - .offset:         128
        .size:           4
        .value_kind:     by_value
      - .offset:         136
        .size:           4
        .value_kind:     hidden_block_count_x
      - .offset:         140
        .size:           4
        .value_kind:     hidden_block_count_y
      - .offset:         144
        .size:           4
        .value_kind:     hidden_block_count_z
      - .offset:         148
        .size:           2
        .value_kind:     hidden_group_size_x
      - .offset:         150
        .size:           2
        .value_kind:     hidden_group_size_y
      - .offset:         152
        .size:           2
        .value_kind:     hidden_group_size_z
      - .offset:         154
        .size:           2
        .value_kind:     hidden_remainder_x
      - .offset:         156
        .size:           2
        .value_kind:     hidden_remainder_y
      - .offset:         158
        .size:           2
        .value_kind:     hidden_remainder_z
      - .offset:         176
        .size:           8
        .value_kind:     hidden_global_offset_x
      - .offset:         184
        .size:           8
        .value_kind:     hidden_global_offset_y
      - .offset:         192
        .size:           8
        .value_kind:     hidden_global_offset_z
      - .offset:         200
        .size:           2
        .value_kind:     hidden_grid_dims
    .group_segment_fixed_size: 16384
    .kernarg_segment_align: 8
    .kernarg_segment_size: 392
    .language:       OpenCL C
    .language_version:
      - 2
      - 0
    .max_flat_workgroup_size: 1024
    .name:           _ZL30rocblas_trmm_outofplace_kernelI19rocblas_complex_numIfELi32ELi2ELb0ELb0ELb1ELb0ES1_KS1_S1_Ev17rocblas_diagonal_iiT6_lPT7_lllS6_lllPT8_llli
    .private_segment_fixed_size: 0
    .sgpr_count:     54
    .sgpr_spill_count: 0
    .symbol:         _ZL30rocblas_trmm_outofplace_kernelI19rocblas_complex_numIfELi32ELi2ELb0ELb0ELb1ELb0ES1_KS1_S1_Ev17rocblas_diagonal_iiT6_lPT7_lllS6_lllPT8_llli.kd
    .uniform_work_group_size: 1
    .uses_dynamic_stack: false
    .vgpr_count:     84
    .vgpr_spill_count: 0
    .wavefront_size: 64
  - .agpr_count:     0
    .args:
      - .offset:         0
        .size:           4
        .value_kind:     by_value
      - .offset:         4
        .size:           4
        .value_kind:     by_value
      - .offset:         8
        .size:           4
        .value_kind:     by_value
      - .address_space:  global
        .offset:         16
        .size:           8
        .value_kind:     global_buffer
      - .offset:         24
        .size:           8
        .value_kind:     by_value
      - .address_space:  global
        .offset:         32
        .size:           8
        .value_kind:     global_buffer
      - .offset:         40
        .size:           8
        .value_kind:     by_value
      - .offset:         48
        .size:           8
        .value_kind:     by_value
      - .offset:         56
        .size:           8
        .value_kind:     by_value
      - .address_space:  global
        .offset:         64
        .size:           8
        .value_kind:     global_buffer
      - .offset:         72
        .size:           8
        .value_kind:     by_value
      - .offset:         80
        .size:           8
        .value_kind:     by_value
      - .offset:         88
        .size:           8
        .value_kind:     by_value
      - .address_space:  global
        .offset:         96
        .size:           8
        .value_kind:     global_buffer
      - .offset:         104
        .size:           8
        .value_kind:     by_value
      - .offset:         112
        .size:           8
        .value_kind:     by_value
      - .offset:         120
        .size:           8
        .value_kind:     by_value
      - .offset:         128
        .size:           4
        .value_kind:     by_value
      - .offset:         136
        .size:           4
        .value_kind:     hidden_block_count_x
      - .offset:         140
        .size:           4
        .value_kind:     hidden_block_count_y
      - .offset:         144
        .size:           4
        .value_kind:     hidden_block_count_z
      - .offset:         148
        .size:           2
        .value_kind:     hidden_group_size_x
      - .offset:         150
        .size:           2
        .value_kind:     hidden_group_size_y
      - .offset:         152
        .size:           2
        .value_kind:     hidden_group_size_z
      - .offset:         154
        .size:           2
        .value_kind:     hidden_remainder_x
      - .offset:         156
        .size:           2
        .value_kind:     hidden_remainder_y
      - .offset:         158
        .size:           2
        .value_kind:     hidden_remainder_z
      - .offset:         176
        .size:           8
        .value_kind:     hidden_global_offset_x
      - .offset:         184
        .size:           8
        .value_kind:     hidden_global_offset_y
      - .offset:         192
        .size:           8
        .value_kind:     hidden_global_offset_z
      - .offset:         200
        .size:           2
        .value_kind:     hidden_grid_dims
    .group_segment_fixed_size: 16384
    .kernarg_segment_align: 8
    .kernarg_segment_size: 392
    .language:       OpenCL C
    .language_version:
      - 2
      - 0
    .max_flat_workgroup_size: 1024
    .name:           _ZL30rocblas_trmm_outofplace_kernelI19rocblas_complex_numIfELi32ELi2ELb0ELb1ELb1ELb0EPKS1_S2_S1_Ev17rocblas_diagonal_iiT6_lPT7_lllS7_lllPT8_llli
    .private_segment_fixed_size: 0
    .sgpr_count:     65
    .sgpr_spill_count: 0
    .symbol:         _ZL30rocblas_trmm_outofplace_kernelI19rocblas_complex_numIfELi32ELi2ELb0ELb1ELb1ELb0EPKS1_S2_S1_Ev17rocblas_diagonal_iiT6_lPT7_lllS7_lllPT8_llli.kd
    .uniform_work_group_size: 1
    .uses_dynamic_stack: false
    .vgpr_count:     80
    .vgpr_spill_count: 0
    .wavefront_size: 64
  - .agpr_count:     0
    .args:
      - .offset:         0
        .size:           4
        .value_kind:     by_value
      - .offset:         4
        .size:           4
        .value_kind:     by_value
      - .offset:         8
        .size:           4
        .value_kind:     by_value
      - .offset:         12
        .size:           8
        .value_kind:     by_value
      - .offset:         24
        .size:           8
        .value_kind:     by_value
      - .address_space:  global
        .offset:         32
        .size:           8
        .value_kind:     global_buffer
      - .offset:         40
        .size:           8
        .value_kind:     by_value
      - .offset:         48
        .size:           8
        .value_kind:     by_value
      - .offset:         56
        .size:           8
        .value_kind:     by_value
      - .address_space:  global
        .offset:         64
        .size:           8
        .value_kind:     global_buffer
      - .offset:         72
        .size:           8
        .value_kind:     by_value
      - .offset:         80
        .size:           8
        .value_kind:     by_value
      - .offset:         88
        .size:           8
        .value_kind:     by_value
      - .address_space:  global
        .offset:         96
        .size:           8
        .value_kind:     global_buffer
      - .offset:         104
        .size:           8
        .value_kind:     by_value
      - .offset:         112
        .size:           8
        .value_kind:     by_value
      - .offset:         120
        .size:           8
        .value_kind:     by_value
      - .offset:         128
        .size:           4
        .value_kind:     by_value
      - .offset:         136
        .size:           4
        .value_kind:     hidden_block_count_x
      - .offset:         140
        .size:           4
        .value_kind:     hidden_block_count_y
      - .offset:         144
        .size:           4
        .value_kind:     hidden_block_count_z
      - .offset:         148
        .size:           2
        .value_kind:     hidden_group_size_x
      - .offset:         150
        .size:           2
        .value_kind:     hidden_group_size_y
      - .offset:         152
        .size:           2
        .value_kind:     hidden_group_size_z
      - .offset:         154
        .size:           2
        .value_kind:     hidden_remainder_x
      - .offset:         156
        .size:           2
        .value_kind:     hidden_remainder_y
      - .offset:         158
        .size:           2
        .value_kind:     hidden_remainder_z
      - .offset:         176
        .size:           8
        .value_kind:     hidden_global_offset_x
      - .offset:         184
        .size:           8
        .value_kind:     hidden_global_offset_y
      - .offset:         192
        .size:           8
        .value_kind:     hidden_global_offset_z
      - .offset:         200
        .size:           2
        .value_kind:     hidden_grid_dims
    .group_segment_fixed_size: 16384
    .kernarg_segment_align: 8
    .kernarg_segment_size: 392
    .language:       OpenCL C
    .language_version:
      - 2
      - 0
    .max_flat_workgroup_size: 1024
    .name:           _ZL30rocblas_trmm_outofplace_kernelI19rocblas_complex_numIfELi32ELi2ELb0ELb1ELb1ELb0ES1_KS1_S1_Ev17rocblas_diagonal_iiT6_lPT7_lllS6_lllPT8_llli
    .private_segment_fixed_size: 0
    .sgpr_count:     65
    .sgpr_spill_count: 0
    .symbol:         _ZL30rocblas_trmm_outofplace_kernelI19rocblas_complex_numIfELi32ELi2ELb0ELb1ELb1ELb0ES1_KS1_S1_Ev17rocblas_diagonal_iiT6_lPT7_lllS6_lllPT8_llli.kd
    .uniform_work_group_size: 1
    .uses_dynamic_stack: false
    .vgpr_count:     80
    .vgpr_spill_count: 0
    .wavefront_size: 64
  - .agpr_count:     0
    .args:
      - .offset:         0
        .size:           4
        .value_kind:     by_value
      - .offset:         4
        .size:           4
        .value_kind:     by_value
      - .offset:         8
        .size:           4
        .value_kind:     by_value
      - .address_space:  global
        .offset:         16
        .size:           8
        .value_kind:     global_buffer
      - .offset:         24
        .size:           8
        .value_kind:     by_value
      - .address_space:  global
        .offset:         32
        .size:           8
        .value_kind:     global_buffer
      - .offset:         40
        .size:           8
        .value_kind:     by_value
      - .offset:         48
        .size:           8
        .value_kind:     by_value
      - .offset:         56
        .size:           8
        .value_kind:     by_value
      - .address_space:  global
        .offset:         64
        .size:           8
        .value_kind:     global_buffer
      - .offset:         72
        .size:           8
        .value_kind:     by_value
      - .offset:         80
        .size:           8
        .value_kind:     by_value
      - .offset:         88
        .size:           8
        .value_kind:     by_value
      - .address_space:  global
        .offset:         96
        .size:           8
        .value_kind:     global_buffer
      - .offset:         104
        .size:           8
        .value_kind:     by_value
      - .offset:         112
        .size:           8
        .value_kind:     by_value
      - .offset:         120
        .size:           8
        .value_kind:     by_value
      - .offset:         128
        .size:           4
        .value_kind:     by_value
      - .offset:         136
        .size:           4
        .value_kind:     hidden_block_count_x
      - .offset:         140
        .size:           4
        .value_kind:     hidden_block_count_y
      - .offset:         144
        .size:           4
        .value_kind:     hidden_block_count_z
      - .offset:         148
        .size:           2
        .value_kind:     hidden_group_size_x
      - .offset:         150
        .size:           2
        .value_kind:     hidden_group_size_y
      - .offset:         152
        .size:           2
        .value_kind:     hidden_group_size_z
      - .offset:         154
        .size:           2
        .value_kind:     hidden_remainder_x
      - .offset:         156
        .size:           2
        .value_kind:     hidden_remainder_y
      - .offset:         158
        .size:           2
        .value_kind:     hidden_remainder_z
      - .offset:         176
        .size:           8
        .value_kind:     hidden_global_offset_x
      - .offset:         184
        .size:           8
        .value_kind:     hidden_global_offset_y
      - .offset:         192
        .size:           8
        .value_kind:     hidden_global_offset_z
      - .offset:         200
        .size:           2
        .value_kind:     hidden_grid_dims
    .group_segment_fixed_size: 16384
    .kernarg_segment_align: 8
    .kernarg_segment_size: 392
    .language:       OpenCL C
    .language_version:
      - 2
      - 0
    .max_flat_workgroup_size: 1024
    .name:           _ZL30rocblas_trmm_outofplace_kernelI19rocblas_complex_numIfELi32ELi2ELb0ELb0ELb1ELb1EPKS1_S2_S1_Ev17rocblas_diagonal_iiT6_lPT7_lllS7_lllPT8_llli
    .private_segment_fixed_size: 0
    .sgpr_count:     55
    .sgpr_spill_count: 0
    .symbol:         _ZL30rocblas_trmm_outofplace_kernelI19rocblas_complex_numIfELi32ELi2ELb0ELb0ELb1ELb1EPKS1_S2_S1_Ev17rocblas_diagonal_iiT6_lPT7_lllS7_lllPT8_llli.kd
    .uniform_work_group_size: 1
    .uses_dynamic_stack: false
    .vgpr_count:     86
    .vgpr_spill_count: 0
    .wavefront_size: 64
  - .agpr_count:     0
    .args:
      - .offset:         0
        .size:           4
        .value_kind:     by_value
      - .offset:         4
        .size:           4
        .value_kind:     by_value
      - .offset:         8
        .size:           4
        .value_kind:     by_value
      - .offset:         12
        .size:           8
        .value_kind:     by_value
      - .offset:         24
        .size:           8
        .value_kind:     by_value
      - .address_space:  global
        .offset:         32
        .size:           8
        .value_kind:     global_buffer
      - .offset:         40
        .size:           8
        .value_kind:     by_value
      - .offset:         48
        .size:           8
        .value_kind:     by_value
      - .offset:         56
        .size:           8
        .value_kind:     by_value
      - .address_space:  global
        .offset:         64
        .size:           8
        .value_kind:     global_buffer
      - .offset:         72
        .size:           8
        .value_kind:     by_value
      - .offset:         80
        .size:           8
        .value_kind:     by_value
      - .offset:         88
        .size:           8
        .value_kind:     by_value
      - .address_space:  global
        .offset:         96
        .size:           8
        .value_kind:     global_buffer
      - .offset:         104
        .size:           8
        .value_kind:     by_value
      - .offset:         112
        .size:           8
        .value_kind:     by_value
      - .offset:         120
        .size:           8
        .value_kind:     by_value
      - .offset:         128
        .size:           4
        .value_kind:     by_value
      - .offset:         136
        .size:           4
        .value_kind:     hidden_block_count_x
      - .offset:         140
        .size:           4
        .value_kind:     hidden_block_count_y
      - .offset:         144
        .size:           4
        .value_kind:     hidden_block_count_z
      - .offset:         148
        .size:           2
        .value_kind:     hidden_group_size_x
      - .offset:         150
        .size:           2
        .value_kind:     hidden_group_size_y
      - .offset:         152
        .size:           2
        .value_kind:     hidden_group_size_z
      - .offset:         154
        .size:           2
        .value_kind:     hidden_remainder_x
      - .offset:         156
        .size:           2
        .value_kind:     hidden_remainder_y
      - .offset:         158
        .size:           2
        .value_kind:     hidden_remainder_z
      - .offset:         176
        .size:           8
        .value_kind:     hidden_global_offset_x
      - .offset:         184
        .size:           8
        .value_kind:     hidden_global_offset_y
      - .offset:         192
        .size:           8
        .value_kind:     hidden_global_offset_z
      - .offset:         200
        .size:           2
        .value_kind:     hidden_grid_dims
    .group_segment_fixed_size: 16384
    .kernarg_segment_align: 8
    .kernarg_segment_size: 392
    .language:       OpenCL C
    .language_version:
      - 2
      - 0
    .max_flat_workgroup_size: 1024
    .name:           _ZL30rocblas_trmm_outofplace_kernelI19rocblas_complex_numIfELi32ELi2ELb0ELb0ELb1ELb1ES1_KS1_S1_Ev17rocblas_diagonal_iiT6_lPT7_lllS6_lllPT8_llli
    .private_segment_fixed_size: 0
    .sgpr_count:     54
    .sgpr_spill_count: 0
    .symbol:         _ZL30rocblas_trmm_outofplace_kernelI19rocblas_complex_numIfELi32ELi2ELb0ELb0ELb1ELb1ES1_KS1_S1_Ev17rocblas_diagonal_iiT6_lPT7_lllS6_lllPT8_llli.kd
    .uniform_work_group_size: 1
    .uses_dynamic_stack: false
    .vgpr_count:     86
    .vgpr_spill_count: 0
    .wavefront_size: 64
  - .agpr_count:     0
    .args:
      - .offset:         0
        .size:           4
        .value_kind:     by_value
      - .offset:         4
        .size:           4
        .value_kind:     by_value
      - .offset:         8
        .size:           4
        .value_kind:     by_value
      - .address_space:  global
        .offset:         16
        .size:           8
        .value_kind:     global_buffer
      - .offset:         24
        .size:           8
        .value_kind:     by_value
      - .address_space:  global
        .offset:         32
        .size:           8
        .value_kind:     global_buffer
      - .offset:         40
        .size:           8
        .value_kind:     by_value
      - .offset:         48
        .size:           8
        .value_kind:     by_value
      - .offset:         56
        .size:           8
        .value_kind:     by_value
      - .address_space:  global
        .offset:         64
        .size:           8
        .value_kind:     global_buffer
      - .offset:         72
        .size:           8
        .value_kind:     by_value
      - .offset:         80
        .size:           8
        .value_kind:     by_value
      - .offset:         88
        .size:           8
        .value_kind:     by_value
      - .address_space:  global
        .offset:         96
        .size:           8
        .value_kind:     global_buffer
      - .offset:         104
        .size:           8
        .value_kind:     by_value
      - .offset:         112
        .size:           8
        .value_kind:     by_value
      - .offset:         120
        .size:           8
        .value_kind:     by_value
      - .offset:         128
        .size:           4
        .value_kind:     by_value
      - .offset:         136
        .size:           4
        .value_kind:     hidden_block_count_x
      - .offset:         140
        .size:           4
        .value_kind:     hidden_block_count_y
      - .offset:         144
        .size:           4
        .value_kind:     hidden_block_count_z
      - .offset:         148
        .size:           2
        .value_kind:     hidden_group_size_x
      - .offset:         150
        .size:           2
        .value_kind:     hidden_group_size_y
      - .offset:         152
        .size:           2
        .value_kind:     hidden_group_size_z
      - .offset:         154
        .size:           2
        .value_kind:     hidden_remainder_x
      - .offset:         156
        .size:           2
        .value_kind:     hidden_remainder_y
      - .offset:         158
        .size:           2
        .value_kind:     hidden_remainder_z
      - .offset:         176
        .size:           8
        .value_kind:     hidden_global_offset_x
      - .offset:         184
        .size:           8
        .value_kind:     hidden_global_offset_y
      - .offset:         192
        .size:           8
        .value_kind:     hidden_global_offset_z
      - .offset:         200
        .size:           2
        .value_kind:     hidden_grid_dims
    .group_segment_fixed_size: 16384
    .kernarg_segment_align: 8
    .kernarg_segment_size: 392
    .language:       OpenCL C
    .language_version:
      - 2
      - 0
    .max_flat_workgroup_size: 1024
    .name:           _ZL30rocblas_trmm_outofplace_kernelI19rocblas_complex_numIfELi32ELi2ELb0ELb1ELb1ELb1EPKS1_S2_S1_Ev17rocblas_diagonal_iiT6_lPT7_lllS7_lllPT8_llli
    .private_segment_fixed_size: 0
    .sgpr_count:     65
    .sgpr_spill_count: 0
    .symbol:         _ZL30rocblas_trmm_outofplace_kernelI19rocblas_complex_numIfELi32ELi2ELb0ELb1ELb1ELb1EPKS1_S2_S1_Ev17rocblas_diagonal_iiT6_lPT7_lllS7_lllPT8_llli.kd
    .uniform_work_group_size: 1
    .uses_dynamic_stack: false
    .vgpr_count:     80
    .vgpr_spill_count: 0
    .wavefront_size: 64
  - .agpr_count:     0
    .args:
      - .offset:         0
        .size:           4
        .value_kind:     by_value
      - .offset:         4
        .size:           4
        .value_kind:     by_value
      - .offset:         8
        .size:           4
        .value_kind:     by_value
      - .offset:         12
        .size:           8
        .value_kind:     by_value
      - .offset:         24
        .size:           8
        .value_kind:     by_value
      - .address_space:  global
        .offset:         32
        .size:           8
        .value_kind:     global_buffer
      - .offset:         40
        .size:           8
        .value_kind:     by_value
      - .offset:         48
        .size:           8
        .value_kind:     by_value
      - .offset:         56
        .size:           8
        .value_kind:     by_value
      - .address_space:  global
        .offset:         64
        .size:           8
        .value_kind:     global_buffer
      - .offset:         72
        .size:           8
        .value_kind:     by_value
      - .offset:         80
        .size:           8
        .value_kind:     by_value
      - .offset:         88
        .size:           8
        .value_kind:     by_value
      - .address_space:  global
        .offset:         96
        .size:           8
        .value_kind:     global_buffer
      - .offset:         104
        .size:           8
        .value_kind:     by_value
      - .offset:         112
        .size:           8
        .value_kind:     by_value
      - .offset:         120
        .size:           8
        .value_kind:     by_value
      - .offset:         128
        .size:           4
        .value_kind:     by_value
      - .offset:         136
        .size:           4
        .value_kind:     hidden_block_count_x
      - .offset:         140
        .size:           4
        .value_kind:     hidden_block_count_y
      - .offset:         144
        .size:           4
        .value_kind:     hidden_block_count_z
      - .offset:         148
        .size:           2
        .value_kind:     hidden_group_size_x
      - .offset:         150
        .size:           2
        .value_kind:     hidden_group_size_y
      - .offset:         152
        .size:           2
        .value_kind:     hidden_group_size_z
      - .offset:         154
        .size:           2
        .value_kind:     hidden_remainder_x
      - .offset:         156
        .size:           2
        .value_kind:     hidden_remainder_y
      - .offset:         158
        .size:           2
        .value_kind:     hidden_remainder_z
      - .offset:         176
        .size:           8
        .value_kind:     hidden_global_offset_x
      - .offset:         184
        .size:           8
        .value_kind:     hidden_global_offset_y
      - .offset:         192
        .size:           8
        .value_kind:     hidden_global_offset_z
      - .offset:         200
        .size:           2
        .value_kind:     hidden_grid_dims
    .group_segment_fixed_size: 16384
    .kernarg_segment_align: 8
    .kernarg_segment_size: 392
    .language:       OpenCL C
    .language_version:
      - 2
      - 0
    .max_flat_workgroup_size: 1024
    .name:           _ZL30rocblas_trmm_outofplace_kernelI19rocblas_complex_numIfELi32ELi2ELb0ELb1ELb1ELb1ES1_KS1_S1_Ev17rocblas_diagonal_iiT6_lPT7_lllS6_lllPT8_llli
    .private_segment_fixed_size: 0
    .sgpr_count:     65
    .sgpr_spill_count: 0
    .symbol:         _ZL30rocblas_trmm_outofplace_kernelI19rocblas_complex_numIfELi32ELi2ELb0ELb1ELb1ELb1ES1_KS1_S1_Ev17rocblas_diagonal_iiT6_lPT7_lllS6_lllPT8_llli.kd
    .uniform_work_group_size: 1
    .uses_dynamic_stack: false
    .vgpr_count:     80
    .vgpr_spill_count: 0
    .wavefront_size: 64
  - .agpr_count:     0
    .args:
      - .offset:         0
        .size:           4
        .value_kind:     by_value
      - .offset:         4
        .size:           4
        .value_kind:     by_value
      - .offset:         8
        .size:           4
        .value_kind:     by_value
      - .offset:         12
        .size:           4
        .value_kind:     by_value
      - .address_space:  global
        .offset:         16
        .size:           8
        .value_kind:     global_buffer
      - .offset:         24
        .size:           8
        .value_kind:     by_value
      - .address_space:  global
        .offset:         32
        .size:           8
        .value_kind:     global_buffer
      - .offset:         40
        .size:           8
        .value_kind:     by_value
      - .offset:         48
        .size:           8
        .value_kind:     by_value
      - .address_space:  global
        .offset:         56
        .size:           8
        .value_kind:     global_buffer
      - .offset:         64
        .size:           8
        .value_kind:     by_value
      - .offset:         72
        .size:           8
        .value_kind:     by_value
      - .address_space:  global
        .offset:         80
        .size:           8
        .value_kind:     global_buffer
      - .offset:         88
        .size:           8
        .value_kind:     by_value
      - .offset:         96
        .size:           8
        .value_kind:     by_value
      - .offset:         104
        .size:           4
        .value_kind:     by_value
    .group_segment_fixed_size: 4096
    .kernarg_segment_align: 8
    .kernarg_segment_size: 108
    .language:       OpenCL C
    .language_version:
      - 2
      - 0
    .max_flat_workgroup_size: 256
    .name:           _ZL23rocblas_trmm_lNx_kernelILi16E19rocblas_complex_numIfEPKS1_S2_S1_Ev13rocblas_fill_17rocblas_diagonal_iiT1_lPT2_llS8_llPT3_lli
    .private_segment_fixed_size: 0
    .sgpr_count:     30
    .sgpr_spill_count: 0
    .symbol:         _ZL23rocblas_trmm_lNx_kernelILi16E19rocblas_complex_numIfEPKS1_S2_S1_Ev13rocblas_fill_17rocblas_diagonal_iiT1_lPT2_llS8_llPT3_lli.kd
    .uniform_work_group_size: 1
    .uses_dynamic_stack: false
    .vgpr_count:     58
    .vgpr_spill_count: 0
    .wavefront_size: 64
  - .agpr_count:     0
    .args:
      - .offset:         0
        .size:           4
        .value_kind:     by_value
      - .offset:         4
        .size:           4
        .value_kind:     by_value
      - .offset:         8
        .size:           4
        .value_kind:     by_value
      - .offset:         12
        .size:           4
        .value_kind:     by_value
      - .offset:         16
        .size:           8
        .value_kind:     by_value
      - .offset:         24
        .size:           8
        .value_kind:     by_value
      - .address_space:  global
        .offset:         32
        .size:           8
        .value_kind:     global_buffer
      - .offset:         40
        .size:           8
        .value_kind:     by_value
      - .offset:         48
        .size:           8
        .value_kind:     by_value
      - .address_space:  global
        .offset:         56
        .size:           8
        .value_kind:     global_buffer
      - .offset:         64
        .size:           8
        .value_kind:     by_value
      - .offset:         72
        .size:           8
        .value_kind:     by_value
      - .address_space:  global
        .offset:         80
        .size:           8
        .value_kind:     global_buffer
      - .offset:         88
        .size:           8
        .value_kind:     by_value
      - .offset:         96
        .size:           8
        .value_kind:     by_value
      - .offset:         104
        .size:           4
        .value_kind:     by_value
    .group_segment_fixed_size: 4096
    .kernarg_segment_align: 8
    .kernarg_segment_size: 108
    .language:       OpenCL C
    .language_version:
      - 2
      - 0
    .max_flat_workgroup_size: 256
    .name:           _ZL23rocblas_trmm_lNx_kernelILi16E19rocblas_complex_numIfES1_KS1_S1_Ev13rocblas_fill_17rocblas_diagonal_iiT1_lPT2_llS7_llPT3_lli
    .private_segment_fixed_size: 0
    .sgpr_count:     34
    .sgpr_spill_count: 0
    .symbol:         _ZL23rocblas_trmm_lNx_kernelILi16E19rocblas_complex_numIfES1_KS1_S1_Ev13rocblas_fill_17rocblas_diagonal_iiT1_lPT2_llS7_llPT3_lli.kd
    .uniform_work_group_size: 1
    .uses_dynamic_stack: false
    .vgpr_count:     58
    .vgpr_spill_count: 0
    .wavefront_size: 64
  - .agpr_count:     0
    .args:
      - .offset:         0
        .size:           4
        .value_kind:     by_value
      - .offset:         4
        .size:           4
        .value_kind:     by_value
      - .offset:         8
        .size:           4
        .value_kind:     by_value
      - .offset:         12
        .size:           4
        .value_kind:     by_value
      - .address_space:  global
        .offset:         16
        .size:           8
        .value_kind:     global_buffer
      - .offset:         24
        .size:           8
        .value_kind:     by_value
      - .address_space:  global
        .offset:         32
        .size:           8
        .value_kind:     global_buffer
      - .offset:         40
        .size:           8
        .value_kind:     by_value
      - .offset:         48
        .size:           8
        .value_kind:     by_value
      - .address_space:  global
        .offset:         56
        .size:           8
        .value_kind:     global_buffer
      - .offset:         64
        .size:           8
        .value_kind:     by_value
      - .offset:         72
        .size:           8
        .value_kind:     by_value
      - .address_space:  global
        .offset:         80
        .size:           8
        .value_kind:     global_buffer
      - .offset:         88
        .size:           8
        .value_kind:     by_value
      - .offset:         96
        .size:           8
        .value_kind:     by_value
      - .offset:         104
        .size:           4
        .value_kind:     by_value
    .group_segment_fixed_size: 4096
    .kernarg_segment_align: 8
    .kernarg_segment_size: 108
    .language:       OpenCL C
    .language_version:
      - 2
      - 0
    .max_flat_workgroup_size: 256
    .name:           _ZL23rocblas_trmm_lTx_kernelILi16ELb0E19rocblas_complex_numIfEPKS1_S2_S1_Ev13rocblas_fill_17rocblas_diagonal_iiT2_lPT3_llS8_llPT4_lli
    .private_segment_fixed_size: 0
    .sgpr_count:     30
    .sgpr_spill_count: 0
    .symbol:         _ZL23rocblas_trmm_lTx_kernelILi16ELb0E19rocblas_complex_numIfEPKS1_S2_S1_Ev13rocblas_fill_17rocblas_diagonal_iiT2_lPT3_llS8_llPT4_lli.kd
    .uniform_work_group_size: 1
    .uses_dynamic_stack: false
    .vgpr_count:     58
    .vgpr_spill_count: 0
    .wavefront_size: 64
  - .agpr_count:     0
    .args:
      - .offset:         0
        .size:           4
        .value_kind:     by_value
      - .offset:         4
        .size:           4
        .value_kind:     by_value
      - .offset:         8
        .size:           4
        .value_kind:     by_value
      - .offset:         12
        .size:           4
        .value_kind:     by_value
      - .offset:         16
        .size:           8
        .value_kind:     by_value
      - .offset:         24
        .size:           8
        .value_kind:     by_value
      - .address_space:  global
        .offset:         32
        .size:           8
        .value_kind:     global_buffer
      - .offset:         40
        .size:           8
        .value_kind:     by_value
      - .offset:         48
        .size:           8
        .value_kind:     by_value
      - .address_space:  global
        .offset:         56
        .size:           8
        .value_kind:     global_buffer
      - .offset:         64
        .size:           8
        .value_kind:     by_value
      - .offset:         72
        .size:           8
        .value_kind:     by_value
      - .address_space:  global
        .offset:         80
        .size:           8
        .value_kind:     global_buffer
      - .offset:         88
        .size:           8
        .value_kind:     by_value
      - .offset:         96
        .size:           8
        .value_kind:     by_value
      - .offset:         104
        .size:           4
        .value_kind:     by_value
    .group_segment_fixed_size: 4096
    .kernarg_segment_align: 8
    .kernarg_segment_size: 108
    .language:       OpenCL C
    .language_version:
      - 2
      - 0
    .max_flat_workgroup_size: 256
    .name:           _ZL23rocblas_trmm_lTx_kernelILi16ELb0E19rocblas_complex_numIfES1_KS1_S1_Ev13rocblas_fill_17rocblas_diagonal_iiT2_lPT3_llS7_llPT4_lli
    .private_segment_fixed_size: 0
    .sgpr_count:     34
    .sgpr_spill_count: 0
    .symbol:         _ZL23rocblas_trmm_lTx_kernelILi16ELb0E19rocblas_complex_numIfES1_KS1_S1_Ev13rocblas_fill_17rocblas_diagonal_iiT2_lPT3_llS7_llPT4_lli.kd
    .uniform_work_group_size: 1
    .uses_dynamic_stack: false
    .vgpr_count:     58
    .vgpr_spill_count: 0
    .wavefront_size: 64
  - .agpr_count:     0
    .args:
      - .offset:         0
        .size:           4
        .value_kind:     by_value
      - .offset:         4
        .size:           4
        .value_kind:     by_value
      - .offset:         8
        .size:           4
        .value_kind:     by_value
      - .offset:         12
        .size:           4
        .value_kind:     by_value
      - .address_space:  global
        .offset:         16
        .size:           8
        .value_kind:     global_buffer
      - .offset:         24
        .size:           8
        .value_kind:     by_value
      - .address_space:  global
        .offset:         32
        .size:           8
        .value_kind:     global_buffer
      - .offset:         40
        .size:           8
        .value_kind:     by_value
      - .offset:         48
        .size:           8
        .value_kind:     by_value
      - .address_space:  global
        .offset:         56
        .size:           8
        .value_kind:     global_buffer
      - .offset:         64
        .size:           8
        .value_kind:     by_value
      - .offset:         72
        .size:           8
        .value_kind:     by_value
      - .address_space:  global
        .offset:         80
        .size:           8
        .value_kind:     global_buffer
      - .offset:         88
        .size:           8
        .value_kind:     by_value
      - .offset:         96
        .size:           8
        .value_kind:     by_value
      - .offset:         104
        .size:           4
        .value_kind:     by_value
    .group_segment_fixed_size: 4096
    .kernarg_segment_align: 8
    .kernarg_segment_size: 108
    .language:       OpenCL C
    .language_version:
      - 2
      - 0
    .max_flat_workgroup_size: 256
    .name:           _ZL23rocblas_trmm_lTx_kernelILi16ELb1E19rocblas_complex_numIfEPKS1_S2_S1_Ev13rocblas_fill_17rocblas_diagonal_iiT2_lPT3_llS8_llPT4_lli
    .private_segment_fixed_size: 0
    .sgpr_count:     30
    .sgpr_spill_count: 0
    .symbol:         _ZL23rocblas_trmm_lTx_kernelILi16ELb1E19rocblas_complex_numIfEPKS1_S2_S1_Ev13rocblas_fill_17rocblas_diagonal_iiT2_lPT3_llS8_llPT4_lli.kd
    .uniform_work_group_size: 1
    .uses_dynamic_stack: false
    .vgpr_count:     58
    .vgpr_spill_count: 0
    .wavefront_size: 64
  - .agpr_count:     0
    .args:
      - .offset:         0
        .size:           4
        .value_kind:     by_value
      - .offset:         4
        .size:           4
        .value_kind:     by_value
      - .offset:         8
        .size:           4
        .value_kind:     by_value
      - .offset:         12
        .size:           4
        .value_kind:     by_value
      - .offset:         16
        .size:           8
        .value_kind:     by_value
      - .offset:         24
        .size:           8
        .value_kind:     by_value
      - .address_space:  global
        .offset:         32
        .size:           8
        .value_kind:     global_buffer
      - .offset:         40
        .size:           8
        .value_kind:     by_value
      - .offset:         48
        .size:           8
        .value_kind:     by_value
      - .address_space:  global
        .offset:         56
        .size:           8
        .value_kind:     global_buffer
      - .offset:         64
        .size:           8
        .value_kind:     by_value
      - .offset:         72
        .size:           8
        .value_kind:     by_value
      - .address_space:  global
        .offset:         80
        .size:           8
        .value_kind:     global_buffer
      - .offset:         88
        .size:           8
        .value_kind:     by_value
      - .offset:         96
        .size:           8
        .value_kind:     by_value
      - .offset:         104
        .size:           4
        .value_kind:     by_value
    .group_segment_fixed_size: 4096
    .kernarg_segment_align: 8
    .kernarg_segment_size: 108
    .language:       OpenCL C
    .language_version:
      - 2
      - 0
    .max_flat_workgroup_size: 256
    .name:           _ZL23rocblas_trmm_lTx_kernelILi16ELb1E19rocblas_complex_numIfES1_KS1_S1_Ev13rocblas_fill_17rocblas_diagonal_iiT2_lPT3_llS7_llPT4_lli
    .private_segment_fixed_size: 0
    .sgpr_count:     34
    .sgpr_spill_count: 0
    .symbol:         _ZL23rocblas_trmm_lTx_kernelILi16ELb1E19rocblas_complex_numIfES1_KS1_S1_Ev13rocblas_fill_17rocblas_diagonal_iiT2_lPT3_llS7_llPT4_lli.kd
    .uniform_work_group_size: 1
    .uses_dynamic_stack: false
    .vgpr_count:     58
    .vgpr_spill_count: 0
    .wavefront_size: 64
  - .agpr_count:     0
    .args:
      - .offset:         0
        .size:           4
        .value_kind:     by_value
      - .offset:         4
        .size:           4
        .value_kind:     by_value
      - .offset:         8
        .size:           4
        .value_kind:     by_value
      - .offset:         12
        .size:           4
        .value_kind:     by_value
      - .address_space:  global
        .offset:         16
        .size:           8
        .value_kind:     global_buffer
      - .offset:         24
        .size:           8
        .value_kind:     by_value
      - .address_space:  global
        .offset:         32
        .size:           8
        .value_kind:     global_buffer
      - .offset:         40
        .size:           8
        .value_kind:     by_value
      - .offset:         48
        .size:           8
        .value_kind:     by_value
      - .address_space:  global
        .offset:         56
        .size:           8
        .value_kind:     global_buffer
      - .offset:         64
        .size:           8
        .value_kind:     by_value
      - .offset:         72
        .size:           8
        .value_kind:     by_value
      - .address_space:  global
        .offset:         80
        .size:           8
        .value_kind:     global_buffer
      - .offset:         88
        .size:           8
        .value_kind:     by_value
      - .offset:         96
        .size:           8
        .value_kind:     by_value
      - .offset:         104
        .size:           4
        .value_kind:     by_value
    .group_segment_fixed_size: 4096
    .kernarg_segment_align: 8
    .kernarg_segment_size: 108
    .language:       OpenCL C
    .language_version:
      - 2
      - 0
    .max_flat_workgroup_size: 256
    .name:           _ZL23rocblas_trmm_rNx_kernelILi16E19rocblas_complex_numIfEPKS1_S2_S1_Ev13rocblas_fill_17rocblas_diagonal_iiT1_lPT2_llS8_llPT3_lli
    .private_segment_fixed_size: 0
    .sgpr_count:     30
    .sgpr_spill_count: 0
    .symbol:         _ZL23rocblas_trmm_rNx_kernelILi16E19rocblas_complex_numIfEPKS1_S2_S1_Ev13rocblas_fill_17rocblas_diagonal_iiT1_lPT2_llS8_llPT3_lli.kd
    .uniform_work_group_size: 1
    .uses_dynamic_stack: false
    .vgpr_count:     59
    .vgpr_spill_count: 0
    .wavefront_size: 64
  - .agpr_count:     0
    .args:
      - .offset:         0
        .size:           4
        .value_kind:     by_value
      - .offset:         4
        .size:           4
        .value_kind:     by_value
      - .offset:         8
        .size:           4
        .value_kind:     by_value
      - .offset:         12
        .size:           4
        .value_kind:     by_value
      - .offset:         16
        .size:           8
        .value_kind:     by_value
      - .offset:         24
        .size:           8
        .value_kind:     by_value
      - .address_space:  global
        .offset:         32
        .size:           8
        .value_kind:     global_buffer
      - .offset:         40
        .size:           8
        .value_kind:     by_value
      - .offset:         48
        .size:           8
        .value_kind:     by_value
      - .address_space:  global
        .offset:         56
        .size:           8
        .value_kind:     global_buffer
      - .offset:         64
        .size:           8
        .value_kind:     by_value
      - .offset:         72
        .size:           8
        .value_kind:     by_value
      - .address_space:  global
        .offset:         80
        .size:           8
        .value_kind:     global_buffer
      - .offset:         88
        .size:           8
        .value_kind:     by_value
      - .offset:         96
        .size:           8
        .value_kind:     by_value
      - .offset:         104
        .size:           4
        .value_kind:     by_value
    .group_segment_fixed_size: 4096
    .kernarg_segment_align: 8
    .kernarg_segment_size: 108
    .language:       OpenCL C
    .language_version:
      - 2
      - 0
    .max_flat_workgroup_size: 256
    .name:           _ZL23rocblas_trmm_rNx_kernelILi16E19rocblas_complex_numIfES1_KS1_S1_Ev13rocblas_fill_17rocblas_diagonal_iiT1_lPT2_llS7_llPT3_lli
    .private_segment_fixed_size: 0
    .sgpr_count:     34
    .sgpr_spill_count: 0
    .symbol:         _ZL23rocblas_trmm_rNx_kernelILi16E19rocblas_complex_numIfES1_KS1_S1_Ev13rocblas_fill_17rocblas_diagonal_iiT1_lPT2_llS7_llPT3_lli.kd
    .uniform_work_group_size: 1
    .uses_dynamic_stack: false
    .vgpr_count:     59
    .vgpr_spill_count: 0
    .wavefront_size: 64
  - .agpr_count:     0
    .args:
      - .offset:         0
        .size:           4
        .value_kind:     by_value
      - .offset:         4
        .size:           4
        .value_kind:     by_value
      - .offset:         8
        .size:           4
        .value_kind:     by_value
      - .offset:         12
        .size:           4
        .value_kind:     by_value
      - .address_space:  global
        .offset:         16
        .size:           8
        .value_kind:     global_buffer
      - .offset:         24
        .size:           8
        .value_kind:     by_value
      - .address_space:  global
        .offset:         32
        .size:           8
        .value_kind:     global_buffer
      - .offset:         40
        .size:           8
        .value_kind:     by_value
      - .offset:         48
        .size:           8
        .value_kind:     by_value
      - .address_space:  global
        .offset:         56
        .size:           8
        .value_kind:     global_buffer
      - .offset:         64
        .size:           8
        .value_kind:     by_value
      - .offset:         72
        .size:           8
        .value_kind:     by_value
      - .address_space:  global
        .offset:         80
        .size:           8
        .value_kind:     global_buffer
      - .offset:         88
        .size:           8
        .value_kind:     by_value
      - .offset:         96
        .size:           8
        .value_kind:     by_value
      - .offset:         104
        .size:           4
        .value_kind:     by_value
    .group_segment_fixed_size: 4096
    .kernarg_segment_align: 8
    .kernarg_segment_size: 108
    .language:       OpenCL C
    .language_version:
      - 2
      - 0
    .max_flat_workgroup_size: 256
    .name:           _ZL23rocblas_trmm_rTx_kernelILi16ELb0E19rocblas_complex_numIfEPKS1_S2_S1_Ev13rocblas_fill_17rocblas_diagonal_iiT2_lPT3_llS8_llPT4_lli
    .private_segment_fixed_size: 0
    .sgpr_count:     30
    .sgpr_spill_count: 0
    .symbol:         _ZL23rocblas_trmm_rTx_kernelILi16ELb0E19rocblas_complex_numIfEPKS1_S2_S1_Ev13rocblas_fill_17rocblas_diagonal_iiT2_lPT3_llS8_llPT4_lli.kd
    .uniform_work_group_size: 1
    .uses_dynamic_stack: false
    .vgpr_count:     60
    .vgpr_spill_count: 0
    .wavefront_size: 64
  - .agpr_count:     0
    .args:
      - .offset:         0
        .size:           4
        .value_kind:     by_value
      - .offset:         4
        .size:           4
        .value_kind:     by_value
      - .offset:         8
        .size:           4
        .value_kind:     by_value
      - .offset:         12
        .size:           4
        .value_kind:     by_value
      - .offset:         16
        .size:           8
        .value_kind:     by_value
      - .offset:         24
        .size:           8
        .value_kind:     by_value
      - .address_space:  global
        .offset:         32
        .size:           8
        .value_kind:     global_buffer
      - .offset:         40
        .size:           8
        .value_kind:     by_value
      - .offset:         48
        .size:           8
        .value_kind:     by_value
      - .address_space:  global
        .offset:         56
        .size:           8
        .value_kind:     global_buffer
      - .offset:         64
        .size:           8
        .value_kind:     by_value
      - .offset:         72
        .size:           8
        .value_kind:     by_value
      - .address_space:  global
        .offset:         80
        .size:           8
        .value_kind:     global_buffer
      - .offset:         88
        .size:           8
        .value_kind:     by_value
      - .offset:         96
        .size:           8
        .value_kind:     by_value
      - .offset:         104
        .size:           4
        .value_kind:     by_value
    .group_segment_fixed_size: 4096
    .kernarg_segment_align: 8
    .kernarg_segment_size: 108
    .language:       OpenCL C
    .language_version:
      - 2
      - 0
    .max_flat_workgroup_size: 256
    .name:           _ZL23rocblas_trmm_rTx_kernelILi16ELb0E19rocblas_complex_numIfES1_KS1_S1_Ev13rocblas_fill_17rocblas_diagonal_iiT2_lPT3_llS7_llPT4_lli
    .private_segment_fixed_size: 0
    .sgpr_count:     34
    .sgpr_spill_count: 0
    .symbol:         _ZL23rocblas_trmm_rTx_kernelILi16ELb0E19rocblas_complex_numIfES1_KS1_S1_Ev13rocblas_fill_17rocblas_diagonal_iiT2_lPT3_llS7_llPT4_lli.kd
    .uniform_work_group_size: 1
    .uses_dynamic_stack: false
    .vgpr_count:     60
    .vgpr_spill_count: 0
    .wavefront_size: 64
  - .agpr_count:     0
    .args:
      - .offset:         0
        .size:           4
        .value_kind:     by_value
      - .offset:         4
        .size:           4
        .value_kind:     by_value
      - .offset:         8
        .size:           4
        .value_kind:     by_value
      - .offset:         12
        .size:           4
        .value_kind:     by_value
      - .address_space:  global
        .offset:         16
        .size:           8
        .value_kind:     global_buffer
      - .offset:         24
        .size:           8
        .value_kind:     by_value
      - .address_space:  global
        .offset:         32
        .size:           8
        .value_kind:     global_buffer
      - .offset:         40
        .size:           8
        .value_kind:     by_value
      - .offset:         48
        .size:           8
        .value_kind:     by_value
      - .address_space:  global
        .offset:         56
        .size:           8
        .value_kind:     global_buffer
      - .offset:         64
        .size:           8
        .value_kind:     by_value
      - .offset:         72
        .size:           8
        .value_kind:     by_value
      - .address_space:  global
        .offset:         80
        .size:           8
        .value_kind:     global_buffer
      - .offset:         88
        .size:           8
        .value_kind:     by_value
      - .offset:         96
        .size:           8
        .value_kind:     by_value
      - .offset:         104
        .size:           4
        .value_kind:     by_value
    .group_segment_fixed_size: 4096
    .kernarg_segment_align: 8
    .kernarg_segment_size: 108
    .language:       OpenCL C
    .language_version:
      - 2
      - 0
    .max_flat_workgroup_size: 256
    .name:           _ZL23rocblas_trmm_rTx_kernelILi16ELb1E19rocblas_complex_numIfEPKS1_S2_S1_Ev13rocblas_fill_17rocblas_diagonal_iiT2_lPT3_llS8_llPT4_lli
    .private_segment_fixed_size: 0
    .sgpr_count:     30
    .sgpr_spill_count: 0
    .symbol:         _ZL23rocblas_trmm_rTx_kernelILi16ELb1E19rocblas_complex_numIfEPKS1_S2_S1_Ev13rocblas_fill_17rocblas_diagonal_iiT2_lPT3_llS8_llPT4_lli.kd
    .uniform_work_group_size: 1
    .uses_dynamic_stack: false
    .vgpr_count:     60
    .vgpr_spill_count: 0
    .wavefront_size: 64
  - .agpr_count:     0
    .args:
      - .offset:         0
        .size:           4
        .value_kind:     by_value
      - .offset:         4
        .size:           4
        .value_kind:     by_value
      - .offset:         8
        .size:           4
        .value_kind:     by_value
      - .offset:         12
        .size:           4
        .value_kind:     by_value
      - .offset:         16
        .size:           8
        .value_kind:     by_value
      - .offset:         24
        .size:           8
        .value_kind:     by_value
      - .address_space:  global
        .offset:         32
        .size:           8
        .value_kind:     global_buffer
      - .offset:         40
        .size:           8
        .value_kind:     by_value
      - .offset:         48
        .size:           8
        .value_kind:     by_value
      - .address_space:  global
        .offset:         56
        .size:           8
        .value_kind:     global_buffer
      - .offset:         64
        .size:           8
        .value_kind:     by_value
      - .offset:         72
        .size:           8
        .value_kind:     by_value
      - .address_space:  global
        .offset:         80
        .size:           8
        .value_kind:     global_buffer
      - .offset:         88
        .size:           8
        .value_kind:     by_value
      - .offset:         96
        .size:           8
        .value_kind:     by_value
      - .offset:         104
        .size:           4
        .value_kind:     by_value
    .group_segment_fixed_size: 4096
    .kernarg_segment_align: 8
    .kernarg_segment_size: 108
    .language:       OpenCL C
    .language_version:
      - 2
      - 0
    .max_flat_workgroup_size: 256
    .name:           _ZL23rocblas_trmm_rTx_kernelILi16ELb1E19rocblas_complex_numIfES1_KS1_S1_Ev13rocblas_fill_17rocblas_diagonal_iiT2_lPT3_llS7_llPT4_lli
    .private_segment_fixed_size: 0
    .sgpr_count:     34
    .sgpr_spill_count: 0
    .symbol:         _ZL23rocblas_trmm_rTx_kernelILi16ELb1E19rocblas_complex_numIfES1_KS1_S1_Ev13rocblas_fill_17rocblas_diagonal_iiT2_lPT3_llS7_llPT4_lli.kd
    .uniform_work_group_size: 1
    .uses_dynamic_stack: false
    .vgpr_count:     60
    .vgpr_spill_count: 0
    .wavefront_size: 64
  - .agpr_count:     0
    .args:
      - .offset:         0
        .size:           4
        .value_kind:     by_value
      - .offset:         4
        .size:           4
        .value_kind:     by_value
      - .offset:         8
        .size:           4
        .value_kind:     by_value
      - .address_space:  global
        .offset:         16
        .size:           8
        .value_kind:     global_buffer
      - .offset:         24
        .size:           8
        .value_kind:     by_value
      - .address_space:  global
        .offset:         32
        .size:           8
        .value_kind:     global_buffer
      - .offset:         40
        .size:           8
        .value_kind:     by_value
      - .offset:         48
        .size:           8
        .value_kind:     by_value
      - .offset:         56
        .size:           8
        .value_kind:     by_value
      - .address_space:  global
        .offset:         64
        .size:           8
        .value_kind:     global_buffer
      - .offset:         72
        .size:           8
        .value_kind:     by_value
      - .offset:         80
        .size:           8
        .value_kind:     by_value
      - .offset:         88
        .size:           8
        .value_kind:     by_value
      - .address_space:  global
        .offset:         96
        .size:           8
        .value_kind:     global_buffer
      - .offset:         104
        .size:           8
        .value_kind:     by_value
      - .offset:         112
        .size:           8
        .value_kind:     by_value
      - .offset:         120
        .size:           8
        .value_kind:     by_value
      - .offset:         128
        .size:           4
        .value_kind:     by_value
      - .offset:         136
        .size:           4
        .value_kind:     hidden_block_count_x
      - .offset:         140
        .size:           4
        .value_kind:     hidden_block_count_y
      - .offset:         144
        .size:           4
        .value_kind:     hidden_block_count_z
      - .offset:         148
        .size:           2
        .value_kind:     hidden_group_size_x
      - .offset:         150
        .size:           2
        .value_kind:     hidden_group_size_y
      - .offset:         152
        .size:           2
        .value_kind:     hidden_group_size_z
      - .offset:         154
        .size:           2
        .value_kind:     hidden_remainder_x
      - .offset:         156
        .size:           2
        .value_kind:     hidden_remainder_y
      - .offset:         158
        .size:           2
        .value_kind:     hidden_remainder_z
      - .offset:         176
        .size:           8
        .value_kind:     hidden_global_offset_x
      - .offset:         184
        .size:           8
        .value_kind:     hidden_global_offset_y
      - .offset:         192
        .size:           8
        .value_kind:     hidden_global_offset_z
      - .offset:         200
        .size:           2
        .value_kind:     hidden_grid_dims
    .group_segment_fixed_size: 32768
    .kernarg_segment_align: 8
    .kernarg_segment_size: 392
    .language:       OpenCL C
    .language_version:
      - 2
      - 0
    .max_flat_workgroup_size: 1024
    .name:           _ZL30rocblas_trmm_outofplace_kernelI19rocblas_complex_numIdELi32ELi2ELb1ELb0ELb0ELb0EPKS1_S2_S1_Ev17rocblas_diagonal_iiT6_lPT7_lllS7_lllPT8_llli
    .private_segment_fixed_size: 0
    .sgpr_count:     62
    .sgpr_spill_count: 0
    .symbol:         _ZL30rocblas_trmm_outofplace_kernelI19rocblas_complex_numIdELi32ELi2ELb1ELb0ELb0ELb0EPKS1_S2_S1_Ev17rocblas_diagonal_iiT6_lPT7_lllS7_lllPT8_llli.kd
    .uniform_work_group_size: 1
    .uses_dynamic_stack: false
    .vgpr_count:     92
    .vgpr_spill_count: 0
    .wavefront_size: 64
  - .agpr_count:     0
    .args:
      - .offset:         0
        .size:           4
        .value_kind:     by_value
      - .offset:         4
        .size:           4
        .value_kind:     by_value
      - .offset:         8
        .size:           4
        .value_kind:     by_value
      - .offset:         16
        .size:           16
        .value_kind:     by_value
      - .offset:         32
        .size:           8
        .value_kind:     by_value
      - .address_space:  global
        .offset:         40
        .size:           8
        .value_kind:     global_buffer
      - .offset:         48
        .size:           8
        .value_kind:     by_value
      - .offset:         56
        .size:           8
        .value_kind:     by_value
      - .offset:         64
        .size:           8
        .value_kind:     by_value
      - .address_space:  global
        .offset:         72
        .size:           8
        .value_kind:     global_buffer
      - .offset:         80
        .size:           8
        .value_kind:     by_value
      - .offset:         88
        .size:           8
        .value_kind:     by_value
      - .offset:         96
        .size:           8
        .value_kind:     by_value
      - .address_space:  global
        .offset:         104
        .size:           8
        .value_kind:     global_buffer
      - .offset:         112
        .size:           8
        .value_kind:     by_value
      - .offset:         120
        .size:           8
        .value_kind:     by_value
      - .offset:         128
        .size:           8
        .value_kind:     by_value
      - .offset:         136
        .size:           4
        .value_kind:     by_value
      - .offset:         144
        .size:           4
        .value_kind:     hidden_block_count_x
      - .offset:         148
        .size:           4
        .value_kind:     hidden_block_count_y
      - .offset:         152
        .size:           4
        .value_kind:     hidden_block_count_z
      - .offset:         156
        .size:           2
        .value_kind:     hidden_group_size_x
      - .offset:         158
        .size:           2
        .value_kind:     hidden_group_size_y
      - .offset:         160
        .size:           2
        .value_kind:     hidden_group_size_z
      - .offset:         162
        .size:           2
        .value_kind:     hidden_remainder_x
      - .offset:         164
        .size:           2
        .value_kind:     hidden_remainder_y
      - .offset:         166
        .size:           2
        .value_kind:     hidden_remainder_z
      - .offset:         184
        .size:           8
        .value_kind:     hidden_global_offset_x
      - .offset:         192
        .size:           8
        .value_kind:     hidden_global_offset_y
      - .offset:         200
        .size:           8
        .value_kind:     hidden_global_offset_z
      - .offset:         208
        .size:           2
        .value_kind:     hidden_grid_dims
    .group_segment_fixed_size: 32768
    .kernarg_segment_align: 8
    .kernarg_segment_size: 400
    .language:       OpenCL C
    .language_version:
      - 2
      - 0
    .max_flat_workgroup_size: 1024
    .name:           _ZL30rocblas_trmm_outofplace_kernelI19rocblas_complex_numIdELi32ELi2ELb1ELb0ELb0ELb0ES1_KS1_S1_Ev17rocblas_diagonal_iiT6_lPT7_lllS6_lllPT8_llli
    .private_segment_fixed_size: 0
    .sgpr_count:     61
    .sgpr_spill_count: 0
    .symbol:         _ZL30rocblas_trmm_outofplace_kernelI19rocblas_complex_numIdELi32ELi2ELb1ELb0ELb0ELb0ES1_KS1_S1_Ev17rocblas_diagonal_iiT6_lPT7_lllS6_lllPT8_llli.kd
    .uniform_work_group_size: 1
    .uses_dynamic_stack: false
    .vgpr_count:     92
    .vgpr_spill_count: 0
    .wavefront_size: 64
  - .agpr_count:     0
    .args:
      - .offset:         0
        .size:           4
        .value_kind:     by_value
      - .offset:         4
        .size:           4
        .value_kind:     by_value
      - .offset:         8
        .size:           4
        .value_kind:     by_value
      - .address_space:  global
        .offset:         16
        .size:           8
        .value_kind:     global_buffer
      - .offset:         24
        .size:           8
        .value_kind:     by_value
      - .address_space:  global
        .offset:         32
        .size:           8
        .value_kind:     global_buffer
      - .offset:         40
        .size:           8
        .value_kind:     by_value
      - .offset:         48
        .size:           8
        .value_kind:     by_value
      - .offset:         56
        .size:           8
        .value_kind:     by_value
      - .address_space:  global
        .offset:         64
        .size:           8
        .value_kind:     global_buffer
      - .offset:         72
        .size:           8
        .value_kind:     by_value
      - .offset:         80
        .size:           8
        .value_kind:     by_value
      - .offset:         88
        .size:           8
        .value_kind:     by_value
      - .address_space:  global
        .offset:         96
        .size:           8
        .value_kind:     global_buffer
      - .offset:         104
        .size:           8
        .value_kind:     by_value
      - .offset:         112
        .size:           8
        .value_kind:     by_value
      - .offset:         120
        .size:           8
        .value_kind:     by_value
      - .offset:         128
        .size:           4
        .value_kind:     by_value
      - .offset:         136
        .size:           4
        .value_kind:     hidden_block_count_x
      - .offset:         140
        .size:           4
        .value_kind:     hidden_block_count_y
      - .offset:         144
        .size:           4
        .value_kind:     hidden_block_count_z
      - .offset:         148
        .size:           2
        .value_kind:     hidden_group_size_x
      - .offset:         150
        .size:           2
        .value_kind:     hidden_group_size_y
      - .offset:         152
        .size:           2
        .value_kind:     hidden_group_size_z
      - .offset:         154
        .size:           2
        .value_kind:     hidden_remainder_x
      - .offset:         156
        .size:           2
        .value_kind:     hidden_remainder_y
      - .offset:         158
        .size:           2
        .value_kind:     hidden_remainder_z
      - .offset:         176
        .size:           8
        .value_kind:     hidden_global_offset_x
      - .offset:         184
        .size:           8
        .value_kind:     hidden_global_offset_y
      - .offset:         192
        .size:           8
        .value_kind:     hidden_global_offset_z
      - .offset:         200
        .size:           2
        .value_kind:     hidden_grid_dims
    .group_segment_fixed_size: 32768
    .kernarg_segment_align: 8
    .kernarg_segment_size: 392
    .language:       OpenCL C
    .language_version:
      - 2
      - 0
    .max_flat_workgroup_size: 1024
    .name:           _ZL30rocblas_trmm_outofplace_kernelI19rocblas_complex_numIdELi32ELi2ELb1ELb1ELb0ELb0EPKS1_S2_S1_Ev17rocblas_diagonal_iiT6_lPT7_lllS7_lllPT8_llli
    .private_segment_fixed_size: 0
    .sgpr_count:     63
    .sgpr_spill_count: 0
    .symbol:         _ZL30rocblas_trmm_outofplace_kernelI19rocblas_complex_numIdELi32ELi2ELb1ELb1ELb0ELb0EPKS1_S2_S1_Ev17rocblas_diagonal_iiT6_lPT7_lllS7_lllPT8_llli.kd
    .uniform_work_group_size: 1
    .uses_dynamic_stack: false
    .vgpr_count:     92
    .vgpr_spill_count: 0
    .wavefront_size: 64
  - .agpr_count:     0
    .args:
      - .offset:         0
        .size:           4
        .value_kind:     by_value
      - .offset:         4
        .size:           4
        .value_kind:     by_value
      - .offset:         8
        .size:           4
        .value_kind:     by_value
      - .offset:         16
        .size:           16
        .value_kind:     by_value
      - .offset:         32
        .size:           8
        .value_kind:     by_value
      - .address_space:  global
        .offset:         40
        .size:           8
        .value_kind:     global_buffer
      - .offset:         48
        .size:           8
        .value_kind:     by_value
      - .offset:         56
        .size:           8
        .value_kind:     by_value
      - .offset:         64
        .size:           8
        .value_kind:     by_value
      - .address_space:  global
        .offset:         72
        .size:           8
        .value_kind:     global_buffer
      - .offset:         80
        .size:           8
        .value_kind:     by_value
      - .offset:         88
        .size:           8
        .value_kind:     by_value
      - .offset:         96
        .size:           8
        .value_kind:     by_value
      - .address_space:  global
        .offset:         104
        .size:           8
        .value_kind:     global_buffer
      - .offset:         112
        .size:           8
        .value_kind:     by_value
      - .offset:         120
        .size:           8
        .value_kind:     by_value
      - .offset:         128
        .size:           8
        .value_kind:     by_value
      - .offset:         136
        .size:           4
        .value_kind:     by_value
      - .offset:         144
        .size:           4
        .value_kind:     hidden_block_count_x
      - .offset:         148
        .size:           4
        .value_kind:     hidden_block_count_y
      - .offset:         152
        .size:           4
        .value_kind:     hidden_block_count_z
      - .offset:         156
        .size:           2
        .value_kind:     hidden_group_size_x
      - .offset:         158
        .size:           2
        .value_kind:     hidden_group_size_y
      - .offset:         160
        .size:           2
        .value_kind:     hidden_group_size_z
      - .offset:         162
        .size:           2
        .value_kind:     hidden_remainder_x
      - .offset:         164
        .size:           2
        .value_kind:     hidden_remainder_y
      - .offset:         166
        .size:           2
        .value_kind:     hidden_remainder_z
      - .offset:         184
        .size:           8
        .value_kind:     hidden_global_offset_x
      - .offset:         192
        .size:           8
        .value_kind:     hidden_global_offset_y
      - .offset:         200
        .size:           8
        .value_kind:     hidden_global_offset_z
      - .offset:         208
        .size:           2
        .value_kind:     hidden_grid_dims
    .group_segment_fixed_size: 32768
    .kernarg_segment_align: 8
    .kernarg_segment_size: 400
    .language:       OpenCL C
    .language_version:
      - 2
      - 0
    .max_flat_workgroup_size: 1024
    .name:           _ZL30rocblas_trmm_outofplace_kernelI19rocblas_complex_numIdELi32ELi2ELb1ELb1ELb0ELb0ES1_KS1_S1_Ev17rocblas_diagonal_iiT6_lPT7_lllS6_lllPT8_llli
    .private_segment_fixed_size: 0
    .sgpr_count:     63
    .sgpr_spill_count: 0
    .symbol:         _ZL30rocblas_trmm_outofplace_kernelI19rocblas_complex_numIdELi32ELi2ELb1ELb1ELb0ELb0ES1_KS1_S1_Ev17rocblas_diagonal_iiT6_lPT7_lllS6_lllPT8_llli.kd
    .uniform_work_group_size: 1
    .uses_dynamic_stack: false
    .vgpr_count:     92
    .vgpr_spill_count: 0
    .wavefront_size: 64
  - .agpr_count:     0
    .args:
      - .offset:         0
        .size:           4
        .value_kind:     by_value
      - .offset:         4
        .size:           4
        .value_kind:     by_value
      - .offset:         8
        .size:           4
        .value_kind:     by_value
      - .address_space:  global
        .offset:         16
        .size:           8
        .value_kind:     global_buffer
      - .offset:         24
        .size:           8
        .value_kind:     by_value
      - .address_space:  global
        .offset:         32
        .size:           8
        .value_kind:     global_buffer
      - .offset:         40
        .size:           8
        .value_kind:     by_value
      - .offset:         48
        .size:           8
        .value_kind:     by_value
      - .offset:         56
        .size:           8
        .value_kind:     by_value
      - .address_space:  global
        .offset:         64
        .size:           8
        .value_kind:     global_buffer
      - .offset:         72
        .size:           8
        .value_kind:     by_value
      - .offset:         80
        .size:           8
        .value_kind:     by_value
      - .offset:         88
        .size:           8
        .value_kind:     by_value
      - .address_space:  global
        .offset:         96
        .size:           8
        .value_kind:     global_buffer
      - .offset:         104
        .size:           8
        .value_kind:     by_value
      - .offset:         112
        .size:           8
        .value_kind:     by_value
      - .offset:         120
        .size:           8
        .value_kind:     by_value
      - .offset:         128
        .size:           4
        .value_kind:     by_value
      - .offset:         136
        .size:           4
        .value_kind:     hidden_block_count_x
      - .offset:         140
        .size:           4
        .value_kind:     hidden_block_count_y
      - .offset:         144
        .size:           4
        .value_kind:     hidden_block_count_z
      - .offset:         148
        .size:           2
        .value_kind:     hidden_group_size_x
      - .offset:         150
        .size:           2
        .value_kind:     hidden_group_size_y
      - .offset:         152
        .size:           2
        .value_kind:     hidden_group_size_z
      - .offset:         154
        .size:           2
        .value_kind:     hidden_remainder_x
      - .offset:         156
        .size:           2
        .value_kind:     hidden_remainder_y
      - .offset:         158
        .size:           2
        .value_kind:     hidden_remainder_z
      - .offset:         176
        .size:           8
        .value_kind:     hidden_global_offset_x
      - .offset:         184
        .size:           8
        .value_kind:     hidden_global_offset_y
      - .offset:         192
        .size:           8
        .value_kind:     hidden_global_offset_z
      - .offset:         200
        .size:           2
        .value_kind:     hidden_grid_dims
    .group_segment_fixed_size: 32768
    .kernarg_segment_align: 8
    .kernarg_segment_size: 392
    .language:       OpenCL C
    .language_version:
      - 2
      - 0
    .max_flat_workgroup_size: 1024
    .name:           _ZL30rocblas_trmm_outofplace_kernelI19rocblas_complex_numIdELi32ELi2ELb1ELb0ELb1ELb0EPKS1_S2_S1_Ev17rocblas_diagonal_iiT6_lPT7_lllS7_lllPT8_llli
    .private_segment_fixed_size: 0
    .sgpr_count:     60
    .sgpr_spill_count: 0
    .symbol:         _ZL30rocblas_trmm_outofplace_kernelI19rocblas_complex_numIdELi32ELi2ELb1ELb0ELb1ELb0EPKS1_S2_S1_Ev17rocblas_diagonal_iiT6_lPT7_lllS7_lllPT8_llli.kd
    .uniform_work_group_size: 1
    .uses_dynamic_stack: false
    .vgpr_count:     90
    .vgpr_spill_count: 0
    .wavefront_size: 64
  - .agpr_count:     0
    .args:
      - .offset:         0
        .size:           4
        .value_kind:     by_value
      - .offset:         4
        .size:           4
        .value_kind:     by_value
      - .offset:         8
        .size:           4
        .value_kind:     by_value
      - .offset:         16
        .size:           16
        .value_kind:     by_value
      - .offset:         32
        .size:           8
        .value_kind:     by_value
      - .address_space:  global
        .offset:         40
        .size:           8
        .value_kind:     global_buffer
      - .offset:         48
        .size:           8
        .value_kind:     by_value
      - .offset:         56
        .size:           8
        .value_kind:     by_value
      - .offset:         64
        .size:           8
        .value_kind:     by_value
      - .address_space:  global
        .offset:         72
        .size:           8
        .value_kind:     global_buffer
      - .offset:         80
        .size:           8
        .value_kind:     by_value
      - .offset:         88
        .size:           8
        .value_kind:     by_value
      - .offset:         96
        .size:           8
        .value_kind:     by_value
      - .address_space:  global
        .offset:         104
        .size:           8
        .value_kind:     global_buffer
      - .offset:         112
        .size:           8
        .value_kind:     by_value
      - .offset:         120
        .size:           8
        .value_kind:     by_value
      - .offset:         128
        .size:           8
        .value_kind:     by_value
      - .offset:         136
        .size:           4
        .value_kind:     by_value
      - .offset:         144
        .size:           4
        .value_kind:     hidden_block_count_x
      - .offset:         148
        .size:           4
        .value_kind:     hidden_block_count_y
      - .offset:         152
        .size:           4
        .value_kind:     hidden_block_count_z
      - .offset:         156
        .size:           2
        .value_kind:     hidden_group_size_x
      - .offset:         158
        .size:           2
        .value_kind:     hidden_group_size_y
      - .offset:         160
        .size:           2
        .value_kind:     hidden_group_size_z
      - .offset:         162
        .size:           2
        .value_kind:     hidden_remainder_x
      - .offset:         164
        .size:           2
        .value_kind:     hidden_remainder_y
      - .offset:         166
        .size:           2
        .value_kind:     hidden_remainder_z
      - .offset:         184
        .size:           8
        .value_kind:     hidden_global_offset_x
      - .offset:         192
        .size:           8
        .value_kind:     hidden_global_offset_y
      - .offset:         200
        .size:           8
        .value_kind:     hidden_global_offset_z
      - .offset:         208
        .size:           2
        .value_kind:     hidden_grid_dims
    .group_segment_fixed_size: 32768
    .kernarg_segment_align: 8
    .kernarg_segment_size: 400
    .language:       OpenCL C
    .language_version:
      - 2
      - 0
    .max_flat_workgroup_size: 1024
    .name:           _ZL30rocblas_trmm_outofplace_kernelI19rocblas_complex_numIdELi32ELi2ELb1ELb0ELb1ELb0ES1_KS1_S1_Ev17rocblas_diagonal_iiT6_lPT7_lllS6_lllPT8_llli
    .private_segment_fixed_size: 0
    .sgpr_count:     60
    .sgpr_spill_count: 0
    .symbol:         _ZL30rocblas_trmm_outofplace_kernelI19rocblas_complex_numIdELi32ELi2ELb1ELb0ELb1ELb0ES1_KS1_S1_Ev17rocblas_diagonal_iiT6_lPT7_lllS6_lllPT8_llli.kd
    .uniform_work_group_size: 1
    .uses_dynamic_stack: false
    .vgpr_count:     90
    .vgpr_spill_count: 0
    .wavefront_size: 64
  - .agpr_count:     0
    .args:
      - .offset:         0
        .size:           4
        .value_kind:     by_value
      - .offset:         4
        .size:           4
        .value_kind:     by_value
      - .offset:         8
        .size:           4
        .value_kind:     by_value
      - .address_space:  global
        .offset:         16
        .size:           8
        .value_kind:     global_buffer
      - .offset:         24
        .size:           8
        .value_kind:     by_value
      - .address_space:  global
        .offset:         32
        .size:           8
        .value_kind:     global_buffer
      - .offset:         40
        .size:           8
        .value_kind:     by_value
      - .offset:         48
        .size:           8
        .value_kind:     by_value
      - .offset:         56
        .size:           8
        .value_kind:     by_value
      - .address_space:  global
        .offset:         64
        .size:           8
        .value_kind:     global_buffer
      - .offset:         72
        .size:           8
        .value_kind:     by_value
      - .offset:         80
        .size:           8
        .value_kind:     by_value
      - .offset:         88
        .size:           8
        .value_kind:     by_value
      - .address_space:  global
        .offset:         96
        .size:           8
        .value_kind:     global_buffer
      - .offset:         104
        .size:           8
        .value_kind:     by_value
      - .offset:         112
        .size:           8
        .value_kind:     by_value
      - .offset:         120
        .size:           8
        .value_kind:     by_value
      - .offset:         128
        .size:           4
        .value_kind:     by_value
      - .offset:         136
        .size:           4
        .value_kind:     hidden_block_count_x
      - .offset:         140
        .size:           4
        .value_kind:     hidden_block_count_y
      - .offset:         144
        .size:           4
        .value_kind:     hidden_block_count_z
      - .offset:         148
        .size:           2
        .value_kind:     hidden_group_size_x
      - .offset:         150
        .size:           2
        .value_kind:     hidden_group_size_y
      - .offset:         152
        .size:           2
        .value_kind:     hidden_group_size_z
      - .offset:         154
        .size:           2
        .value_kind:     hidden_remainder_x
      - .offset:         156
        .size:           2
        .value_kind:     hidden_remainder_y
      - .offset:         158
        .size:           2
        .value_kind:     hidden_remainder_z
      - .offset:         176
        .size:           8
        .value_kind:     hidden_global_offset_x
      - .offset:         184
        .size:           8
        .value_kind:     hidden_global_offset_y
      - .offset:         192
        .size:           8
        .value_kind:     hidden_global_offset_z
      - .offset:         200
        .size:           2
        .value_kind:     hidden_grid_dims
    .group_segment_fixed_size: 32768
    .kernarg_segment_align: 8
    .kernarg_segment_size: 392
    .language:       OpenCL C
    .language_version:
      - 2
      - 0
    .max_flat_workgroup_size: 1024
    .name:           _ZL30rocblas_trmm_outofplace_kernelI19rocblas_complex_numIdELi32ELi2ELb1ELb1ELb1ELb0EPKS1_S2_S1_Ev17rocblas_diagonal_iiT6_lPT7_lllS7_lllPT8_llli
    .private_segment_fixed_size: 0
    .sgpr_count:     62
    .sgpr_spill_count: 0
    .symbol:         _ZL30rocblas_trmm_outofplace_kernelI19rocblas_complex_numIdELi32ELi2ELb1ELb1ELb1ELb0EPKS1_S2_S1_Ev17rocblas_diagonal_iiT6_lPT7_lllS7_lllPT8_llli.kd
    .uniform_work_group_size: 1
    .uses_dynamic_stack: false
    .vgpr_count:     88
    .vgpr_spill_count: 0
    .wavefront_size: 64
  - .agpr_count:     0
    .args:
      - .offset:         0
        .size:           4
        .value_kind:     by_value
      - .offset:         4
        .size:           4
        .value_kind:     by_value
      - .offset:         8
        .size:           4
        .value_kind:     by_value
      - .offset:         16
        .size:           16
        .value_kind:     by_value
      - .offset:         32
        .size:           8
        .value_kind:     by_value
      - .address_space:  global
        .offset:         40
        .size:           8
        .value_kind:     global_buffer
      - .offset:         48
        .size:           8
        .value_kind:     by_value
      - .offset:         56
        .size:           8
        .value_kind:     by_value
      - .offset:         64
        .size:           8
        .value_kind:     by_value
      - .address_space:  global
        .offset:         72
        .size:           8
        .value_kind:     global_buffer
      - .offset:         80
        .size:           8
        .value_kind:     by_value
      - .offset:         88
        .size:           8
        .value_kind:     by_value
      - .offset:         96
        .size:           8
        .value_kind:     by_value
      - .address_space:  global
        .offset:         104
        .size:           8
        .value_kind:     global_buffer
      - .offset:         112
        .size:           8
        .value_kind:     by_value
      - .offset:         120
        .size:           8
        .value_kind:     by_value
      - .offset:         128
        .size:           8
        .value_kind:     by_value
      - .offset:         136
        .size:           4
        .value_kind:     by_value
      - .offset:         144
        .size:           4
        .value_kind:     hidden_block_count_x
      - .offset:         148
        .size:           4
        .value_kind:     hidden_block_count_y
      - .offset:         152
        .size:           4
        .value_kind:     hidden_block_count_z
      - .offset:         156
        .size:           2
        .value_kind:     hidden_group_size_x
      - .offset:         158
        .size:           2
        .value_kind:     hidden_group_size_y
      - .offset:         160
        .size:           2
        .value_kind:     hidden_group_size_z
      - .offset:         162
        .size:           2
        .value_kind:     hidden_remainder_x
      - .offset:         164
        .size:           2
        .value_kind:     hidden_remainder_y
      - .offset:         166
        .size:           2
        .value_kind:     hidden_remainder_z
      - .offset:         184
        .size:           8
        .value_kind:     hidden_global_offset_x
      - .offset:         192
        .size:           8
        .value_kind:     hidden_global_offset_y
      - .offset:         200
        .size:           8
        .value_kind:     hidden_global_offset_z
      - .offset:         208
        .size:           2
        .value_kind:     hidden_grid_dims
    .group_segment_fixed_size: 32768
    .kernarg_segment_align: 8
    .kernarg_segment_size: 400
    .language:       OpenCL C
    .language_version:
      - 2
      - 0
    .max_flat_workgroup_size: 1024
    .name:           _ZL30rocblas_trmm_outofplace_kernelI19rocblas_complex_numIdELi32ELi2ELb1ELb1ELb1ELb0ES1_KS1_S1_Ev17rocblas_diagonal_iiT6_lPT7_lllS6_lllPT8_llli
    .private_segment_fixed_size: 0
    .sgpr_count:     60
    .sgpr_spill_count: 0
    .symbol:         _ZL30rocblas_trmm_outofplace_kernelI19rocblas_complex_numIdELi32ELi2ELb1ELb1ELb1ELb0ES1_KS1_S1_Ev17rocblas_diagonal_iiT6_lPT7_lllS6_lllPT8_llli.kd
    .uniform_work_group_size: 1
    .uses_dynamic_stack: false
    .vgpr_count:     88
    .vgpr_spill_count: 0
    .wavefront_size: 64
  - .agpr_count:     0
    .args:
      - .offset:         0
        .size:           4
        .value_kind:     by_value
      - .offset:         4
        .size:           4
        .value_kind:     by_value
      - .offset:         8
        .size:           4
        .value_kind:     by_value
      - .address_space:  global
        .offset:         16
        .size:           8
        .value_kind:     global_buffer
      - .offset:         24
        .size:           8
        .value_kind:     by_value
      - .address_space:  global
        .offset:         32
        .size:           8
        .value_kind:     global_buffer
      - .offset:         40
        .size:           8
        .value_kind:     by_value
      - .offset:         48
        .size:           8
        .value_kind:     by_value
      - .offset:         56
        .size:           8
        .value_kind:     by_value
      - .address_space:  global
        .offset:         64
        .size:           8
        .value_kind:     global_buffer
      - .offset:         72
        .size:           8
        .value_kind:     by_value
      - .offset:         80
        .size:           8
        .value_kind:     by_value
      - .offset:         88
        .size:           8
        .value_kind:     by_value
      - .address_space:  global
        .offset:         96
        .size:           8
        .value_kind:     global_buffer
      - .offset:         104
        .size:           8
        .value_kind:     by_value
      - .offset:         112
        .size:           8
        .value_kind:     by_value
      - .offset:         120
        .size:           8
        .value_kind:     by_value
      - .offset:         128
        .size:           4
        .value_kind:     by_value
      - .offset:         136
        .size:           4
        .value_kind:     hidden_block_count_x
      - .offset:         140
        .size:           4
        .value_kind:     hidden_block_count_y
      - .offset:         144
        .size:           4
        .value_kind:     hidden_block_count_z
      - .offset:         148
        .size:           2
        .value_kind:     hidden_group_size_x
      - .offset:         150
        .size:           2
        .value_kind:     hidden_group_size_y
      - .offset:         152
        .size:           2
        .value_kind:     hidden_group_size_z
      - .offset:         154
        .size:           2
        .value_kind:     hidden_remainder_x
      - .offset:         156
        .size:           2
        .value_kind:     hidden_remainder_y
      - .offset:         158
        .size:           2
        .value_kind:     hidden_remainder_z
      - .offset:         176
        .size:           8
        .value_kind:     hidden_global_offset_x
      - .offset:         184
        .size:           8
        .value_kind:     hidden_global_offset_y
      - .offset:         192
        .size:           8
        .value_kind:     hidden_global_offset_z
      - .offset:         200
        .size:           2
        .value_kind:     hidden_grid_dims
    .group_segment_fixed_size: 32768
    .kernarg_segment_align: 8
    .kernarg_segment_size: 392
    .language:       OpenCL C
    .language_version:
      - 2
      - 0
    .max_flat_workgroup_size: 1024
    .name:           _ZL30rocblas_trmm_outofplace_kernelI19rocblas_complex_numIdELi32ELi2ELb1ELb0ELb1ELb1EPKS1_S2_S1_Ev17rocblas_diagonal_iiT6_lPT7_lllS7_lllPT8_llli
    .private_segment_fixed_size: 0
    .sgpr_count:     60
    .sgpr_spill_count: 0
    .symbol:         _ZL30rocblas_trmm_outofplace_kernelI19rocblas_complex_numIdELi32ELi2ELb1ELb0ELb1ELb1EPKS1_S2_S1_Ev17rocblas_diagonal_iiT6_lPT7_lllS7_lllPT8_llli.kd
    .uniform_work_group_size: 1
    .uses_dynamic_stack: false
    .vgpr_count:     86
    .vgpr_spill_count: 0
    .wavefront_size: 64
  - .agpr_count:     0
    .args:
      - .offset:         0
        .size:           4
        .value_kind:     by_value
      - .offset:         4
        .size:           4
        .value_kind:     by_value
      - .offset:         8
        .size:           4
        .value_kind:     by_value
      - .offset:         16
        .size:           16
        .value_kind:     by_value
      - .offset:         32
        .size:           8
        .value_kind:     by_value
      - .address_space:  global
        .offset:         40
        .size:           8
        .value_kind:     global_buffer
      - .offset:         48
        .size:           8
        .value_kind:     by_value
      - .offset:         56
        .size:           8
        .value_kind:     by_value
      - .offset:         64
        .size:           8
        .value_kind:     by_value
      - .address_space:  global
        .offset:         72
        .size:           8
        .value_kind:     global_buffer
      - .offset:         80
        .size:           8
        .value_kind:     by_value
      - .offset:         88
        .size:           8
        .value_kind:     by_value
      - .offset:         96
        .size:           8
        .value_kind:     by_value
      - .address_space:  global
        .offset:         104
        .size:           8
        .value_kind:     global_buffer
      - .offset:         112
        .size:           8
        .value_kind:     by_value
      - .offset:         120
        .size:           8
        .value_kind:     by_value
      - .offset:         128
        .size:           8
        .value_kind:     by_value
      - .offset:         136
        .size:           4
        .value_kind:     by_value
      - .offset:         144
        .size:           4
        .value_kind:     hidden_block_count_x
      - .offset:         148
        .size:           4
        .value_kind:     hidden_block_count_y
      - .offset:         152
        .size:           4
        .value_kind:     hidden_block_count_z
      - .offset:         156
        .size:           2
        .value_kind:     hidden_group_size_x
      - .offset:         158
        .size:           2
        .value_kind:     hidden_group_size_y
      - .offset:         160
        .size:           2
        .value_kind:     hidden_group_size_z
      - .offset:         162
        .size:           2
        .value_kind:     hidden_remainder_x
      - .offset:         164
        .size:           2
        .value_kind:     hidden_remainder_y
      - .offset:         166
        .size:           2
        .value_kind:     hidden_remainder_z
      - .offset:         184
        .size:           8
        .value_kind:     hidden_global_offset_x
      - .offset:         192
        .size:           8
        .value_kind:     hidden_global_offset_y
      - .offset:         200
        .size:           8
        .value_kind:     hidden_global_offset_z
      - .offset:         208
        .size:           2
        .value_kind:     hidden_grid_dims
    .group_segment_fixed_size: 32768
    .kernarg_segment_align: 8
    .kernarg_segment_size: 400
    .language:       OpenCL C
    .language_version:
      - 2
      - 0
    .max_flat_workgroup_size: 1024
    .name:           _ZL30rocblas_trmm_outofplace_kernelI19rocblas_complex_numIdELi32ELi2ELb1ELb0ELb1ELb1ES1_KS1_S1_Ev17rocblas_diagonal_iiT6_lPT7_lllS6_lllPT8_llli
    .private_segment_fixed_size: 0
    .sgpr_count:     60
    .sgpr_spill_count: 0
    .symbol:         _ZL30rocblas_trmm_outofplace_kernelI19rocblas_complex_numIdELi32ELi2ELb1ELb0ELb1ELb1ES1_KS1_S1_Ev17rocblas_diagonal_iiT6_lPT7_lllS6_lllPT8_llli.kd
    .uniform_work_group_size: 1
    .uses_dynamic_stack: false
    .vgpr_count:     86
    .vgpr_spill_count: 0
    .wavefront_size: 64
  - .agpr_count:     0
    .args:
      - .offset:         0
        .size:           4
        .value_kind:     by_value
      - .offset:         4
        .size:           4
        .value_kind:     by_value
      - .offset:         8
        .size:           4
        .value_kind:     by_value
      - .address_space:  global
        .offset:         16
        .size:           8
        .value_kind:     global_buffer
      - .offset:         24
        .size:           8
        .value_kind:     by_value
      - .address_space:  global
        .offset:         32
        .size:           8
        .value_kind:     global_buffer
      - .offset:         40
        .size:           8
        .value_kind:     by_value
      - .offset:         48
        .size:           8
        .value_kind:     by_value
      - .offset:         56
        .size:           8
        .value_kind:     by_value
      - .address_space:  global
        .offset:         64
        .size:           8
        .value_kind:     global_buffer
      - .offset:         72
        .size:           8
        .value_kind:     by_value
      - .offset:         80
        .size:           8
        .value_kind:     by_value
      - .offset:         88
        .size:           8
        .value_kind:     by_value
      - .address_space:  global
        .offset:         96
        .size:           8
        .value_kind:     global_buffer
      - .offset:         104
        .size:           8
        .value_kind:     by_value
      - .offset:         112
        .size:           8
        .value_kind:     by_value
      - .offset:         120
        .size:           8
        .value_kind:     by_value
      - .offset:         128
        .size:           4
        .value_kind:     by_value
      - .offset:         136
        .size:           4
        .value_kind:     hidden_block_count_x
      - .offset:         140
        .size:           4
        .value_kind:     hidden_block_count_y
      - .offset:         144
        .size:           4
        .value_kind:     hidden_block_count_z
      - .offset:         148
        .size:           2
        .value_kind:     hidden_group_size_x
      - .offset:         150
        .size:           2
        .value_kind:     hidden_group_size_y
      - .offset:         152
        .size:           2
        .value_kind:     hidden_group_size_z
      - .offset:         154
        .size:           2
        .value_kind:     hidden_remainder_x
      - .offset:         156
        .size:           2
        .value_kind:     hidden_remainder_y
      - .offset:         158
        .size:           2
        .value_kind:     hidden_remainder_z
      - .offset:         176
        .size:           8
        .value_kind:     hidden_global_offset_x
      - .offset:         184
        .size:           8
        .value_kind:     hidden_global_offset_y
      - .offset:         192
        .size:           8
        .value_kind:     hidden_global_offset_z
      - .offset:         200
        .size:           2
        .value_kind:     hidden_grid_dims
    .group_segment_fixed_size: 32768
    .kernarg_segment_align: 8
    .kernarg_segment_size: 392
    .language:       OpenCL C
    .language_version:
      - 2
      - 0
    .max_flat_workgroup_size: 1024
    .name:           _ZL30rocblas_trmm_outofplace_kernelI19rocblas_complex_numIdELi32ELi2ELb1ELb1ELb1ELb1EPKS1_S2_S1_Ev17rocblas_diagonal_iiT6_lPT7_lllS7_lllPT8_llli
    .private_segment_fixed_size: 0
    .sgpr_count:     60
    .sgpr_spill_count: 0
    .symbol:         _ZL30rocblas_trmm_outofplace_kernelI19rocblas_complex_numIdELi32ELi2ELb1ELb1ELb1ELb1EPKS1_S2_S1_Ev17rocblas_diagonal_iiT6_lPT7_lllS7_lllPT8_llli.kd
    .uniform_work_group_size: 1
    .uses_dynamic_stack: false
    .vgpr_count:     86
    .vgpr_spill_count: 0
    .wavefront_size: 64
  - .agpr_count:     0
    .args:
      - .offset:         0
        .size:           4
        .value_kind:     by_value
      - .offset:         4
        .size:           4
        .value_kind:     by_value
      - .offset:         8
        .size:           4
        .value_kind:     by_value
      - .offset:         16
        .size:           16
        .value_kind:     by_value
      - .offset:         32
        .size:           8
        .value_kind:     by_value
      - .address_space:  global
        .offset:         40
        .size:           8
        .value_kind:     global_buffer
      - .offset:         48
        .size:           8
        .value_kind:     by_value
      - .offset:         56
        .size:           8
        .value_kind:     by_value
      - .offset:         64
        .size:           8
        .value_kind:     by_value
      - .address_space:  global
        .offset:         72
        .size:           8
        .value_kind:     global_buffer
      - .offset:         80
        .size:           8
        .value_kind:     by_value
      - .offset:         88
        .size:           8
        .value_kind:     by_value
      - .offset:         96
        .size:           8
        .value_kind:     by_value
      - .address_space:  global
        .offset:         104
        .size:           8
        .value_kind:     global_buffer
      - .offset:         112
        .size:           8
        .value_kind:     by_value
      - .offset:         120
        .size:           8
        .value_kind:     by_value
      - .offset:         128
        .size:           8
        .value_kind:     by_value
      - .offset:         136
        .size:           4
        .value_kind:     by_value
      - .offset:         144
        .size:           4
        .value_kind:     hidden_block_count_x
      - .offset:         148
        .size:           4
        .value_kind:     hidden_block_count_y
      - .offset:         152
        .size:           4
        .value_kind:     hidden_block_count_z
      - .offset:         156
        .size:           2
        .value_kind:     hidden_group_size_x
      - .offset:         158
        .size:           2
        .value_kind:     hidden_group_size_y
      - .offset:         160
        .size:           2
        .value_kind:     hidden_group_size_z
      - .offset:         162
        .size:           2
        .value_kind:     hidden_remainder_x
      - .offset:         164
        .size:           2
        .value_kind:     hidden_remainder_y
      - .offset:         166
        .size:           2
        .value_kind:     hidden_remainder_z
      - .offset:         184
        .size:           8
        .value_kind:     hidden_global_offset_x
      - .offset:         192
        .size:           8
        .value_kind:     hidden_global_offset_y
      - .offset:         200
        .size:           8
        .value_kind:     hidden_global_offset_z
      - .offset:         208
        .size:           2
        .value_kind:     hidden_grid_dims
    .group_segment_fixed_size: 32768
    .kernarg_segment_align: 8
    .kernarg_segment_size: 400
    .language:       OpenCL C
    .language_version:
      - 2
      - 0
    .max_flat_workgroup_size: 1024
    .name:           _ZL30rocblas_trmm_outofplace_kernelI19rocblas_complex_numIdELi32ELi2ELb1ELb1ELb1ELb1ES1_KS1_S1_Ev17rocblas_diagonal_iiT6_lPT7_lllS6_lllPT8_llli
    .private_segment_fixed_size: 0
    .sgpr_count:     60
    .sgpr_spill_count: 0
    .symbol:         _ZL30rocblas_trmm_outofplace_kernelI19rocblas_complex_numIdELi32ELi2ELb1ELb1ELb1ELb1ES1_KS1_S1_Ev17rocblas_diagonal_iiT6_lPT7_lllS6_lllPT8_llli.kd
    .uniform_work_group_size: 1
    .uses_dynamic_stack: false
    .vgpr_count:     86
    .vgpr_spill_count: 0
    .wavefront_size: 64
  - .agpr_count:     0
    .args:
      - .offset:         0
        .size:           4
        .value_kind:     by_value
      - .offset:         4
        .size:           4
        .value_kind:     by_value
      - .offset:         8
        .size:           4
        .value_kind:     by_value
      - .address_space:  global
        .offset:         16
        .size:           8
        .value_kind:     global_buffer
      - .offset:         24
        .size:           8
        .value_kind:     by_value
      - .address_space:  global
        .offset:         32
        .size:           8
        .value_kind:     global_buffer
      - .offset:         40
        .size:           8
        .value_kind:     by_value
      - .offset:         48
        .size:           8
        .value_kind:     by_value
      - .offset:         56
        .size:           8
        .value_kind:     by_value
      - .address_space:  global
        .offset:         64
        .size:           8
        .value_kind:     global_buffer
      - .offset:         72
        .size:           8
        .value_kind:     by_value
      - .offset:         80
        .size:           8
        .value_kind:     by_value
      - .offset:         88
        .size:           8
        .value_kind:     by_value
      - .address_space:  global
        .offset:         96
        .size:           8
        .value_kind:     global_buffer
      - .offset:         104
        .size:           8
        .value_kind:     by_value
      - .offset:         112
        .size:           8
        .value_kind:     by_value
      - .offset:         120
        .size:           8
        .value_kind:     by_value
      - .offset:         128
        .size:           4
        .value_kind:     by_value
      - .offset:         136
        .size:           4
        .value_kind:     hidden_block_count_x
      - .offset:         140
        .size:           4
        .value_kind:     hidden_block_count_y
      - .offset:         144
        .size:           4
        .value_kind:     hidden_block_count_z
      - .offset:         148
        .size:           2
        .value_kind:     hidden_group_size_x
      - .offset:         150
        .size:           2
        .value_kind:     hidden_group_size_y
      - .offset:         152
        .size:           2
        .value_kind:     hidden_group_size_z
      - .offset:         154
        .size:           2
        .value_kind:     hidden_remainder_x
      - .offset:         156
        .size:           2
        .value_kind:     hidden_remainder_y
      - .offset:         158
        .size:           2
        .value_kind:     hidden_remainder_z
      - .offset:         176
        .size:           8
        .value_kind:     hidden_global_offset_x
      - .offset:         184
        .size:           8
        .value_kind:     hidden_global_offset_y
      - .offset:         192
        .size:           8
        .value_kind:     hidden_global_offset_z
      - .offset:         200
        .size:           2
        .value_kind:     hidden_grid_dims
    .group_segment_fixed_size: 32768
    .kernarg_segment_align: 8
    .kernarg_segment_size: 392
    .language:       OpenCL C
    .language_version:
      - 2
      - 0
    .max_flat_workgroup_size: 1024
    .name:           _ZL30rocblas_trmm_outofplace_kernelI19rocblas_complex_numIdELi32ELi2ELb0ELb0ELb0ELb0EPKS1_S2_S1_Ev17rocblas_diagonal_iiT6_lPT7_lllS7_lllPT8_llli
    .private_segment_fixed_size: 0
    .sgpr_count:     68
    .sgpr_spill_count: 0
    .symbol:         _ZL30rocblas_trmm_outofplace_kernelI19rocblas_complex_numIdELi32ELi2ELb0ELb0ELb0ELb0EPKS1_S2_S1_Ev17rocblas_diagonal_iiT6_lPT7_lllS7_lllPT8_llli.kd
    .uniform_work_group_size: 1
    .uses_dynamic_stack: false
    .vgpr_count:     90
    .vgpr_spill_count: 0
    .wavefront_size: 64
  - .agpr_count:     0
    .args:
      - .offset:         0
        .size:           4
        .value_kind:     by_value
      - .offset:         4
        .size:           4
        .value_kind:     by_value
      - .offset:         8
        .size:           4
        .value_kind:     by_value
      - .offset:         16
        .size:           16
        .value_kind:     by_value
      - .offset:         32
        .size:           8
        .value_kind:     by_value
      - .address_space:  global
        .offset:         40
        .size:           8
        .value_kind:     global_buffer
      - .offset:         48
        .size:           8
        .value_kind:     by_value
      - .offset:         56
        .size:           8
        .value_kind:     by_value
      - .offset:         64
        .size:           8
        .value_kind:     by_value
      - .address_space:  global
        .offset:         72
        .size:           8
        .value_kind:     global_buffer
      - .offset:         80
        .size:           8
        .value_kind:     by_value
      - .offset:         88
        .size:           8
        .value_kind:     by_value
      - .offset:         96
        .size:           8
        .value_kind:     by_value
      - .address_space:  global
        .offset:         104
        .size:           8
        .value_kind:     global_buffer
      - .offset:         112
        .size:           8
        .value_kind:     by_value
      - .offset:         120
        .size:           8
        .value_kind:     by_value
      - .offset:         128
        .size:           8
        .value_kind:     by_value
      - .offset:         136
        .size:           4
        .value_kind:     by_value
      - .offset:         144
        .size:           4
        .value_kind:     hidden_block_count_x
      - .offset:         148
        .size:           4
        .value_kind:     hidden_block_count_y
      - .offset:         152
        .size:           4
        .value_kind:     hidden_block_count_z
      - .offset:         156
        .size:           2
        .value_kind:     hidden_group_size_x
      - .offset:         158
        .size:           2
        .value_kind:     hidden_group_size_y
      - .offset:         160
        .size:           2
        .value_kind:     hidden_group_size_z
      - .offset:         162
        .size:           2
        .value_kind:     hidden_remainder_x
      - .offset:         164
        .size:           2
        .value_kind:     hidden_remainder_y
      - .offset:         166
        .size:           2
        .value_kind:     hidden_remainder_z
      - .offset:         184
        .size:           8
        .value_kind:     hidden_global_offset_x
      - .offset:         192
        .size:           8
        .value_kind:     hidden_global_offset_y
      - .offset:         200
        .size:           8
        .value_kind:     hidden_global_offset_z
      - .offset:         208
        .size:           2
        .value_kind:     hidden_grid_dims
    .group_segment_fixed_size: 32768
    .kernarg_segment_align: 8
    .kernarg_segment_size: 400
    .language:       OpenCL C
    .language_version:
      - 2
      - 0
    .max_flat_workgroup_size: 1024
    .name:           _ZL30rocblas_trmm_outofplace_kernelI19rocblas_complex_numIdELi32ELi2ELb0ELb0ELb0ELb0ES1_KS1_S1_Ev17rocblas_diagonal_iiT6_lPT7_lllS6_lllPT8_llli
    .private_segment_fixed_size: 0
    .sgpr_count:     68
    .sgpr_spill_count: 0
    .symbol:         _ZL30rocblas_trmm_outofplace_kernelI19rocblas_complex_numIdELi32ELi2ELb0ELb0ELb0ELb0ES1_KS1_S1_Ev17rocblas_diagonal_iiT6_lPT7_lllS6_lllPT8_llli.kd
    .uniform_work_group_size: 1
    .uses_dynamic_stack: false
    .vgpr_count:     90
    .vgpr_spill_count: 0
    .wavefront_size: 64
  - .agpr_count:     0
    .args:
      - .offset:         0
        .size:           4
        .value_kind:     by_value
      - .offset:         4
        .size:           4
        .value_kind:     by_value
      - .offset:         8
        .size:           4
        .value_kind:     by_value
      - .address_space:  global
        .offset:         16
        .size:           8
        .value_kind:     global_buffer
      - .offset:         24
        .size:           8
        .value_kind:     by_value
      - .address_space:  global
        .offset:         32
        .size:           8
        .value_kind:     global_buffer
      - .offset:         40
        .size:           8
        .value_kind:     by_value
      - .offset:         48
        .size:           8
        .value_kind:     by_value
      - .offset:         56
        .size:           8
        .value_kind:     by_value
      - .address_space:  global
        .offset:         64
        .size:           8
        .value_kind:     global_buffer
      - .offset:         72
        .size:           8
        .value_kind:     by_value
      - .offset:         80
        .size:           8
        .value_kind:     by_value
      - .offset:         88
        .size:           8
        .value_kind:     by_value
      - .address_space:  global
        .offset:         96
        .size:           8
        .value_kind:     global_buffer
      - .offset:         104
        .size:           8
        .value_kind:     by_value
      - .offset:         112
        .size:           8
        .value_kind:     by_value
      - .offset:         120
        .size:           8
        .value_kind:     by_value
      - .offset:         128
        .size:           4
        .value_kind:     by_value
      - .offset:         136
        .size:           4
        .value_kind:     hidden_block_count_x
      - .offset:         140
        .size:           4
        .value_kind:     hidden_block_count_y
      - .offset:         144
        .size:           4
        .value_kind:     hidden_block_count_z
      - .offset:         148
        .size:           2
        .value_kind:     hidden_group_size_x
      - .offset:         150
        .size:           2
        .value_kind:     hidden_group_size_y
      - .offset:         152
        .size:           2
        .value_kind:     hidden_group_size_z
      - .offset:         154
        .size:           2
        .value_kind:     hidden_remainder_x
      - .offset:         156
        .size:           2
        .value_kind:     hidden_remainder_y
      - .offset:         158
        .size:           2
        .value_kind:     hidden_remainder_z
      - .offset:         176
        .size:           8
        .value_kind:     hidden_global_offset_x
      - .offset:         184
        .size:           8
        .value_kind:     hidden_global_offset_y
      - .offset:         192
        .size:           8
        .value_kind:     hidden_global_offset_z
      - .offset:         200
        .size:           2
        .value_kind:     hidden_grid_dims
    .group_segment_fixed_size: 32768
    .kernarg_segment_align: 8
    .kernarg_segment_size: 392
    .language:       OpenCL C
    .language_version:
      - 2
      - 0
    .max_flat_workgroup_size: 1024
    .name:           _ZL30rocblas_trmm_outofplace_kernelI19rocblas_complex_numIdELi32ELi2ELb0ELb1ELb0ELb0EPKS1_S2_S1_Ev17rocblas_diagonal_iiT6_lPT7_lllS7_lllPT8_llli
    .private_segment_fixed_size: 0
    .sgpr_count:     62
    .sgpr_spill_count: 0
    .symbol:         _ZL30rocblas_trmm_outofplace_kernelI19rocblas_complex_numIdELi32ELi2ELb0ELb1ELb0ELb0EPKS1_S2_S1_Ev17rocblas_diagonal_iiT6_lPT7_lllS7_lllPT8_llli.kd
    .uniform_work_group_size: 1
    .uses_dynamic_stack: false
    .vgpr_count:     92
    .vgpr_spill_count: 0
    .wavefront_size: 64
  - .agpr_count:     0
    .args:
      - .offset:         0
        .size:           4
        .value_kind:     by_value
      - .offset:         4
        .size:           4
        .value_kind:     by_value
      - .offset:         8
        .size:           4
        .value_kind:     by_value
      - .offset:         16
        .size:           16
        .value_kind:     by_value
      - .offset:         32
        .size:           8
        .value_kind:     by_value
      - .address_space:  global
        .offset:         40
        .size:           8
        .value_kind:     global_buffer
      - .offset:         48
        .size:           8
        .value_kind:     by_value
      - .offset:         56
        .size:           8
        .value_kind:     by_value
      - .offset:         64
        .size:           8
        .value_kind:     by_value
      - .address_space:  global
        .offset:         72
        .size:           8
        .value_kind:     global_buffer
      - .offset:         80
        .size:           8
        .value_kind:     by_value
      - .offset:         88
        .size:           8
        .value_kind:     by_value
      - .offset:         96
        .size:           8
        .value_kind:     by_value
      - .address_space:  global
        .offset:         104
        .size:           8
        .value_kind:     global_buffer
      - .offset:         112
        .size:           8
        .value_kind:     by_value
      - .offset:         120
        .size:           8
        .value_kind:     by_value
      - .offset:         128
        .size:           8
        .value_kind:     by_value
      - .offset:         136
        .size:           4
        .value_kind:     by_value
      - .offset:         144
        .size:           4
        .value_kind:     hidden_block_count_x
      - .offset:         148
        .size:           4
        .value_kind:     hidden_block_count_y
      - .offset:         152
        .size:           4
        .value_kind:     hidden_block_count_z
      - .offset:         156
        .size:           2
        .value_kind:     hidden_group_size_x
      - .offset:         158
        .size:           2
        .value_kind:     hidden_group_size_y
      - .offset:         160
        .size:           2
        .value_kind:     hidden_group_size_z
      - .offset:         162
        .size:           2
        .value_kind:     hidden_remainder_x
      - .offset:         164
        .size:           2
        .value_kind:     hidden_remainder_y
      - .offset:         166
        .size:           2
        .value_kind:     hidden_remainder_z
      - .offset:         184
        .size:           8
        .value_kind:     hidden_global_offset_x
      - .offset:         192
        .size:           8
        .value_kind:     hidden_global_offset_y
      - .offset:         200
        .size:           8
        .value_kind:     hidden_global_offset_z
      - .offset:         208
        .size:           2
        .value_kind:     hidden_grid_dims
    .group_segment_fixed_size: 32768
    .kernarg_segment_align: 8
    .kernarg_segment_size: 400
    .language:       OpenCL C
    .language_version:
      - 2
      - 0
    .max_flat_workgroup_size: 1024
    .name:           _ZL30rocblas_trmm_outofplace_kernelI19rocblas_complex_numIdELi32ELi2ELb0ELb1ELb0ELb0ES1_KS1_S1_Ev17rocblas_diagonal_iiT6_lPT7_lllS6_lllPT8_llli
    .private_segment_fixed_size: 0
    .sgpr_count:     64
    .sgpr_spill_count: 0
    .symbol:         _ZL30rocblas_trmm_outofplace_kernelI19rocblas_complex_numIdELi32ELi2ELb0ELb1ELb0ELb0ES1_KS1_S1_Ev17rocblas_diagonal_iiT6_lPT7_lllS6_lllPT8_llli.kd
    .uniform_work_group_size: 1
    .uses_dynamic_stack: false
    .vgpr_count:     92
    .vgpr_spill_count: 0
    .wavefront_size: 64
  - .agpr_count:     0
    .args:
      - .offset:         0
        .size:           4
        .value_kind:     by_value
      - .offset:         4
        .size:           4
        .value_kind:     by_value
      - .offset:         8
        .size:           4
        .value_kind:     by_value
      - .address_space:  global
        .offset:         16
        .size:           8
        .value_kind:     global_buffer
      - .offset:         24
        .size:           8
        .value_kind:     by_value
      - .address_space:  global
        .offset:         32
        .size:           8
        .value_kind:     global_buffer
      - .offset:         40
        .size:           8
        .value_kind:     by_value
      - .offset:         48
        .size:           8
        .value_kind:     by_value
      - .offset:         56
        .size:           8
        .value_kind:     by_value
      - .address_space:  global
        .offset:         64
        .size:           8
        .value_kind:     global_buffer
      - .offset:         72
        .size:           8
        .value_kind:     by_value
      - .offset:         80
        .size:           8
        .value_kind:     by_value
      - .offset:         88
        .size:           8
        .value_kind:     by_value
      - .address_space:  global
        .offset:         96
        .size:           8
        .value_kind:     global_buffer
      - .offset:         104
        .size:           8
        .value_kind:     by_value
      - .offset:         112
        .size:           8
        .value_kind:     by_value
      - .offset:         120
        .size:           8
        .value_kind:     by_value
      - .offset:         128
        .size:           4
        .value_kind:     by_value
      - .offset:         136
        .size:           4
        .value_kind:     hidden_block_count_x
      - .offset:         140
        .size:           4
        .value_kind:     hidden_block_count_y
      - .offset:         144
        .size:           4
        .value_kind:     hidden_block_count_z
      - .offset:         148
        .size:           2
        .value_kind:     hidden_group_size_x
      - .offset:         150
        .size:           2
        .value_kind:     hidden_group_size_y
      - .offset:         152
        .size:           2
        .value_kind:     hidden_group_size_z
      - .offset:         154
        .size:           2
        .value_kind:     hidden_remainder_x
      - .offset:         156
        .size:           2
        .value_kind:     hidden_remainder_y
      - .offset:         158
        .size:           2
        .value_kind:     hidden_remainder_z
      - .offset:         176
        .size:           8
        .value_kind:     hidden_global_offset_x
      - .offset:         184
        .size:           8
        .value_kind:     hidden_global_offset_y
      - .offset:         192
        .size:           8
        .value_kind:     hidden_global_offset_z
      - .offset:         200
        .size:           2
        .value_kind:     hidden_grid_dims
    .group_segment_fixed_size: 32768
    .kernarg_segment_align: 8
    .kernarg_segment_size: 392
    .language:       OpenCL C
    .language_version:
      - 2
      - 0
    .max_flat_workgroup_size: 1024
    .name:           _ZL30rocblas_trmm_outofplace_kernelI19rocblas_complex_numIdELi32ELi2ELb0ELb0ELb1ELb0EPKS1_S2_S1_Ev17rocblas_diagonal_iiT6_lPT7_lllS7_lllPT8_llli
    .private_segment_fixed_size: 0
    .sgpr_count:     59
    .sgpr_spill_count: 0
    .symbol:         _ZL30rocblas_trmm_outofplace_kernelI19rocblas_complex_numIdELi32ELi2ELb0ELb0ELb1ELb0EPKS1_S2_S1_Ev17rocblas_diagonal_iiT6_lPT7_lllS7_lllPT8_llli.kd
    .uniform_work_group_size: 1
    .uses_dynamic_stack: false
    .vgpr_count:     96
    .vgpr_spill_count: 0
    .wavefront_size: 64
  - .agpr_count:     0
    .args:
      - .offset:         0
        .size:           4
        .value_kind:     by_value
      - .offset:         4
        .size:           4
        .value_kind:     by_value
      - .offset:         8
        .size:           4
        .value_kind:     by_value
      - .offset:         16
        .size:           16
        .value_kind:     by_value
      - .offset:         32
        .size:           8
        .value_kind:     by_value
      - .address_space:  global
        .offset:         40
        .size:           8
        .value_kind:     global_buffer
      - .offset:         48
        .size:           8
        .value_kind:     by_value
      - .offset:         56
        .size:           8
        .value_kind:     by_value
      - .offset:         64
        .size:           8
        .value_kind:     by_value
      - .address_space:  global
        .offset:         72
        .size:           8
        .value_kind:     global_buffer
      - .offset:         80
        .size:           8
        .value_kind:     by_value
      - .offset:         88
        .size:           8
        .value_kind:     by_value
      - .offset:         96
        .size:           8
        .value_kind:     by_value
      - .address_space:  global
        .offset:         104
        .size:           8
        .value_kind:     global_buffer
      - .offset:         112
        .size:           8
        .value_kind:     by_value
      - .offset:         120
        .size:           8
        .value_kind:     by_value
      - .offset:         128
        .size:           8
        .value_kind:     by_value
      - .offset:         136
        .size:           4
        .value_kind:     by_value
      - .offset:         144
        .size:           4
        .value_kind:     hidden_block_count_x
      - .offset:         148
        .size:           4
        .value_kind:     hidden_block_count_y
      - .offset:         152
        .size:           4
        .value_kind:     hidden_block_count_z
      - .offset:         156
        .size:           2
        .value_kind:     hidden_group_size_x
      - .offset:         158
        .size:           2
        .value_kind:     hidden_group_size_y
      - .offset:         160
        .size:           2
        .value_kind:     hidden_group_size_z
      - .offset:         162
        .size:           2
        .value_kind:     hidden_remainder_x
      - .offset:         164
        .size:           2
        .value_kind:     hidden_remainder_y
      - .offset:         166
        .size:           2
        .value_kind:     hidden_remainder_z
      - .offset:         184
        .size:           8
        .value_kind:     hidden_global_offset_x
      - .offset:         192
        .size:           8
        .value_kind:     hidden_global_offset_y
      - .offset:         200
        .size:           8
        .value_kind:     hidden_global_offset_z
      - .offset:         208
        .size:           2
        .value_kind:     hidden_grid_dims
    .group_segment_fixed_size: 32768
    .kernarg_segment_align: 8
    .kernarg_segment_size: 400
    .language:       OpenCL C
    .language_version:
      - 2
      - 0
    .max_flat_workgroup_size: 1024
    .name:           _ZL30rocblas_trmm_outofplace_kernelI19rocblas_complex_numIdELi32ELi2ELb0ELb0ELb1ELb0ES1_KS1_S1_Ev17rocblas_diagonal_iiT6_lPT7_lllS6_lllPT8_llli
    .private_segment_fixed_size: 0
    .sgpr_count:     56
    .sgpr_spill_count: 0
    .symbol:         _ZL30rocblas_trmm_outofplace_kernelI19rocblas_complex_numIdELi32ELi2ELb0ELb0ELb1ELb0ES1_KS1_S1_Ev17rocblas_diagonal_iiT6_lPT7_lllS6_lllPT8_llli.kd
    .uniform_work_group_size: 1
    .uses_dynamic_stack: false
    .vgpr_count:     96
    .vgpr_spill_count: 0
    .wavefront_size: 64
  - .agpr_count:     0
    .args:
      - .offset:         0
        .size:           4
        .value_kind:     by_value
      - .offset:         4
        .size:           4
        .value_kind:     by_value
      - .offset:         8
        .size:           4
        .value_kind:     by_value
      - .address_space:  global
        .offset:         16
        .size:           8
        .value_kind:     global_buffer
      - .offset:         24
        .size:           8
        .value_kind:     by_value
      - .address_space:  global
        .offset:         32
        .size:           8
        .value_kind:     global_buffer
      - .offset:         40
        .size:           8
        .value_kind:     by_value
      - .offset:         48
        .size:           8
        .value_kind:     by_value
      - .offset:         56
        .size:           8
        .value_kind:     by_value
      - .address_space:  global
        .offset:         64
        .size:           8
        .value_kind:     global_buffer
      - .offset:         72
        .size:           8
        .value_kind:     by_value
      - .offset:         80
        .size:           8
        .value_kind:     by_value
      - .offset:         88
        .size:           8
        .value_kind:     by_value
      - .address_space:  global
        .offset:         96
        .size:           8
        .value_kind:     global_buffer
      - .offset:         104
        .size:           8
        .value_kind:     by_value
      - .offset:         112
        .size:           8
        .value_kind:     by_value
      - .offset:         120
        .size:           8
        .value_kind:     by_value
      - .offset:         128
        .size:           4
        .value_kind:     by_value
      - .offset:         136
        .size:           4
        .value_kind:     hidden_block_count_x
      - .offset:         140
        .size:           4
        .value_kind:     hidden_block_count_y
      - .offset:         144
        .size:           4
        .value_kind:     hidden_block_count_z
      - .offset:         148
        .size:           2
        .value_kind:     hidden_group_size_x
      - .offset:         150
        .size:           2
        .value_kind:     hidden_group_size_y
      - .offset:         152
        .size:           2
        .value_kind:     hidden_group_size_z
      - .offset:         154
        .size:           2
        .value_kind:     hidden_remainder_x
      - .offset:         156
        .size:           2
        .value_kind:     hidden_remainder_y
      - .offset:         158
        .size:           2
        .value_kind:     hidden_remainder_z
      - .offset:         176
        .size:           8
        .value_kind:     hidden_global_offset_x
      - .offset:         184
        .size:           8
        .value_kind:     hidden_global_offset_y
      - .offset:         192
        .size:           8
        .value_kind:     hidden_global_offset_z
      - .offset:         200
        .size:           2
        .value_kind:     hidden_grid_dims
    .group_segment_fixed_size: 32768
    .kernarg_segment_align: 8
    .kernarg_segment_size: 392
    .language:       OpenCL C
    .language_version:
      - 2
      - 0
    .max_flat_workgroup_size: 1024
    .name:           _ZL30rocblas_trmm_outofplace_kernelI19rocblas_complex_numIdELi32ELi2ELb0ELb1ELb1ELb0EPKS1_S2_S1_Ev17rocblas_diagonal_iiT6_lPT7_lllS7_lllPT8_llli
    .private_segment_fixed_size: 0
    .sgpr_count:     69
    .sgpr_spill_count: 0
    .symbol:         _ZL30rocblas_trmm_outofplace_kernelI19rocblas_complex_numIdELi32ELi2ELb0ELb1ELb1ELb0EPKS1_S2_S1_Ev17rocblas_diagonal_iiT6_lPT7_lllS7_lllPT8_llli.kd
    .uniform_work_group_size: 1
    .uses_dynamic_stack: false
    .vgpr_count:     90
    .vgpr_spill_count: 0
    .wavefront_size: 64
  - .agpr_count:     0
    .args:
      - .offset:         0
        .size:           4
        .value_kind:     by_value
      - .offset:         4
        .size:           4
        .value_kind:     by_value
      - .offset:         8
        .size:           4
        .value_kind:     by_value
      - .offset:         16
        .size:           16
        .value_kind:     by_value
      - .offset:         32
        .size:           8
        .value_kind:     by_value
      - .address_space:  global
        .offset:         40
        .size:           8
        .value_kind:     global_buffer
      - .offset:         48
        .size:           8
        .value_kind:     by_value
      - .offset:         56
        .size:           8
        .value_kind:     by_value
      - .offset:         64
        .size:           8
        .value_kind:     by_value
      - .address_space:  global
        .offset:         72
        .size:           8
        .value_kind:     global_buffer
      - .offset:         80
        .size:           8
        .value_kind:     by_value
      - .offset:         88
        .size:           8
        .value_kind:     by_value
      - .offset:         96
        .size:           8
        .value_kind:     by_value
      - .address_space:  global
        .offset:         104
        .size:           8
        .value_kind:     global_buffer
      - .offset:         112
        .size:           8
        .value_kind:     by_value
      - .offset:         120
        .size:           8
        .value_kind:     by_value
      - .offset:         128
        .size:           8
        .value_kind:     by_value
      - .offset:         136
        .size:           4
        .value_kind:     by_value
      - .offset:         144
        .size:           4
        .value_kind:     hidden_block_count_x
      - .offset:         148
        .size:           4
        .value_kind:     hidden_block_count_y
      - .offset:         152
        .size:           4
        .value_kind:     hidden_block_count_z
      - .offset:         156
        .size:           2
        .value_kind:     hidden_group_size_x
      - .offset:         158
        .size:           2
        .value_kind:     hidden_group_size_y
      - .offset:         160
        .size:           2
        .value_kind:     hidden_group_size_z
      - .offset:         162
        .size:           2
        .value_kind:     hidden_remainder_x
      - .offset:         164
        .size:           2
        .value_kind:     hidden_remainder_y
      - .offset:         166
        .size:           2
        .value_kind:     hidden_remainder_z
      - .offset:         184
        .size:           8
        .value_kind:     hidden_global_offset_x
      - .offset:         192
        .size:           8
        .value_kind:     hidden_global_offset_y
      - .offset:         200
        .size:           8
        .value_kind:     hidden_global_offset_z
      - .offset:         208
        .size:           2
        .value_kind:     hidden_grid_dims
    .group_segment_fixed_size: 32768
    .kernarg_segment_align: 8
    .kernarg_segment_size: 400
    .language:       OpenCL C
    .language_version:
      - 2
      - 0
    .max_flat_workgroup_size: 1024
    .name:           _ZL30rocblas_trmm_outofplace_kernelI19rocblas_complex_numIdELi32ELi2ELb0ELb1ELb1ELb0ES1_KS1_S1_Ev17rocblas_diagonal_iiT6_lPT7_lllS6_lllPT8_llli
    .private_segment_fixed_size: 0
    .sgpr_count:     69
    .sgpr_spill_count: 0
    .symbol:         _ZL30rocblas_trmm_outofplace_kernelI19rocblas_complex_numIdELi32ELi2ELb0ELb1ELb1ELb0ES1_KS1_S1_Ev17rocblas_diagonal_iiT6_lPT7_lllS6_lllPT8_llli.kd
    .uniform_work_group_size: 1
    .uses_dynamic_stack: false
    .vgpr_count:     90
    .vgpr_spill_count: 0
    .wavefront_size: 64
  - .agpr_count:     0
    .args:
      - .offset:         0
        .size:           4
        .value_kind:     by_value
      - .offset:         4
        .size:           4
        .value_kind:     by_value
      - .offset:         8
        .size:           4
        .value_kind:     by_value
      - .address_space:  global
        .offset:         16
        .size:           8
        .value_kind:     global_buffer
      - .offset:         24
        .size:           8
        .value_kind:     by_value
      - .address_space:  global
        .offset:         32
        .size:           8
        .value_kind:     global_buffer
      - .offset:         40
        .size:           8
        .value_kind:     by_value
      - .offset:         48
        .size:           8
        .value_kind:     by_value
      - .offset:         56
        .size:           8
        .value_kind:     by_value
      - .address_space:  global
        .offset:         64
        .size:           8
        .value_kind:     global_buffer
      - .offset:         72
        .size:           8
        .value_kind:     by_value
      - .offset:         80
        .size:           8
        .value_kind:     by_value
      - .offset:         88
        .size:           8
        .value_kind:     by_value
      - .address_space:  global
        .offset:         96
        .size:           8
        .value_kind:     global_buffer
      - .offset:         104
        .size:           8
        .value_kind:     by_value
      - .offset:         112
        .size:           8
        .value_kind:     by_value
      - .offset:         120
        .size:           8
        .value_kind:     by_value
      - .offset:         128
        .size:           4
        .value_kind:     by_value
      - .offset:         136
        .size:           4
        .value_kind:     hidden_block_count_x
      - .offset:         140
        .size:           4
        .value_kind:     hidden_block_count_y
      - .offset:         144
        .size:           4
        .value_kind:     hidden_block_count_z
      - .offset:         148
        .size:           2
        .value_kind:     hidden_group_size_x
      - .offset:         150
        .size:           2
        .value_kind:     hidden_group_size_y
      - .offset:         152
        .size:           2
        .value_kind:     hidden_group_size_z
      - .offset:         154
        .size:           2
        .value_kind:     hidden_remainder_x
      - .offset:         156
        .size:           2
        .value_kind:     hidden_remainder_y
      - .offset:         158
        .size:           2
        .value_kind:     hidden_remainder_z
      - .offset:         176
        .size:           8
        .value_kind:     hidden_global_offset_x
      - .offset:         184
        .size:           8
        .value_kind:     hidden_global_offset_y
      - .offset:         192
        .size:           8
        .value_kind:     hidden_global_offset_z
      - .offset:         200
        .size:           2
        .value_kind:     hidden_grid_dims
    .group_segment_fixed_size: 32768
    .kernarg_segment_align: 8
    .kernarg_segment_size: 392
    .language:       OpenCL C
    .language_version:
      - 2
      - 0
    .max_flat_workgroup_size: 1024
    .name:           _ZL30rocblas_trmm_outofplace_kernelI19rocblas_complex_numIdELi32ELi2ELb0ELb0ELb1ELb1EPKS1_S2_S1_Ev17rocblas_diagonal_iiT6_lPT7_lllS7_lllPT8_llli
    .private_segment_fixed_size: 0
    .sgpr_count:     57
    .sgpr_spill_count: 0
    .symbol:         _ZL30rocblas_trmm_outofplace_kernelI19rocblas_complex_numIdELi32ELi2ELb0ELb0ELb1ELb1EPKS1_S2_S1_Ev17rocblas_diagonal_iiT6_lPT7_lllS7_lllPT8_llli.kd
    .uniform_work_group_size: 1
    .uses_dynamic_stack: false
    .vgpr_count:     94
    .vgpr_spill_count: 0
    .wavefront_size: 64
  - .agpr_count:     0
    .args:
      - .offset:         0
        .size:           4
        .value_kind:     by_value
      - .offset:         4
        .size:           4
        .value_kind:     by_value
      - .offset:         8
        .size:           4
        .value_kind:     by_value
      - .offset:         16
        .size:           16
        .value_kind:     by_value
      - .offset:         32
        .size:           8
        .value_kind:     by_value
      - .address_space:  global
        .offset:         40
        .size:           8
        .value_kind:     global_buffer
      - .offset:         48
        .size:           8
        .value_kind:     by_value
      - .offset:         56
        .size:           8
        .value_kind:     by_value
      - .offset:         64
        .size:           8
        .value_kind:     by_value
      - .address_space:  global
        .offset:         72
        .size:           8
        .value_kind:     global_buffer
      - .offset:         80
        .size:           8
        .value_kind:     by_value
      - .offset:         88
        .size:           8
        .value_kind:     by_value
      - .offset:         96
        .size:           8
        .value_kind:     by_value
      - .address_space:  global
        .offset:         104
        .size:           8
        .value_kind:     global_buffer
      - .offset:         112
        .size:           8
        .value_kind:     by_value
      - .offset:         120
        .size:           8
        .value_kind:     by_value
      - .offset:         128
        .size:           8
        .value_kind:     by_value
      - .offset:         136
        .size:           4
        .value_kind:     by_value
      - .offset:         144
        .size:           4
        .value_kind:     hidden_block_count_x
      - .offset:         148
        .size:           4
        .value_kind:     hidden_block_count_y
      - .offset:         152
        .size:           4
        .value_kind:     hidden_block_count_z
      - .offset:         156
        .size:           2
        .value_kind:     hidden_group_size_x
      - .offset:         158
        .size:           2
        .value_kind:     hidden_group_size_y
      - .offset:         160
        .size:           2
        .value_kind:     hidden_group_size_z
      - .offset:         162
        .size:           2
        .value_kind:     hidden_remainder_x
      - .offset:         164
        .size:           2
        .value_kind:     hidden_remainder_y
      - .offset:         166
        .size:           2
        .value_kind:     hidden_remainder_z
      - .offset:         184
        .size:           8
        .value_kind:     hidden_global_offset_x
      - .offset:         192
        .size:           8
        .value_kind:     hidden_global_offset_y
      - .offset:         200
        .size:           8
        .value_kind:     hidden_global_offset_z
      - .offset:         208
        .size:           2
        .value_kind:     hidden_grid_dims
    .group_segment_fixed_size: 32768
    .kernarg_segment_align: 8
    .kernarg_segment_size: 400
    .language:       OpenCL C
    .language_version:
      - 2
      - 0
    .max_flat_workgroup_size: 1024
    .name:           _ZL30rocblas_trmm_outofplace_kernelI19rocblas_complex_numIdELi32ELi2ELb0ELb0ELb1ELb1ES1_KS1_S1_Ev17rocblas_diagonal_iiT6_lPT7_lllS6_lllPT8_llli
    .private_segment_fixed_size: 0
    .sgpr_count:     56
    .sgpr_spill_count: 0
    .symbol:         _ZL30rocblas_trmm_outofplace_kernelI19rocblas_complex_numIdELi32ELi2ELb0ELb0ELb1ELb1ES1_KS1_S1_Ev17rocblas_diagonal_iiT6_lPT7_lllS6_lllPT8_llli.kd
    .uniform_work_group_size: 1
    .uses_dynamic_stack: false
    .vgpr_count:     94
    .vgpr_spill_count: 0
    .wavefront_size: 64
  - .agpr_count:     0
    .args:
      - .offset:         0
        .size:           4
        .value_kind:     by_value
      - .offset:         4
        .size:           4
        .value_kind:     by_value
      - .offset:         8
        .size:           4
        .value_kind:     by_value
      - .address_space:  global
        .offset:         16
        .size:           8
        .value_kind:     global_buffer
      - .offset:         24
        .size:           8
        .value_kind:     by_value
      - .address_space:  global
        .offset:         32
        .size:           8
        .value_kind:     global_buffer
      - .offset:         40
        .size:           8
        .value_kind:     by_value
      - .offset:         48
        .size:           8
        .value_kind:     by_value
      - .offset:         56
        .size:           8
        .value_kind:     by_value
      - .address_space:  global
        .offset:         64
        .size:           8
        .value_kind:     global_buffer
      - .offset:         72
        .size:           8
        .value_kind:     by_value
      - .offset:         80
        .size:           8
        .value_kind:     by_value
      - .offset:         88
        .size:           8
        .value_kind:     by_value
      - .address_space:  global
        .offset:         96
        .size:           8
        .value_kind:     global_buffer
      - .offset:         104
        .size:           8
        .value_kind:     by_value
      - .offset:         112
        .size:           8
        .value_kind:     by_value
      - .offset:         120
        .size:           8
        .value_kind:     by_value
      - .offset:         128
        .size:           4
        .value_kind:     by_value
      - .offset:         136
        .size:           4
        .value_kind:     hidden_block_count_x
      - .offset:         140
        .size:           4
        .value_kind:     hidden_block_count_y
      - .offset:         144
        .size:           4
        .value_kind:     hidden_block_count_z
      - .offset:         148
        .size:           2
        .value_kind:     hidden_group_size_x
      - .offset:         150
        .size:           2
        .value_kind:     hidden_group_size_y
      - .offset:         152
        .size:           2
        .value_kind:     hidden_group_size_z
      - .offset:         154
        .size:           2
        .value_kind:     hidden_remainder_x
      - .offset:         156
        .size:           2
        .value_kind:     hidden_remainder_y
      - .offset:         158
        .size:           2
        .value_kind:     hidden_remainder_z
      - .offset:         176
        .size:           8
        .value_kind:     hidden_global_offset_x
      - .offset:         184
        .size:           8
        .value_kind:     hidden_global_offset_y
      - .offset:         192
        .size:           8
        .value_kind:     hidden_global_offset_z
      - .offset:         200
        .size:           2
        .value_kind:     hidden_grid_dims
    .group_segment_fixed_size: 32768
    .kernarg_segment_align: 8
    .kernarg_segment_size: 392
    .language:       OpenCL C
    .language_version:
      - 2
      - 0
    .max_flat_workgroup_size: 1024
    .name:           _ZL30rocblas_trmm_outofplace_kernelI19rocblas_complex_numIdELi32ELi2ELb0ELb1ELb1ELb1EPKS1_S2_S1_Ev17rocblas_diagonal_iiT6_lPT7_lllS7_lllPT8_llli
    .private_segment_fixed_size: 0
    .sgpr_count:     67
    .sgpr_spill_count: 0
    .symbol:         _ZL30rocblas_trmm_outofplace_kernelI19rocblas_complex_numIdELi32ELi2ELb0ELb1ELb1ELb1EPKS1_S2_S1_Ev17rocblas_diagonal_iiT6_lPT7_lllS7_lllPT8_llli.kd
    .uniform_work_group_size: 1
    .uses_dynamic_stack: false
    .vgpr_count:     88
    .vgpr_spill_count: 0
    .wavefront_size: 64
  - .agpr_count:     0
    .args:
      - .offset:         0
        .size:           4
        .value_kind:     by_value
      - .offset:         4
        .size:           4
        .value_kind:     by_value
      - .offset:         8
        .size:           4
        .value_kind:     by_value
      - .offset:         16
        .size:           16
        .value_kind:     by_value
      - .offset:         32
        .size:           8
        .value_kind:     by_value
      - .address_space:  global
        .offset:         40
        .size:           8
        .value_kind:     global_buffer
      - .offset:         48
        .size:           8
        .value_kind:     by_value
      - .offset:         56
        .size:           8
        .value_kind:     by_value
      - .offset:         64
        .size:           8
        .value_kind:     by_value
      - .address_space:  global
        .offset:         72
        .size:           8
        .value_kind:     global_buffer
      - .offset:         80
        .size:           8
        .value_kind:     by_value
      - .offset:         88
        .size:           8
        .value_kind:     by_value
      - .offset:         96
        .size:           8
        .value_kind:     by_value
      - .address_space:  global
        .offset:         104
        .size:           8
        .value_kind:     global_buffer
      - .offset:         112
        .size:           8
        .value_kind:     by_value
      - .offset:         120
        .size:           8
        .value_kind:     by_value
      - .offset:         128
        .size:           8
        .value_kind:     by_value
      - .offset:         136
        .size:           4
        .value_kind:     by_value
      - .offset:         144
        .size:           4
        .value_kind:     hidden_block_count_x
      - .offset:         148
        .size:           4
        .value_kind:     hidden_block_count_y
      - .offset:         152
        .size:           4
        .value_kind:     hidden_block_count_z
      - .offset:         156
        .size:           2
        .value_kind:     hidden_group_size_x
      - .offset:         158
        .size:           2
        .value_kind:     hidden_group_size_y
      - .offset:         160
        .size:           2
        .value_kind:     hidden_group_size_z
      - .offset:         162
        .size:           2
        .value_kind:     hidden_remainder_x
      - .offset:         164
        .size:           2
        .value_kind:     hidden_remainder_y
      - .offset:         166
        .size:           2
        .value_kind:     hidden_remainder_z
      - .offset:         184
        .size:           8
        .value_kind:     hidden_global_offset_x
      - .offset:         192
        .size:           8
        .value_kind:     hidden_global_offset_y
      - .offset:         200
        .size:           8
        .value_kind:     hidden_global_offset_z
      - .offset:         208
        .size:           2
        .value_kind:     hidden_grid_dims
    .group_segment_fixed_size: 32768
    .kernarg_segment_align: 8
    .kernarg_segment_size: 400
    .language:       OpenCL C
    .language_version:
      - 2
      - 0
    .max_flat_workgroup_size: 1024
    .name:           _ZL30rocblas_trmm_outofplace_kernelI19rocblas_complex_numIdELi32ELi2ELb0ELb1ELb1ELb1ES1_KS1_S1_Ev17rocblas_diagonal_iiT6_lPT7_lllS6_lllPT8_llli
    .private_segment_fixed_size: 0
    .sgpr_count:     67
    .sgpr_spill_count: 0
    .symbol:         _ZL30rocblas_trmm_outofplace_kernelI19rocblas_complex_numIdELi32ELi2ELb0ELb1ELb1ELb1ES1_KS1_S1_Ev17rocblas_diagonal_iiT6_lPT7_lllS6_lllPT8_llli.kd
    .uniform_work_group_size: 1
    .uses_dynamic_stack: false
    .vgpr_count:     88
    .vgpr_spill_count: 0
    .wavefront_size: 64
  - .agpr_count:     0
    .args:
      - .offset:         0
        .size:           4
        .value_kind:     by_value
      - .offset:         4
        .size:           4
        .value_kind:     by_value
      - .offset:         8
        .size:           4
        .value_kind:     by_value
      - .offset:         12
        .size:           4
        .value_kind:     by_value
      - .address_space:  global
        .offset:         16
        .size:           8
        .value_kind:     global_buffer
      - .offset:         24
        .size:           8
        .value_kind:     by_value
      - .address_space:  global
        .offset:         32
        .size:           8
        .value_kind:     global_buffer
      - .offset:         40
        .size:           8
        .value_kind:     by_value
      - .offset:         48
        .size:           8
        .value_kind:     by_value
      - .address_space:  global
        .offset:         56
        .size:           8
        .value_kind:     global_buffer
      - .offset:         64
        .size:           8
        .value_kind:     by_value
      - .offset:         72
        .size:           8
        .value_kind:     by_value
      - .address_space:  global
        .offset:         80
        .size:           8
        .value_kind:     global_buffer
      - .offset:         88
        .size:           8
        .value_kind:     by_value
      - .offset:         96
        .size:           8
        .value_kind:     by_value
      - .offset:         104
        .size:           4
        .value_kind:     by_value
    .group_segment_fixed_size: 8192
    .kernarg_segment_align: 8
    .kernarg_segment_size: 108
    .language:       OpenCL C
    .language_version:
      - 2
      - 0
    .max_flat_workgroup_size: 256
    .name:           _ZL23rocblas_trmm_lNx_kernelILi16E19rocblas_complex_numIdEPKS1_S2_S1_Ev13rocblas_fill_17rocblas_diagonal_iiT1_lPT2_llS8_llPT3_lli
    .private_segment_fixed_size: 0
    .sgpr_count:     32
    .sgpr_spill_count: 0
    .symbol:         _ZL23rocblas_trmm_lNx_kernelILi16E19rocblas_complex_numIdEPKS1_S2_S1_Ev13rocblas_fill_17rocblas_diagonal_iiT1_lPT2_llS8_llPT3_lli.kd
    .uniform_work_group_size: 1
    .uses_dynamic_stack: false
    .vgpr_count:     75
    .vgpr_spill_count: 0
    .wavefront_size: 64
  - .agpr_count:     0
    .args:
      - .offset:         0
        .size:           4
        .value_kind:     by_value
      - .offset:         4
        .size:           4
        .value_kind:     by_value
      - .offset:         8
        .size:           4
        .value_kind:     by_value
      - .offset:         12
        .size:           4
        .value_kind:     by_value
      - .offset:         16
        .size:           16
        .value_kind:     by_value
      - .offset:         32
        .size:           8
        .value_kind:     by_value
      - .address_space:  global
        .offset:         40
        .size:           8
        .value_kind:     global_buffer
      - .offset:         48
        .size:           8
        .value_kind:     by_value
      - .offset:         56
        .size:           8
        .value_kind:     by_value
      - .address_space:  global
        .offset:         64
        .size:           8
        .value_kind:     global_buffer
      - .offset:         72
        .size:           8
        .value_kind:     by_value
      - .offset:         80
        .size:           8
        .value_kind:     by_value
      - .address_space:  global
        .offset:         88
        .size:           8
        .value_kind:     global_buffer
      - .offset:         96
        .size:           8
        .value_kind:     by_value
      - .offset:         104
        .size:           8
        .value_kind:     by_value
      - .offset:         112
        .size:           4
        .value_kind:     by_value
    .group_segment_fixed_size: 8192
    .kernarg_segment_align: 8
    .kernarg_segment_size: 116
    .language:       OpenCL C
    .language_version:
      - 2
      - 0
    .max_flat_workgroup_size: 256
    .name:           _ZL23rocblas_trmm_lNx_kernelILi16E19rocblas_complex_numIdES1_KS1_S1_Ev13rocblas_fill_17rocblas_diagonal_iiT1_lPT2_llS7_llPT3_lli
    .private_segment_fixed_size: 0
    .sgpr_count:     36
    .sgpr_spill_count: 0
    .symbol:         _ZL23rocblas_trmm_lNx_kernelILi16E19rocblas_complex_numIdES1_KS1_S1_Ev13rocblas_fill_17rocblas_diagonal_iiT1_lPT2_llS7_llPT3_lli.kd
    .uniform_work_group_size: 1
    .uses_dynamic_stack: false
    .vgpr_count:     75
    .vgpr_spill_count: 0
    .wavefront_size: 64
  - .agpr_count:     0
    .args:
      - .offset:         0
        .size:           4
        .value_kind:     by_value
      - .offset:         4
        .size:           4
        .value_kind:     by_value
      - .offset:         8
        .size:           4
        .value_kind:     by_value
      - .offset:         12
        .size:           4
        .value_kind:     by_value
      - .address_space:  global
        .offset:         16
        .size:           8
        .value_kind:     global_buffer
      - .offset:         24
        .size:           8
        .value_kind:     by_value
      - .address_space:  global
        .offset:         32
        .size:           8
        .value_kind:     global_buffer
      - .offset:         40
        .size:           8
        .value_kind:     by_value
      - .offset:         48
        .size:           8
        .value_kind:     by_value
      - .address_space:  global
        .offset:         56
        .size:           8
        .value_kind:     global_buffer
      - .offset:         64
        .size:           8
        .value_kind:     by_value
      - .offset:         72
        .size:           8
        .value_kind:     by_value
      - .address_space:  global
        .offset:         80
        .size:           8
        .value_kind:     global_buffer
      - .offset:         88
        .size:           8
        .value_kind:     by_value
      - .offset:         96
        .size:           8
        .value_kind:     by_value
      - .offset:         104
        .size:           4
        .value_kind:     by_value
    .group_segment_fixed_size: 8192
    .kernarg_segment_align: 8
    .kernarg_segment_size: 108
    .language:       OpenCL C
    .language_version:
      - 2
      - 0
    .max_flat_workgroup_size: 256
    .name:           _ZL23rocblas_trmm_lTx_kernelILi16ELb0E19rocblas_complex_numIdEPKS1_S2_S1_Ev13rocblas_fill_17rocblas_diagonal_iiT2_lPT3_llS8_llPT4_lli
    .private_segment_fixed_size: 0
    .sgpr_count:     32
    .sgpr_spill_count: 0
    .symbol:         _ZL23rocblas_trmm_lTx_kernelILi16ELb0E19rocblas_complex_numIdEPKS1_S2_S1_Ev13rocblas_fill_17rocblas_diagonal_iiT2_lPT3_llS8_llPT4_lli.kd
    .uniform_work_group_size: 1
    .uses_dynamic_stack: false
    .vgpr_count:     75
    .vgpr_spill_count: 0
    .wavefront_size: 64
  - .agpr_count:     0
    .args:
      - .offset:         0
        .size:           4
        .value_kind:     by_value
      - .offset:         4
        .size:           4
        .value_kind:     by_value
      - .offset:         8
        .size:           4
        .value_kind:     by_value
      - .offset:         12
        .size:           4
        .value_kind:     by_value
      - .offset:         16
        .size:           16
        .value_kind:     by_value
      - .offset:         32
        .size:           8
        .value_kind:     by_value
      - .address_space:  global
        .offset:         40
        .size:           8
        .value_kind:     global_buffer
      - .offset:         48
        .size:           8
        .value_kind:     by_value
      - .offset:         56
        .size:           8
        .value_kind:     by_value
      - .address_space:  global
        .offset:         64
        .size:           8
        .value_kind:     global_buffer
      - .offset:         72
        .size:           8
        .value_kind:     by_value
      - .offset:         80
        .size:           8
        .value_kind:     by_value
      - .address_space:  global
        .offset:         88
        .size:           8
        .value_kind:     global_buffer
      - .offset:         96
        .size:           8
        .value_kind:     by_value
      - .offset:         104
        .size:           8
        .value_kind:     by_value
      - .offset:         112
        .size:           4
        .value_kind:     by_value
    .group_segment_fixed_size: 8192
    .kernarg_segment_align: 8
    .kernarg_segment_size: 116
    .language:       OpenCL C
    .language_version:
      - 2
      - 0
    .max_flat_workgroup_size: 256
    .name:           _ZL23rocblas_trmm_lTx_kernelILi16ELb0E19rocblas_complex_numIdES1_KS1_S1_Ev13rocblas_fill_17rocblas_diagonal_iiT2_lPT3_llS7_llPT4_lli
    .private_segment_fixed_size: 0
    .sgpr_count:     36
    .sgpr_spill_count: 0
    .symbol:         _ZL23rocblas_trmm_lTx_kernelILi16ELb0E19rocblas_complex_numIdES1_KS1_S1_Ev13rocblas_fill_17rocblas_diagonal_iiT2_lPT3_llS7_llPT4_lli.kd
    .uniform_work_group_size: 1
    .uses_dynamic_stack: false
    .vgpr_count:     75
    .vgpr_spill_count: 0
    .wavefront_size: 64
  - .agpr_count:     0
    .args:
      - .offset:         0
        .size:           4
        .value_kind:     by_value
      - .offset:         4
        .size:           4
        .value_kind:     by_value
      - .offset:         8
        .size:           4
        .value_kind:     by_value
      - .offset:         12
        .size:           4
        .value_kind:     by_value
      - .address_space:  global
        .offset:         16
        .size:           8
        .value_kind:     global_buffer
      - .offset:         24
        .size:           8
        .value_kind:     by_value
      - .address_space:  global
        .offset:         32
        .size:           8
        .value_kind:     global_buffer
      - .offset:         40
        .size:           8
        .value_kind:     by_value
      - .offset:         48
        .size:           8
        .value_kind:     by_value
      - .address_space:  global
        .offset:         56
        .size:           8
        .value_kind:     global_buffer
      - .offset:         64
        .size:           8
        .value_kind:     by_value
      - .offset:         72
        .size:           8
        .value_kind:     by_value
      - .address_space:  global
        .offset:         80
        .size:           8
        .value_kind:     global_buffer
      - .offset:         88
        .size:           8
        .value_kind:     by_value
      - .offset:         96
        .size:           8
        .value_kind:     by_value
      - .offset:         104
        .size:           4
        .value_kind:     by_value
    .group_segment_fixed_size: 8192
    .kernarg_segment_align: 8
    .kernarg_segment_size: 108
    .language:       OpenCL C
    .language_version:
      - 2
      - 0
    .max_flat_workgroup_size: 256
    .name:           _ZL23rocblas_trmm_lTx_kernelILi16ELb1E19rocblas_complex_numIdEPKS1_S2_S1_Ev13rocblas_fill_17rocblas_diagonal_iiT2_lPT3_llS8_llPT4_lli
    .private_segment_fixed_size: 0
    .sgpr_count:     32
    .sgpr_spill_count: 0
    .symbol:         _ZL23rocblas_trmm_lTx_kernelILi16ELb1E19rocblas_complex_numIdEPKS1_S2_S1_Ev13rocblas_fill_17rocblas_diagonal_iiT2_lPT3_llS8_llPT4_lli.kd
    .uniform_work_group_size: 1
    .uses_dynamic_stack: false
    .vgpr_count:     75
    .vgpr_spill_count: 0
    .wavefront_size: 64
  - .agpr_count:     0
    .args:
      - .offset:         0
        .size:           4
        .value_kind:     by_value
      - .offset:         4
        .size:           4
        .value_kind:     by_value
      - .offset:         8
        .size:           4
        .value_kind:     by_value
      - .offset:         12
        .size:           4
        .value_kind:     by_value
      - .offset:         16
        .size:           16
        .value_kind:     by_value
      - .offset:         32
        .size:           8
        .value_kind:     by_value
      - .address_space:  global
        .offset:         40
        .size:           8
        .value_kind:     global_buffer
      - .offset:         48
        .size:           8
        .value_kind:     by_value
      - .offset:         56
        .size:           8
        .value_kind:     by_value
      - .address_space:  global
        .offset:         64
        .size:           8
        .value_kind:     global_buffer
      - .offset:         72
        .size:           8
        .value_kind:     by_value
      - .offset:         80
        .size:           8
        .value_kind:     by_value
      - .address_space:  global
        .offset:         88
        .size:           8
        .value_kind:     global_buffer
      - .offset:         96
        .size:           8
        .value_kind:     by_value
      - .offset:         104
        .size:           8
        .value_kind:     by_value
      - .offset:         112
        .size:           4
        .value_kind:     by_value
    .group_segment_fixed_size: 8192
    .kernarg_segment_align: 8
    .kernarg_segment_size: 116
    .language:       OpenCL C
    .language_version:
      - 2
      - 0
    .max_flat_workgroup_size: 256
    .name:           _ZL23rocblas_trmm_lTx_kernelILi16ELb1E19rocblas_complex_numIdES1_KS1_S1_Ev13rocblas_fill_17rocblas_diagonal_iiT2_lPT3_llS7_llPT4_lli
    .private_segment_fixed_size: 0
    .sgpr_count:     36
    .sgpr_spill_count: 0
    .symbol:         _ZL23rocblas_trmm_lTx_kernelILi16ELb1E19rocblas_complex_numIdES1_KS1_S1_Ev13rocblas_fill_17rocblas_diagonal_iiT2_lPT3_llS7_llPT4_lli.kd
    .uniform_work_group_size: 1
    .uses_dynamic_stack: false
    .vgpr_count:     75
    .vgpr_spill_count: 0
    .wavefront_size: 64
  - .agpr_count:     0
    .args:
      - .offset:         0
        .size:           4
        .value_kind:     by_value
      - .offset:         4
        .size:           4
        .value_kind:     by_value
      - .offset:         8
        .size:           4
        .value_kind:     by_value
      - .offset:         12
        .size:           4
        .value_kind:     by_value
      - .address_space:  global
        .offset:         16
        .size:           8
        .value_kind:     global_buffer
      - .offset:         24
        .size:           8
        .value_kind:     by_value
      - .address_space:  global
        .offset:         32
        .size:           8
        .value_kind:     global_buffer
      - .offset:         40
        .size:           8
        .value_kind:     by_value
      - .offset:         48
        .size:           8
        .value_kind:     by_value
      - .address_space:  global
        .offset:         56
        .size:           8
        .value_kind:     global_buffer
      - .offset:         64
        .size:           8
        .value_kind:     by_value
      - .offset:         72
        .size:           8
        .value_kind:     by_value
      - .address_space:  global
        .offset:         80
        .size:           8
        .value_kind:     global_buffer
      - .offset:         88
        .size:           8
        .value_kind:     by_value
      - .offset:         96
        .size:           8
        .value_kind:     by_value
      - .offset:         104
        .size:           4
        .value_kind:     by_value
    .group_segment_fixed_size: 8192
    .kernarg_segment_align: 8
    .kernarg_segment_size: 108
    .language:       OpenCL C
    .language_version:
      - 2
      - 0
    .max_flat_workgroup_size: 256
    .name:           _ZL23rocblas_trmm_rNx_kernelILi16E19rocblas_complex_numIdEPKS1_S2_S1_Ev13rocblas_fill_17rocblas_diagonal_iiT1_lPT2_llS8_llPT3_lli
    .private_segment_fixed_size: 0
    .sgpr_count:     32
    .sgpr_spill_count: 0
    .symbol:         _ZL23rocblas_trmm_rNx_kernelILi16E19rocblas_complex_numIdEPKS1_S2_S1_Ev13rocblas_fill_17rocblas_diagonal_iiT1_lPT2_llS8_llPT3_lli.kd
    .uniform_work_group_size: 1
    .uses_dynamic_stack: false
    .vgpr_count:     75
    .vgpr_spill_count: 0
    .wavefront_size: 64
  - .agpr_count:     0
    .args:
      - .offset:         0
        .size:           4
        .value_kind:     by_value
      - .offset:         4
        .size:           4
        .value_kind:     by_value
      - .offset:         8
        .size:           4
        .value_kind:     by_value
      - .offset:         12
        .size:           4
        .value_kind:     by_value
      - .offset:         16
        .size:           16
        .value_kind:     by_value
      - .offset:         32
        .size:           8
        .value_kind:     by_value
      - .address_space:  global
        .offset:         40
        .size:           8
        .value_kind:     global_buffer
      - .offset:         48
        .size:           8
        .value_kind:     by_value
      - .offset:         56
        .size:           8
        .value_kind:     by_value
      - .address_space:  global
        .offset:         64
        .size:           8
        .value_kind:     global_buffer
      - .offset:         72
        .size:           8
        .value_kind:     by_value
      - .offset:         80
        .size:           8
        .value_kind:     by_value
      - .address_space:  global
        .offset:         88
        .size:           8
        .value_kind:     global_buffer
      - .offset:         96
        .size:           8
        .value_kind:     by_value
      - .offset:         104
        .size:           8
        .value_kind:     by_value
      - .offset:         112
        .size:           4
        .value_kind:     by_value
    .group_segment_fixed_size: 8192
    .kernarg_segment_align: 8
    .kernarg_segment_size: 116
    .language:       OpenCL C
    .language_version:
      - 2
      - 0
    .max_flat_workgroup_size: 256
    .name:           _ZL23rocblas_trmm_rNx_kernelILi16E19rocblas_complex_numIdES1_KS1_S1_Ev13rocblas_fill_17rocblas_diagonal_iiT1_lPT2_llS7_llPT3_lli
    .private_segment_fixed_size: 0
    .sgpr_count:     36
    .sgpr_spill_count: 0
    .symbol:         _ZL23rocblas_trmm_rNx_kernelILi16E19rocblas_complex_numIdES1_KS1_S1_Ev13rocblas_fill_17rocblas_diagonal_iiT1_lPT2_llS7_llPT3_lli.kd
    .uniform_work_group_size: 1
    .uses_dynamic_stack: false
    .vgpr_count:     75
    .vgpr_spill_count: 0
    .wavefront_size: 64
  - .agpr_count:     0
    .args:
      - .offset:         0
        .size:           4
        .value_kind:     by_value
      - .offset:         4
        .size:           4
        .value_kind:     by_value
      - .offset:         8
        .size:           4
        .value_kind:     by_value
      - .offset:         12
        .size:           4
        .value_kind:     by_value
      - .address_space:  global
        .offset:         16
        .size:           8
        .value_kind:     global_buffer
      - .offset:         24
        .size:           8
        .value_kind:     by_value
      - .address_space:  global
        .offset:         32
        .size:           8
        .value_kind:     global_buffer
      - .offset:         40
        .size:           8
        .value_kind:     by_value
      - .offset:         48
        .size:           8
        .value_kind:     by_value
      - .address_space:  global
        .offset:         56
        .size:           8
        .value_kind:     global_buffer
      - .offset:         64
        .size:           8
        .value_kind:     by_value
      - .offset:         72
        .size:           8
        .value_kind:     by_value
      - .address_space:  global
        .offset:         80
        .size:           8
        .value_kind:     global_buffer
      - .offset:         88
        .size:           8
        .value_kind:     by_value
      - .offset:         96
        .size:           8
        .value_kind:     by_value
      - .offset:         104
        .size:           4
        .value_kind:     by_value
    .group_segment_fixed_size: 8192
    .kernarg_segment_align: 8
    .kernarg_segment_size: 108
    .language:       OpenCL C
    .language_version:
      - 2
      - 0
    .max_flat_workgroup_size: 256
    .name:           _ZL23rocblas_trmm_rTx_kernelILi16ELb0E19rocblas_complex_numIdEPKS1_S2_S1_Ev13rocblas_fill_17rocblas_diagonal_iiT2_lPT3_llS8_llPT4_lli
    .private_segment_fixed_size: 0
    .sgpr_count:     32
    .sgpr_spill_count: 0
    .symbol:         _ZL23rocblas_trmm_rTx_kernelILi16ELb0E19rocblas_complex_numIdEPKS1_S2_S1_Ev13rocblas_fill_17rocblas_diagonal_iiT2_lPT3_llS8_llPT4_lli.kd
    .uniform_work_group_size: 1
    .uses_dynamic_stack: false
    .vgpr_count:     76
    .vgpr_spill_count: 0
    .wavefront_size: 64
  - .agpr_count:     0
    .args:
      - .offset:         0
        .size:           4
        .value_kind:     by_value
      - .offset:         4
        .size:           4
        .value_kind:     by_value
      - .offset:         8
        .size:           4
        .value_kind:     by_value
      - .offset:         12
        .size:           4
        .value_kind:     by_value
      - .offset:         16
        .size:           16
        .value_kind:     by_value
      - .offset:         32
        .size:           8
        .value_kind:     by_value
      - .address_space:  global
        .offset:         40
        .size:           8
        .value_kind:     global_buffer
      - .offset:         48
        .size:           8
        .value_kind:     by_value
      - .offset:         56
        .size:           8
        .value_kind:     by_value
      - .address_space:  global
        .offset:         64
        .size:           8
        .value_kind:     global_buffer
      - .offset:         72
        .size:           8
        .value_kind:     by_value
      - .offset:         80
        .size:           8
        .value_kind:     by_value
      - .address_space:  global
        .offset:         88
        .size:           8
        .value_kind:     global_buffer
      - .offset:         96
        .size:           8
        .value_kind:     by_value
      - .offset:         104
        .size:           8
        .value_kind:     by_value
      - .offset:         112
        .size:           4
        .value_kind:     by_value
    .group_segment_fixed_size: 8192
    .kernarg_segment_align: 8
    .kernarg_segment_size: 116
    .language:       OpenCL C
    .language_version:
      - 2
      - 0
    .max_flat_workgroup_size: 256
    .name:           _ZL23rocblas_trmm_rTx_kernelILi16ELb0E19rocblas_complex_numIdES1_KS1_S1_Ev13rocblas_fill_17rocblas_diagonal_iiT2_lPT3_llS7_llPT4_lli
    .private_segment_fixed_size: 0
    .sgpr_count:     36
    .sgpr_spill_count: 0
    .symbol:         _ZL23rocblas_trmm_rTx_kernelILi16ELb0E19rocblas_complex_numIdES1_KS1_S1_Ev13rocblas_fill_17rocblas_diagonal_iiT2_lPT3_llS7_llPT4_lli.kd
    .uniform_work_group_size: 1
    .uses_dynamic_stack: false
    .vgpr_count:     76
    .vgpr_spill_count: 0
    .wavefront_size: 64
  - .agpr_count:     0
    .args:
      - .offset:         0
        .size:           4
        .value_kind:     by_value
      - .offset:         4
        .size:           4
        .value_kind:     by_value
      - .offset:         8
        .size:           4
        .value_kind:     by_value
      - .offset:         12
        .size:           4
        .value_kind:     by_value
      - .address_space:  global
        .offset:         16
        .size:           8
        .value_kind:     global_buffer
      - .offset:         24
        .size:           8
        .value_kind:     by_value
      - .address_space:  global
        .offset:         32
        .size:           8
        .value_kind:     global_buffer
      - .offset:         40
        .size:           8
        .value_kind:     by_value
      - .offset:         48
        .size:           8
        .value_kind:     by_value
      - .address_space:  global
        .offset:         56
        .size:           8
        .value_kind:     global_buffer
      - .offset:         64
        .size:           8
        .value_kind:     by_value
      - .offset:         72
        .size:           8
        .value_kind:     by_value
      - .address_space:  global
        .offset:         80
        .size:           8
        .value_kind:     global_buffer
      - .offset:         88
        .size:           8
        .value_kind:     by_value
      - .offset:         96
        .size:           8
        .value_kind:     by_value
      - .offset:         104
        .size:           4
        .value_kind:     by_value
    .group_segment_fixed_size: 8192
    .kernarg_segment_align: 8
    .kernarg_segment_size: 108
    .language:       OpenCL C
    .language_version:
      - 2
      - 0
    .max_flat_workgroup_size: 256
    .name:           _ZL23rocblas_trmm_rTx_kernelILi16ELb1E19rocblas_complex_numIdEPKS1_S2_S1_Ev13rocblas_fill_17rocblas_diagonal_iiT2_lPT3_llS8_llPT4_lli
    .private_segment_fixed_size: 0
    .sgpr_count:     32
    .sgpr_spill_count: 0
    .symbol:         _ZL23rocblas_trmm_rTx_kernelILi16ELb1E19rocblas_complex_numIdEPKS1_S2_S1_Ev13rocblas_fill_17rocblas_diagonal_iiT2_lPT3_llS8_llPT4_lli.kd
    .uniform_work_group_size: 1
    .uses_dynamic_stack: false
    .vgpr_count:     76
    .vgpr_spill_count: 0
    .wavefront_size: 64
  - .agpr_count:     0
    .args:
      - .offset:         0
        .size:           4
        .value_kind:     by_value
      - .offset:         4
        .size:           4
        .value_kind:     by_value
      - .offset:         8
        .size:           4
        .value_kind:     by_value
      - .offset:         12
        .size:           4
        .value_kind:     by_value
      - .offset:         16
        .size:           16
        .value_kind:     by_value
      - .offset:         32
        .size:           8
        .value_kind:     by_value
      - .address_space:  global
        .offset:         40
        .size:           8
        .value_kind:     global_buffer
      - .offset:         48
        .size:           8
        .value_kind:     by_value
      - .offset:         56
        .size:           8
        .value_kind:     by_value
      - .address_space:  global
        .offset:         64
        .size:           8
        .value_kind:     global_buffer
      - .offset:         72
        .size:           8
        .value_kind:     by_value
      - .offset:         80
        .size:           8
        .value_kind:     by_value
      - .address_space:  global
        .offset:         88
        .size:           8
        .value_kind:     global_buffer
      - .offset:         96
        .size:           8
        .value_kind:     by_value
      - .offset:         104
        .size:           8
        .value_kind:     by_value
      - .offset:         112
        .size:           4
        .value_kind:     by_value
    .group_segment_fixed_size: 8192
    .kernarg_segment_align: 8
    .kernarg_segment_size: 116
    .language:       OpenCL C
    .language_version:
      - 2
      - 0
    .max_flat_workgroup_size: 256
    .name:           _ZL23rocblas_trmm_rTx_kernelILi16ELb1E19rocblas_complex_numIdES1_KS1_S1_Ev13rocblas_fill_17rocblas_diagonal_iiT2_lPT3_llS7_llPT4_lli
    .private_segment_fixed_size: 0
    .sgpr_count:     36
    .sgpr_spill_count: 0
    .symbol:         _ZL23rocblas_trmm_rTx_kernelILi16ELb1E19rocblas_complex_numIdES1_KS1_S1_Ev13rocblas_fill_17rocblas_diagonal_iiT2_lPT3_llS7_llPT4_lli.kd
    .uniform_work_group_size: 1
    .uses_dynamic_stack: false
    .vgpr_count:     76
    .vgpr_spill_count: 0
    .wavefront_size: 64
  - .agpr_count:     0
    .args:
      - .offset:         0
        .size:           4
        .value_kind:     by_value
      - .offset:         4
        .size:           4
        .value_kind:     by_value
      - .offset:         8
        .size:           4
        .value_kind:     by_value
      - .offset:         12
        .size:           4
        .value_kind:     by_value
      - .address_space:  global
        .offset:         16
        .size:           8
        .value_kind:     global_buffer
      - .offset:         24
        .size:           8
        .value_kind:     by_value
      - .address_space:  global
        .offset:         32
        .size:           8
        .value_kind:     global_buffer
      - .offset:         40
        .size:           8
        .value_kind:     by_value
      - .offset:         48
        .size:           8
        .value_kind:     by_value
      - .address_space:  global
        .offset:         56
        .size:           8
        .value_kind:     global_buffer
      - .offset:         64
        .size:           8
        .value_kind:     by_value
      - .offset:         72
        .size:           8
        .value_kind:     by_value
      - .address_space:  global
        .offset:         80
        .size:           8
        .value_kind:     global_buffer
      - .offset:         88
        .size:           8
        .value_kind:     by_value
      - .offset:         96
        .size:           8
        .value_kind:     by_value
      - .offset:         104
        .size:           4
        .value_kind:     by_value
    .group_segment_fixed_size: 8192
    .kernarg_segment_align: 8
    .kernarg_segment_size: 108
    .language:       OpenCL C
    .language_version:
      - 2
      - 0
    .max_flat_workgroup_size: 1024
    .name:           _ZL23rocblas_trmm_lNx_kernelILi32EfPKfKS1_KPfEv13rocblas_fill_17rocblas_diagonal_iiT1_lPT2_llS9_llPT3_lli
    .private_segment_fixed_size: 0
    .sgpr_count:     35
    .sgpr_spill_count: 0
    .symbol:         _ZL23rocblas_trmm_lNx_kernelILi32EfPKfKS1_KPfEv13rocblas_fill_17rocblas_diagonal_iiT1_lPT2_llS9_llPT3_lli.kd
    .uniform_work_group_size: 1
    .uses_dynamic_stack: false
    .vgpr_count:     25
    .vgpr_spill_count: 0
    .wavefront_size: 64
  - .agpr_count:     0
    .args:
      - .offset:         0
        .size:           4
        .value_kind:     by_value
      - .offset:         4
        .size:           4
        .value_kind:     by_value
      - .offset:         8
        .size:           4
        .value_kind:     by_value
      - .offset:         12
        .size:           4
        .value_kind:     by_value
      - .offset:         16
        .size:           4
        .value_kind:     by_value
      - .offset:         24
        .size:           8
        .value_kind:     by_value
      - .address_space:  global
        .offset:         32
        .size:           8
        .value_kind:     global_buffer
      - .offset:         40
        .size:           8
        .value_kind:     by_value
      - .offset:         48
        .size:           8
        .value_kind:     by_value
      - .address_space:  global
        .offset:         56
        .size:           8
        .value_kind:     global_buffer
      - .offset:         64
        .size:           8
        .value_kind:     by_value
      - .offset:         72
        .size:           8
        .value_kind:     by_value
      - .address_space:  global
        .offset:         80
        .size:           8
        .value_kind:     global_buffer
      - .offset:         88
        .size:           8
        .value_kind:     by_value
      - .offset:         96
        .size:           8
        .value_kind:     by_value
      - .offset:         104
        .size:           4
        .value_kind:     by_value
    .group_segment_fixed_size: 8192
    .kernarg_segment_align: 8
    .kernarg_segment_size: 108
    .language:       OpenCL C
    .language_version:
      - 2
      - 0
    .max_flat_workgroup_size: 1024
    .name:           _ZL23rocblas_trmm_lNx_kernelILi32EffKPKfKPfEv13rocblas_fill_17rocblas_diagonal_iiT1_lPT2_llS9_llPT3_lli
    .private_segment_fixed_size: 0
    .sgpr_count:     35
    .sgpr_spill_count: 0
    .symbol:         _ZL23rocblas_trmm_lNx_kernelILi32EffKPKfKPfEv13rocblas_fill_17rocblas_diagonal_iiT1_lPT2_llS9_llPT3_lli.kd
    .uniform_work_group_size: 1
    .uses_dynamic_stack: false
    .vgpr_count:     25
    .vgpr_spill_count: 0
    .wavefront_size: 64
  - .agpr_count:     0
    .args:
      - .offset:         0
        .size:           4
        .value_kind:     by_value
      - .offset:         4
        .size:           4
        .value_kind:     by_value
      - .offset:         8
        .size:           4
        .value_kind:     by_value
      - .offset:         12
        .size:           4
        .value_kind:     by_value
      - .address_space:  global
        .offset:         16
        .size:           8
        .value_kind:     global_buffer
      - .offset:         24
        .size:           8
        .value_kind:     by_value
      - .address_space:  global
        .offset:         32
        .size:           8
        .value_kind:     global_buffer
      - .offset:         40
        .size:           8
        .value_kind:     by_value
      - .offset:         48
        .size:           8
        .value_kind:     by_value
      - .address_space:  global
        .offset:         56
        .size:           8
        .value_kind:     global_buffer
      - .offset:         64
        .size:           8
        .value_kind:     by_value
      - .offset:         72
        .size:           8
        .value_kind:     by_value
      - .address_space:  global
        .offset:         80
        .size:           8
        .value_kind:     global_buffer
      - .offset:         88
        .size:           8
        .value_kind:     by_value
      - .offset:         96
        .size:           8
        .value_kind:     by_value
      - .offset:         104
        .size:           4
        .value_kind:     by_value
    .group_segment_fixed_size: 8192
    .kernarg_segment_align: 8
    .kernarg_segment_size: 108
    .language:       OpenCL C
    .language_version:
      - 2
      - 0
    .max_flat_workgroup_size: 1024
    .name:           _ZL23rocblas_trmm_lTx_kernelILi32ELb0EfPKfKS1_KPfEv13rocblas_fill_17rocblas_diagonal_iiT2_lPT3_llS9_llPT4_lli
    .private_segment_fixed_size: 0
    .sgpr_count:     33
    .sgpr_spill_count: 0
    .symbol:         _ZL23rocblas_trmm_lTx_kernelILi32ELb0EfPKfKS1_KPfEv13rocblas_fill_17rocblas_diagonal_iiT2_lPT3_llS9_llPT4_lli.kd
    .uniform_work_group_size: 1
    .uses_dynamic_stack: false
    .vgpr_count:     25
    .vgpr_spill_count: 0
    .wavefront_size: 64
  - .agpr_count:     0
    .args:
      - .offset:         0
        .size:           4
        .value_kind:     by_value
      - .offset:         4
        .size:           4
        .value_kind:     by_value
      - .offset:         8
        .size:           4
        .value_kind:     by_value
      - .offset:         12
        .size:           4
        .value_kind:     by_value
      - .offset:         16
        .size:           4
        .value_kind:     by_value
      - .offset:         24
        .size:           8
        .value_kind:     by_value
      - .address_space:  global
        .offset:         32
        .size:           8
        .value_kind:     global_buffer
      - .offset:         40
        .size:           8
        .value_kind:     by_value
      - .offset:         48
        .size:           8
        .value_kind:     by_value
      - .address_space:  global
        .offset:         56
        .size:           8
        .value_kind:     global_buffer
      - .offset:         64
        .size:           8
        .value_kind:     by_value
      - .offset:         72
        .size:           8
        .value_kind:     by_value
      - .address_space:  global
        .offset:         80
        .size:           8
        .value_kind:     global_buffer
      - .offset:         88
        .size:           8
        .value_kind:     by_value
      - .offset:         96
        .size:           8
        .value_kind:     by_value
      - .offset:         104
        .size:           4
        .value_kind:     by_value
    .group_segment_fixed_size: 8192
    .kernarg_segment_align: 8
    .kernarg_segment_size: 108
    .language:       OpenCL C
    .language_version:
      - 2
      - 0
    .max_flat_workgroup_size: 1024
    .name:           _ZL23rocblas_trmm_lTx_kernelILi32ELb0EffKPKfKPfEv13rocblas_fill_17rocblas_diagonal_iiT2_lPT3_llS9_llPT4_lli
    .private_segment_fixed_size: 0
    .sgpr_count:     35
    .sgpr_spill_count: 0
    .symbol:         _ZL23rocblas_trmm_lTx_kernelILi32ELb0EffKPKfKPfEv13rocblas_fill_17rocblas_diagonal_iiT2_lPT3_llS9_llPT4_lli.kd
    .uniform_work_group_size: 1
    .uses_dynamic_stack: false
    .vgpr_count:     25
    .vgpr_spill_count: 0
    .wavefront_size: 64
  - .agpr_count:     0
    .args:
      - .offset:         0
        .size:           4
        .value_kind:     by_value
      - .offset:         4
        .size:           4
        .value_kind:     by_value
      - .offset:         8
        .size:           4
        .value_kind:     by_value
      - .offset:         12
        .size:           4
        .value_kind:     by_value
      - .address_space:  global
        .offset:         16
        .size:           8
        .value_kind:     global_buffer
      - .offset:         24
        .size:           8
        .value_kind:     by_value
      - .address_space:  global
        .offset:         32
        .size:           8
        .value_kind:     global_buffer
      - .offset:         40
        .size:           8
        .value_kind:     by_value
      - .offset:         48
        .size:           8
        .value_kind:     by_value
      - .address_space:  global
        .offset:         56
        .size:           8
        .value_kind:     global_buffer
      - .offset:         64
        .size:           8
        .value_kind:     by_value
      - .offset:         72
        .size:           8
        .value_kind:     by_value
      - .address_space:  global
        .offset:         80
        .size:           8
        .value_kind:     global_buffer
      - .offset:         88
        .size:           8
        .value_kind:     by_value
      - .offset:         96
        .size:           8
        .value_kind:     by_value
      - .offset:         104
        .size:           4
        .value_kind:     by_value
    .group_segment_fixed_size: 8192
    .kernarg_segment_align: 8
    .kernarg_segment_size: 108
    .language:       OpenCL C
    .language_version:
      - 2
      - 0
    .max_flat_workgroup_size: 1024
    .name:           _ZL23rocblas_trmm_lTx_kernelILi32ELb1EfPKfKS1_KPfEv13rocblas_fill_17rocblas_diagonal_iiT2_lPT3_llS9_llPT4_lli
    .private_segment_fixed_size: 0
    .sgpr_count:     33
    .sgpr_spill_count: 0
    .symbol:         _ZL23rocblas_trmm_lTx_kernelILi32ELb1EfPKfKS1_KPfEv13rocblas_fill_17rocblas_diagonal_iiT2_lPT3_llS9_llPT4_lli.kd
    .uniform_work_group_size: 1
    .uses_dynamic_stack: false
    .vgpr_count:     25
    .vgpr_spill_count: 0
    .wavefront_size: 64
  - .agpr_count:     0
    .args:
      - .offset:         0
        .size:           4
        .value_kind:     by_value
      - .offset:         4
        .size:           4
        .value_kind:     by_value
      - .offset:         8
        .size:           4
        .value_kind:     by_value
      - .offset:         12
        .size:           4
        .value_kind:     by_value
      - .offset:         16
        .size:           4
        .value_kind:     by_value
      - .offset:         24
        .size:           8
        .value_kind:     by_value
      - .address_space:  global
        .offset:         32
        .size:           8
        .value_kind:     global_buffer
      - .offset:         40
        .size:           8
        .value_kind:     by_value
      - .offset:         48
        .size:           8
        .value_kind:     by_value
      - .address_space:  global
        .offset:         56
        .size:           8
        .value_kind:     global_buffer
      - .offset:         64
        .size:           8
        .value_kind:     by_value
      - .offset:         72
        .size:           8
        .value_kind:     by_value
      - .address_space:  global
        .offset:         80
        .size:           8
        .value_kind:     global_buffer
      - .offset:         88
        .size:           8
        .value_kind:     by_value
      - .offset:         96
        .size:           8
        .value_kind:     by_value
      - .offset:         104
        .size:           4
        .value_kind:     by_value
    .group_segment_fixed_size: 8192
    .kernarg_segment_align: 8
    .kernarg_segment_size: 108
    .language:       OpenCL C
    .language_version:
      - 2
      - 0
    .max_flat_workgroup_size: 1024
    .name:           _ZL23rocblas_trmm_lTx_kernelILi32ELb1EffKPKfKPfEv13rocblas_fill_17rocblas_diagonal_iiT2_lPT3_llS9_llPT4_lli
    .private_segment_fixed_size: 0
    .sgpr_count:     35
    .sgpr_spill_count: 0
    .symbol:         _ZL23rocblas_trmm_lTx_kernelILi32ELb1EffKPKfKPfEv13rocblas_fill_17rocblas_diagonal_iiT2_lPT3_llS9_llPT4_lli.kd
    .uniform_work_group_size: 1
    .uses_dynamic_stack: false
    .vgpr_count:     25
    .vgpr_spill_count: 0
    .wavefront_size: 64
  - .agpr_count:     0
    .args:
      - .offset:         0
        .size:           4
        .value_kind:     by_value
      - .offset:         4
        .size:           4
        .value_kind:     by_value
      - .offset:         8
        .size:           4
        .value_kind:     by_value
      - .offset:         12
        .size:           4
        .value_kind:     by_value
      - .address_space:  global
        .offset:         16
        .size:           8
        .value_kind:     global_buffer
      - .offset:         24
        .size:           8
        .value_kind:     by_value
      - .address_space:  global
        .offset:         32
        .size:           8
        .value_kind:     global_buffer
      - .offset:         40
        .size:           8
        .value_kind:     by_value
      - .offset:         48
        .size:           8
        .value_kind:     by_value
      - .address_space:  global
        .offset:         56
        .size:           8
        .value_kind:     global_buffer
      - .offset:         64
        .size:           8
        .value_kind:     by_value
      - .offset:         72
        .size:           8
        .value_kind:     by_value
      - .address_space:  global
        .offset:         80
        .size:           8
        .value_kind:     global_buffer
      - .offset:         88
        .size:           8
        .value_kind:     by_value
      - .offset:         96
        .size:           8
        .value_kind:     by_value
      - .offset:         104
        .size:           4
        .value_kind:     by_value
    .group_segment_fixed_size: 8192
    .kernarg_segment_align: 8
    .kernarg_segment_size: 108
    .language:       OpenCL C
    .language_version:
      - 2
      - 0
    .max_flat_workgroup_size: 1024
    .name:           _ZL23rocblas_trmm_rNx_kernelILi32EfPKfKS1_KPfEv13rocblas_fill_17rocblas_diagonal_iiT1_lPT2_llS9_llPT3_lli
    .private_segment_fixed_size: 0
    .sgpr_count:     35
    .sgpr_spill_count: 0
    .symbol:         _ZL23rocblas_trmm_rNx_kernelILi32EfPKfKS1_KPfEv13rocblas_fill_17rocblas_diagonal_iiT1_lPT2_llS9_llPT3_lli.kd
    .uniform_work_group_size: 1
    .uses_dynamic_stack: false
    .vgpr_count:     26
    .vgpr_spill_count: 0
    .wavefront_size: 64
  - .agpr_count:     0
    .args:
      - .offset:         0
        .size:           4
        .value_kind:     by_value
      - .offset:         4
        .size:           4
        .value_kind:     by_value
      - .offset:         8
        .size:           4
        .value_kind:     by_value
      - .offset:         12
        .size:           4
        .value_kind:     by_value
      - .offset:         16
        .size:           4
        .value_kind:     by_value
      - .offset:         24
        .size:           8
        .value_kind:     by_value
      - .address_space:  global
        .offset:         32
        .size:           8
        .value_kind:     global_buffer
      - .offset:         40
        .size:           8
        .value_kind:     by_value
      - .offset:         48
        .size:           8
        .value_kind:     by_value
      - .address_space:  global
        .offset:         56
        .size:           8
        .value_kind:     global_buffer
      - .offset:         64
        .size:           8
        .value_kind:     by_value
      - .offset:         72
        .size:           8
        .value_kind:     by_value
      - .address_space:  global
        .offset:         80
        .size:           8
        .value_kind:     global_buffer
      - .offset:         88
        .size:           8
        .value_kind:     by_value
      - .offset:         96
        .size:           8
        .value_kind:     by_value
      - .offset:         104
        .size:           4
        .value_kind:     by_value
    .group_segment_fixed_size: 8192
    .kernarg_segment_align: 8
    .kernarg_segment_size: 108
    .language:       OpenCL C
    .language_version:
      - 2
      - 0
    .max_flat_workgroup_size: 1024
    .name:           _ZL23rocblas_trmm_rNx_kernelILi32EffKPKfKPfEv13rocblas_fill_17rocblas_diagonal_iiT1_lPT2_llS9_llPT3_lli
    .private_segment_fixed_size: 0
    .sgpr_count:     35
    .sgpr_spill_count: 0
    .symbol:         _ZL23rocblas_trmm_rNx_kernelILi32EffKPKfKPfEv13rocblas_fill_17rocblas_diagonal_iiT1_lPT2_llS9_llPT3_lli.kd
    .uniform_work_group_size: 1
    .uses_dynamic_stack: false
    .vgpr_count:     26
    .vgpr_spill_count: 0
    .wavefront_size: 64
  - .agpr_count:     0
    .args:
      - .offset:         0
        .size:           4
        .value_kind:     by_value
      - .offset:         4
        .size:           4
        .value_kind:     by_value
      - .offset:         8
        .size:           4
        .value_kind:     by_value
      - .offset:         12
        .size:           4
        .value_kind:     by_value
      - .address_space:  global
        .offset:         16
        .size:           8
        .value_kind:     global_buffer
      - .offset:         24
        .size:           8
        .value_kind:     by_value
      - .address_space:  global
        .offset:         32
        .size:           8
        .value_kind:     global_buffer
      - .offset:         40
        .size:           8
        .value_kind:     by_value
      - .offset:         48
        .size:           8
        .value_kind:     by_value
      - .address_space:  global
        .offset:         56
        .size:           8
        .value_kind:     global_buffer
      - .offset:         64
        .size:           8
        .value_kind:     by_value
      - .offset:         72
        .size:           8
        .value_kind:     by_value
      - .address_space:  global
        .offset:         80
        .size:           8
        .value_kind:     global_buffer
      - .offset:         88
        .size:           8
        .value_kind:     by_value
      - .offset:         96
        .size:           8
        .value_kind:     by_value
      - .offset:         104
        .size:           4
        .value_kind:     by_value
    .group_segment_fixed_size: 8192
    .kernarg_segment_align: 8
    .kernarg_segment_size: 108
    .language:       OpenCL C
    .language_version:
      - 2
      - 0
    .max_flat_workgroup_size: 1024
    .name:           _ZL23rocblas_trmm_rTx_kernelILi32ELb0EfPKfKS1_KPfEv13rocblas_fill_17rocblas_diagonal_iiT2_lPT3_llS9_llPT4_lli
    .private_segment_fixed_size: 0
    .sgpr_count:     35
    .sgpr_spill_count: 0
    .symbol:         _ZL23rocblas_trmm_rTx_kernelILi32ELb0EfPKfKS1_KPfEv13rocblas_fill_17rocblas_diagonal_iiT2_lPT3_llS9_llPT4_lli.kd
    .uniform_work_group_size: 1
    .uses_dynamic_stack: false
    .vgpr_count:     18
    .vgpr_spill_count: 0
    .wavefront_size: 64
  - .agpr_count:     0
    .args:
      - .offset:         0
        .size:           4
        .value_kind:     by_value
      - .offset:         4
        .size:           4
        .value_kind:     by_value
      - .offset:         8
        .size:           4
        .value_kind:     by_value
      - .offset:         12
        .size:           4
        .value_kind:     by_value
      - .offset:         16
        .size:           4
        .value_kind:     by_value
      - .offset:         24
        .size:           8
        .value_kind:     by_value
      - .address_space:  global
        .offset:         32
        .size:           8
        .value_kind:     global_buffer
      - .offset:         40
        .size:           8
        .value_kind:     by_value
      - .offset:         48
        .size:           8
        .value_kind:     by_value
      - .address_space:  global
        .offset:         56
        .size:           8
        .value_kind:     global_buffer
      - .offset:         64
        .size:           8
        .value_kind:     by_value
      - .offset:         72
        .size:           8
        .value_kind:     by_value
      - .address_space:  global
        .offset:         80
        .size:           8
        .value_kind:     global_buffer
      - .offset:         88
        .size:           8
        .value_kind:     by_value
      - .offset:         96
        .size:           8
        .value_kind:     by_value
      - .offset:         104
        .size:           4
        .value_kind:     by_value
    .group_segment_fixed_size: 8192
    .kernarg_segment_align: 8
    .kernarg_segment_size: 108
    .language:       OpenCL C
    .language_version:
      - 2
      - 0
    .max_flat_workgroup_size: 1024
    .name:           _ZL23rocblas_trmm_rTx_kernelILi32ELb0EffKPKfKPfEv13rocblas_fill_17rocblas_diagonal_iiT2_lPT3_llS9_llPT4_lli
    .private_segment_fixed_size: 0
    .sgpr_count:     35
    .sgpr_spill_count: 0
    .symbol:         _ZL23rocblas_trmm_rTx_kernelILi32ELb0EffKPKfKPfEv13rocblas_fill_17rocblas_diagonal_iiT2_lPT3_llS9_llPT4_lli.kd
    .uniform_work_group_size: 1
    .uses_dynamic_stack: false
    .vgpr_count:     18
    .vgpr_spill_count: 0
    .wavefront_size: 64
  - .agpr_count:     0
    .args:
      - .offset:         0
        .size:           4
        .value_kind:     by_value
      - .offset:         4
        .size:           4
        .value_kind:     by_value
      - .offset:         8
        .size:           4
        .value_kind:     by_value
      - .offset:         12
        .size:           4
        .value_kind:     by_value
      - .address_space:  global
        .offset:         16
        .size:           8
        .value_kind:     global_buffer
      - .offset:         24
        .size:           8
        .value_kind:     by_value
      - .address_space:  global
        .offset:         32
        .size:           8
        .value_kind:     global_buffer
      - .offset:         40
        .size:           8
        .value_kind:     by_value
      - .offset:         48
        .size:           8
        .value_kind:     by_value
      - .address_space:  global
        .offset:         56
        .size:           8
        .value_kind:     global_buffer
      - .offset:         64
        .size:           8
        .value_kind:     by_value
      - .offset:         72
        .size:           8
        .value_kind:     by_value
      - .address_space:  global
        .offset:         80
        .size:           8
        .value_kind:     global_buffer
      - .offset:         88
        .size:           8
        .value_kind:     by_value
      - .offset:         96
        .size:           8
        .value_kind:     by_value
      - .offset:         104
        .size:           4
        .value_kind:     by_value
    .group_segment_fixed_size: 8192
    .kernarg_segment_align: 8
    .kernarg_segment_size: 108
    .language:       OpenCL C
    .language_version:
      - 2
      - 0
    .max_flat_workgroup_size: 1024
    .name:           _ZL23rocblas_trmm_rTx_kernelILi32ELb1EfPKfKS1_KPfEv13rocblas_fill_17rocblas_diagonal_iiT2_lPT3_llS9_llPT4_lli
    .private_segment_fixed_size: 0
    .sgpr_count:     35
    .sgpr_spill_count: 0
    .symbol:         _ZL23rocblas_trmm_rTx_kernelILi32ELb1EfPKfKS1_KPfEv13rocblas_fill_17rocblas_diagonal_iiT2_lPT3_llS9_llPT4_lli.kd
    .uniform_work_group_size: 1
    .uses_dynamic_stack: false
    .vgpr_count:     18
    .vgpr_spill_count: 0
    .wavefront_size: 64
  - .agpr_count:     0
    .args:
      - .offset:         0
        .size:           4
        .value_kind:     by_value
      - .offset:         4
        .size:           4
        .value_kind:     by_value
      - .offset:         8
        .size:           4
        .value_kind:     by_value
      - .offset:         12
        .size:           4
        .value_kind:     by_value
      - .offset:         16
        .size:           4
        .value_kind:     by_value
      - .offset:         24
        .size:           8
        .value_kind:     by_value
      - .address_space:  global
        .offset:         32
        .size:           8
        .value_kind:     global_buffer
      - .offset:         40
        .size:           8
        .value_kind:     by_value
      - .offset:         48
        .size:           8
        .value_kind:     by_value
      - .address_space:  global
        .offset:         56
        .size:           8
        .value_kind:     global_buffer
      - .offset:         64
        .size:           8
        .value_kind:     by_value
      - .offset:         72
        .size:           8
        .value_kind:     by_value
      - .address_space:  global
        .offset:         80
        .size:           8
        .value_kind:     global_buffer
      - .offset:         88
        .size:           8
        .value_kind:     by_value
      - .offset:         96
        .size:           8
        .value_kind:     by_value
      - .offset:         104
        .size:           4
        .value_kind:     by_value
    .group_segment_fixed_size: 8192
    .kernarg_segment_align: 8
    .kernarg_segment_size: 108
    .language:       OpenCL C
    .language_version:
      - 2
      - 0
    .max_flat_workgroup_size: 1024
    .name:           _ZL23rocblas_trmm_rTx_kernelILi32ELb1EffKPKfKPfEv13rocblas_fill_17rocblas_diagonal_iiT2_lPT3_llS9_llPT4_lli
    .private_segment_fixed_size: 0
    .sgpr_count:     35
    .sgpr_spill_count: 0
    .symbol:         _ZL23rocblas_trmm_rTx_kernelILi32ELb1EffKPKfKPfEv13rocblas_fill_17rocblas_diagonal_iiT2_lPT3_llS9_llPT4_lli.kd
    .uniform_work_group_size: 1
    .uses_dynamic_stack: false
    .vgpr_count:     18
    .vgpr_spill_count: 0
    .wavefront_size: 64
  - .agpr_count:     0
    .args:
      - .offset:         0
        .size:           4
        .value_kind:     by_value
      - .offset:         4
        .size:           4
        .value_kind:     by_value
      - .offset:         8
        .size:           4
        .value_kind:     by_value
      - .offset:         12
        .size:           4
        .value_kind:     by_value
      - .address_space:  global
        .offset:         16
        .size:           8
        .value_kind:     global_buffer
      - .offset:         24
        .size:           8
        .value_kind:     by_value
      - .address_space:  global
        .offset:         32
        .size:           8
        .value_kind:     global_buffer
      - .offset:         40
        .size:           8
        .value_kind:     by_value
      - .offset:         48
        .size:           8
        .value_kind:     by_value
      - .address_space:  global
        .offset:         56
        .size:           8
        .value_kind:     global_buffer
      - .offset:         64
        .size:           8
        .value_kind:     by_value
      - .offset:         72
        .size:           8
        .value_kind:     by_value
      - .address_space:  global
        .offset:         80
        .size:           8
        .value_kind:     global_buffer
      - .offset:         88
        .size:           8
        .value_kind:     by_value
      - .offset:         96
        .size:           8
        .value_kind:     by_value
      - .offset:         104
        .size:           4
        .value_kind:     by_value
    .group_segment_fixed_size: 16384
    .kernarg_segment_align: 8
    .kernarg_segment_size: 108
    .language:       OpenCL C
    .language_version:
      - 2
      - 0
    .max_flat_workgroup_size: 1024
    .name:           _ZL23rocblas_trmm_lNx_kernelILi32EdPKdKS1_KPdEv13rocblas_fill_17rocblas_diagonal_iiT1_lPT2_llS9_llPT3_lli
    .private_segment_fixed_size: 0
    .sgpr_count:     36
    .sgpr_spill_count: 0
    .symbol:         _ZL23rocblas_trmm_lNx_kernelILi32EdPKdKS1_KPdEv13rocblas_fill_17rocblas_diagonal_iiT1_lPT2_llS9_llPT3_lli.kd
    .uniform_work_group_size: 1
    .uses_dynamic_stack: false
    .vgpr_count:     33
    .vgpr_spill_count: 0
    .wavefront_size: 64
  - .agpr_count:     0
    .args:
      - .offset:         0
        .size:           4
        .value_kind:     by_value
      - .offset:         4
        .size:           4
        .value_kind:     by_value
      - .offset:         8
        .size:           4
        .value_kind:     by_value
      - .offset:         12
        .size:           4
        .value_kind:     by_value
      - .offset:         16
        .size:           8
        .value_kind:     by_value
      - .offset:         24
        .size:           8
        .value_kind:     by_value
      - .address_space:  global
        .offset:         32
        .size:           8
        .value_kind:     global_buffer
      - .offset:         40
        .size:           8
        .value_kind:     by_value
      - .offset:         48
        .size:           8
        .value_kind:     by_value
      - .address_space:  global
        .offset:         56
        .size:           8
        .value_kind:     global_buffer
      - .offset:         64
        .size:           8
        .value_kind:     by_value
      - .offset:         72
        .size:           8
        .value_kind:     by_value
      - .address_space:  global
        .offset:         80
        .size:           8
        .value_kind:     global_buffer
      - .offset:         88
        .size:           8
        .value_kind:     by_value
      - .offset:         96
        .size:           8
        .value_kind:     by_value
      - .offset:         104
        .size:           4
        .value_kind:     by_value
    .group_segment_fixed_size: 16384
    .kernarg_segment_align: 8
    .kernarg_segment_size: 108
    .language:       OpenCL C
    .language_version:
      - 2
      - 0
    .max_flat_workgroup_size: 1024
    .name:           _ZL23rocblas_trmm_lNx_kernelILi32EddKPKdKPdEv13rocblas_fill_17rocblas_diagonal_iiT1_lPT2_llS9_llPT3_lli
    .private_segment_fixed_size: 0
    .sgpr_count:     36
    .sgpr_spill_count: 0
    .symbol:         _ZL23rocblas_trmm_lNx_kernelILi32EddKPKdKPdEv13rocblas_fill_17rocblas_diagonal_iiT1_lPT2_llS9_llPT3_lli.kd
    .uniform_work_group_size: 1
    .uses_dynamic_stack: false
    .vgpr_count:     33
    .vgpr_spill_count: 0
    .wavefront_size: 64
  - .agpr_count:     0
    .args:
      - .offset:         0
        .size:           4
        .value_kind:     by_value
      - .offset:         4
        .size:           4
        .value_kind:     by_value
      - .offset:         8
        .size:           4
        .value_kind:     by_value
      - .offset:         12
        .size:           4
        .value_kind:     by_value
      - .address_space:  global
        .offset:         16
        .size:           8
        .value_kind:     global_buffer
      - .offset:         24
        .size:           8
        .value_kind:     by_value
      - .address_space:  global
        .offset:         32
        .size:           8
        .value_kind:     global_buffer
      - .offset:         40
        .size:           8
        .value_kind:     by_value
      - .offset:         48
        .size:           8
        .value_kind:     by_value
      - .address_space:  global
        .offset:         56
        .size:           8
        .value_kind:     global_buffer
      - .offset:         64
        .size:           8
        .value_kind:     by_value
      - .offset:         72
        .size:           8
        .value_kind:     by_value
      - .address_space:  global
        .offset:         80
        .size:           8
        .value_kind:     global_buffer
      - .offset:         88
        .size:           8
        .value_kind:     by_value
      - .offset:         96
        .size:           8
        .value_kind:     by_value
      - .offset:         104
        .size:           4
        .value_kind:     by_value
    .group_segment_fixed_size: 16384
    .kernarg_segment_align: 8
    .kernarg_segment_size: 108
    .language:       OpenCL C
    .language_version:
      - 2
      - 0
    .max_flat_workgroup_size: 1024
    .name:           _ZL23rocblas_trmm_lTx_kernelILi32ELb0EdPKdKS1_KPdEv13rocblas_fill_17rocblas_diagonal_iiT2_lPT3_llS9_llPT4_lli
    .private_segment_fixed_size: 0
    .sgpr_count:     36
    .sgpr_spill_count: 0
    .symbol:         _ZL23rocblas_trmm_lTx_kernelILi32ELb0EdPKdKS1_KPdEv13rocblas_fill_17rocblas_diagonal_iiT2_lPT3_llS9_llPT4_lli.kd
    .uniform_work_group_size: 1
    .uses_dynamic_stack: false
    .vgpr_count:     33
    .vgpr_spill_count: 0
    .wavefront_size: 64
  - .agpr_count:     0
    .args:
      - .offset:         0
        .size:           4
        .value_kind:     by_value
      - .offset:         4
        .size:           4
        .value_kind:     by_value
      - .offset:         8
        .size:           4
        .value_kind:     by_value
      - .offset:         12
        .size:           4
        .value_kind:     by_value
      - .offset:         16
        .size:           8
        .value_kind:     by_value
      - .offset:         24
        .size:           8
        .value_kind:     by_value
      - .address_space:  global
        .offset:         32
        .size:           8
        .value_kind:     global_buffer
      - .offset:         40
        .size:           8
        .value_kind:     by_value
      - .offset:         48
        .size:           8
        .value_kind:     by_value
      - .address_space:  global
        .offset:         56
        .size:           8
        .value_kind:     global_buffer
      - .offset:         64
        .size:           8
        .value_kind:     by_value
      - .offset:         72
        .size:           8
        .value_kind:     by_value
      - .address_space:  global
        .offset:         80
        .size:           8
        .value_kind:     global_buffer
      - .offset:         88
        .size:           8
        .value_kind:     by_value
      - .offset:         96
        .size:           8
        .value_kind:     by_value
      - .offset:         104
        .size:           4
        .value_kind:     by_value
    .group_segment_fixed_size: 16384
    .kernarg_segment_align: 8
    .kernarg_segment_size: 108
    .language:       OpenCL C
    .language_version:
      - 2
      - 0
    .max_flat_workgroup_size: 1024
    .name:           _ZL23rocblas_trmm_lTx_kernelILi32ELb0EddKPKdKPdEv13rocblas_fill_17rocblas_diagonal_iiT2_lPT3_llS9_llPT4_lli
    .private_segment_fixed_size: 0
    .sgpr_count:     36
    .sgpr_spill_count: 0
    .symbol:         _ZL23rocblas_trmm_lTx_kernelILi32ELb0EddKPKdKPdEv13rocblas_fill_17rocblas_diagonal_iiT2_lPT3_llS9_llPT4_lli.kd
    .uniform_work_group_size: 1
    .uses_dynamic_stack: false
    .vgpr_count:     33
    .vgpr_spill_count: 0
    .wavefront_size: 64
  - .agpr_count:     0
    .args:
      - .offset:         0
        .size:           4
        .value_kind:     by_value
      - .offset:         4
        .size:           4
        .value_kind:     by_value
      - .offset:         8
        .size:           4
        .value_kind:     by_value
      - .offset:         12
        .size:           4
        .value_kind:     by_value
      - .address_space:  global
        .offset:         16
        .size:           8
        .value_kind:     global_buffer
      - .offset:         24
        .size:           8
        .value_kind:     by_value
      - .address_space:  global
        .offset:         32
        .size:           8
        .value_kind:     global_buffer
      - .offset:         40
        .size:           8
        .value_kind:     by_value
      - .offset:         48
        .size:           8
        .value_kind:     by_value
      - .address_space:  global
        .offset:         56
        .size:           8
        .value_kind:     global_buffer
      - .offset:         64
        .size:           8
        .value_kind:     by_value
      - .offset:         72
        .size:           8
        .value_kind:     by_value
      - .address_space:  global
        .offset:         80
        .size:           8
        .value_kind:     global_buffer
      - .offset:         88
        .size:           8
        .value_kind:     by_value
      - .offset:         96
        .size:           8
        .value_kind:     by_value
      - .offset:         104
        .size:           4
        .value_kind:     by_value
    .group_segment_fixed_size: 16384
    .kernarg_segment_align: 8
    .kernarg_segment_size: 108
    .language:       OpenCL C
    .language_version:
      - 2
      - 0
    .max_flat_workgroup_size: 1024
    .name:           _ZL23rocblas_trmm_lTx_kernelILi32ELb1EdPKdKS1_KPdEv13rocblas_fill_17rocblas_diagonal_iiT2_lPT3_llS9_llPT4_lli
    .private_segment_fixed_size: 0
    .sgpr_count:     36
    .sgpr_spill_count: 0
    .symbol:         _ZL23rocblas_trmm_lTx_kernelILi32ELb1EdPKdKS1_KPdEv13rocblas_fill_17rocblas_diagonal_iiT2_lPT3_llS9_llPT4_lli.kd
    .uniform_work_group_size: 1
    .uses_dynamic_stack: false
    .vgpr_count:     33
    .vgpr_spill_count: 0
    .wavefront_size: 64
  - .agpr_count:     0
    .args:
      - .offset:         0
        .size:           4
        .value_kind:     by_value
      - .offset:         4
        .size:           4
        .value_kind:     by_value
      - .offset:         8
        .size:           4
        .value_kind:     by_value
      - .offset:         12
        .size:           4
        .value_kind:     by_value
      - .offset:         16
        .size:           8
        .value_kind:     by_value
      - .offset:         24
        .size:           8
        .value_kind:     by_value
      - .address_space:  global
        .offset:         32
        .size:           8
        .value_kind:     global_buffer
      - .offset:         40
        .size:           8
        .value_kind:     by_value
      - .offset:         48
        .size:           8
        .value_kind:     by_value
      - .address_space:  global
        .offset:         56
        .size:           8
        .value_kind:     global_buffer
      - .offset:         64
        .size:           8
        .value_kind:     by_value
      - .offset:         72
        .size:           8
        .value_kind:     by_value
      - .address_space:  global
        .offset:         80
        .size:           8
        .value_kind:     global_buffer
      - .offset:         88
        .size:           8
        .value_kind:     by_value
      - .offset:         96
        .size:           8
        .value_kind:     by_value
      - .offset:         104
        .size:           4
        .value_kind:     by_value
    .group_segment_fixed_size: 16384
    .kernarg_segment_align: 8
    .kernarg_segment_size: 108
    .language:       OpenCL C
    .language_version:
      - 2
      - 0
    .max_flat_workgroup_size: 1024
    .name:           _ZL23rocblas_trmm_lTx_kernelILi32ELb1EddKPKdKPdEv13rocblas_fill_17rocblas_diagonal_iiT2_lPT3_llS9_llPT4_lli
    .private_segment_fixed_size: 0
    .sgpr_count:     36
    .sgpr_spill_count: 0
    .symbol:         _ZL23rocblas_trmm_lTx_kernelILi32ELb1EddKPKdKPdEv13rocblas_fill_17rocblas_diagonal_iiT2_lPT3_llS9_llPT4_lli.kd
    .uniform_work_group_size: 1
    .uses_dynamic_stack: false
    .vgpr_count:     33
    .vgpr_spill_count: 0
    .wavefront_size: 64
  - .agpr_count:     0
    .args:
      - .offset:         0
        .size:           4
        .value_kind:     by_value
      - .offset:         4
        .size:           4
        .value_kind:     by_value
      - .offset:         8
        .size:           4
        .value_kind:     by_value
      - .offset:         12
        .size:           4
        .value_kind:     by_value
      - .address_space:  global
        .offset:         16
        .size:           8
        .value_kind:     global_buffer
      - .offset:         24
        .size:           8
        .value_kind:     by_value
      - .address_space:  global
        .offset:         32
        .size:           8
        .value_kind:     global_buffer
      - .offset:         40
        .size:           8
        .value_kind:     by_value
      - .offset:         48
        .size:           8
        .value_kind:     by_value
      - .address_space:  global
        .offset:         56
        .size:           8
        .value_kind:     global_buffer
      - .offset:         64
        .size:           8
        .value_kind:     by_value
      - .offset:         72
        .size:           8
        .value_kind:     by_value
      - .address_space:  global
        .offset:         80
        .size:           8
        .value_kind:     global_buffer
      - .offset:         88
        .size:           8
        .value_kind:     by_value
      - .offset:         96
        .size:           8
        .value_kind:     by_value
      - .offset:         104
        .size:           4
        .value_kind:     by_value
    .group_segment_fixed_size: 16384
    .kernarg_segment_align: 8
    .kernarg_segment_size: 108
    .language:       OpenCL C
    .language_version:
      - 2
      - 0
    .max_flat_workgroup_size: 1024
    .name:           _ZL23rocblas_trmm_rNx_kernelILi32EdPKdKS1_KPdEv13rocblas_fill_17rocblas_diagonal_iiT1_lPT2_llS9_llPT3_lli
    .private_segment_fixed_size: 0
    .sgpr_count:     36
    .sgpr_spill_count: 0
    .symbol:         _ZL23rocblas_trmm_rNx_kernelILi32EdPKdKS1_KPdEv13rocblas_fill_17rocblas_diagonal_iiT1_lPT2_llS9_llPT3_lli.kd
    .uniform_work_group_size: 1
    .uses_dynamic_stack: false
    .vgpr_count:     34
    .vgpr_spill_count: 0
    .wavefront_size: 64
  - .agpr_count:     0
    .args:
      - .offset:         0
        .size:           4
        .value_kind:     by_value
      - .offset:         4
        .size:           4
        .value_kind:     by_value
      - .offset:         8
        .size:           4
        .value_kind:     by_value
      - .offset:         12
        .size:           4
        .value_kind:     by_value
      - .offset:         16
        .size:           8
        .value_kind:     by_value
      - .offset:         24
        .size:           8
        .value_kind:     by_value
      - .address_space:  global
        .offset:         32
        .size:           8
        .value_kind:     global_buffer
      - .offset:         40
        .size:           8
        .value_kind:     by_value
      - .offset:         48
        .size:           8
        .value_kind:     by_value
      - .address_space:  global
        .offset:         56
        .size:           8
        .value_kind:     global_buffer
      - .offset:         64
        .size:           8
        .value_kind:     by_value
      - .offset:         72
        .size:           8
        .value_kind:     by_value
      - .address_space:  global
        .offset:         80
        .size:           8
        .value_kind:     global_buffer
      - .offset:         88
        .size:           8
        .value_kind:     by_value
      - .offset:         96
        .size:           8
        .value_kind:     by_value
      - .offset:         104
        .size:           4
        .value_kind:     by_value
    .group_segment_fixed_size: 16384
    .kernarg_segment_align: 8
    .kernarg_segment_size: 108
    .language:       OpenCL C
    .language_version:
      - 2
      - 0
    .max_flat_workgroup_size: 1024
    .name:           _ZL23rocblas_trmm_rNx_kernelILi32EddKPKdKPdEv13rocblas_fill_17rocblas_diagonal_iiT1_lPT2_llS9_llPT3_lli
    .private_segment_fixed_size: 0
    .sgpr_count:     36
    .sgpr_spill_count: 0
    .symbol:         _ZL23rocblas_trmm_rNx_kernelILi32EddKPKdKPdEv13rocblas_fill_17rocblas_diagonal_iiT1_lPT2_llS9_llPT3_lli.kd
    .uniform_work_group_size: 1
    .uses_dynamic_stack: false
    .vgpr_count:     34
    .vgpr_spill_count: 0
    .wavefront_size: 64
  - .agpr_count:     0
    .args:
      - .offset:         0
        .size:           4
        .value_kind:     by_value
      - .offset:         4
        .size:           4
        .value_kind:     by_value
      - .offset:         8
        .size:           4
        .value_kind:     by_value
      - .offset:         12
        .size:           4
        .value_kind:     by_value
      - .address_space:  global
        .offset:         16
        .size:           8
        .value_kind:     global_buffer
      - .offset:         24
        .size:           8
        .value_kind:     by_value
      - .address_space:  global
        .offset:         32
        .size:           8
        .value_kind:     global_buffer
      - .offset:         40
        .size:           8
        .value_kind:     by_value
      - .offset:         48
        .size:           8
        .value_kind:     by_value
      - .address_space:  global
        .offset:         56
        .size:           8
        .value_kind:     global_buffer
      - .offset:         64
        .size:           8
        .value_kind:     by_value
      - .offset:         72
        .size:           8
        .value_kind:     by_value
      - .address_space:  global
        .offset:         80
        .size:           8
        .value_kind:     global_buffer
      - .offset:         88
        .size:           8
        .value_kind:     by_value
      - .offset:         96
        .size:           8
        .value_kind:     by_value
      - .offset:         104
        .size:           4
        .value_kind:     by_value
    .group_segment_fixed_size: 16384
    .kernarg_segment_align: 8
    .kernarg_segment_size: 108
    .language:       OpenCL C
    .language_version:
      - 2
      - 0
    .max_flat_workgroup_size: 1024
    .name:           _ZL23rocblas_trmm_rTx_kernelILi32ELb0EdPKdKS1_KPdEv13rocblas_fill_17rocblas_diagonal_iiT2_lPT3_llS9_llPT4_lli
    .private_segment_fixed_size: 0
    .sgpr_count:     36
    .sgpr_spill_count: 0
    .symbol:         _ZL23rocblas_trmm_rTx_kernelILi32ELb0EdPKdKS1_KPdEv13rocblas_fill_17rocblas_diagonal_iiT2_lPT3_llS9_llPT4_lli.kd
    .uniform_work_group_size: 1
    .uses_dynamic_stack: false
    .vgpr_count:     31
    .vgpr_spill_count: 0
    .wavefront_size: 64
  - .agpr_count:     0
    .args:
      - .offset:         0
        .size:           4
        .value_kind:     by_value
      - .offset:         4
        .size:           4
        .value_kind:     by_value
      - .offset:         8
        .size:           4
        .value_kind:     by_value
      - .offset:         12
        .size:           4
        .value_kind:     by_value
      - .offset:         16
        .size:           8
        .value_kind:     by_value
      - .offset:         24
        .size:           8
        .value_kind:     by_value
      - .address_space:  global
        .offset:         32
        .size:           8
        .value_kind:     global_buffer
      - .offset:         40
        .size:           8
        .value_kind:     by_value
      - .offset:         48
        .size:           8
        .value_kind:     by_value
      - .address_space:  global
        .offset:         56
        .size:           8
        .value_kind:     global_buffer
      - .offset:         64
        .size:           8
        .value_kind:     by_value
      - .offset:         72
        .size:           8
        .value_kind:     by_value
      - .address_space:  global
        .offset:         80
        .size:           8
        .value_kind:     global_buffer
      - .offset:         88
        .size:           8
        .value_kind:     by_value
      - .offset:         96
        .size:           8
        .value_kind:     by_value
      - .offset:         104
        .size:           4
        .value_kind:     by_value
    .group_segment_fixed_size: 16384
    .kernarg_segment_align: 8
    .kernarg_segment_size: 108
    .language:       OpenCL C
    .language_version:
      - 2
      - 0
    .max_flat_workgroup_size: 1024
    .name:           _ZL23rocblas_trmm_rTx_kernelILi32ELb0EddKPKdKPdEv13rocblas_fill_17rocblas_diagonal_iiT2_lPT3_llS9_llPT4_lli
    .private_segment_fixed_size: 0
    .sgpr_count:     36
    .sgpr_spill_count: 0
    .symbol:         _ZL23rocblas_trmm_rTx_kernelILi32ELb0EddKPKdKPdEv13rocblas_fill_17rocblas_diagonal_iiT2_lPT3_llS9_llPT4_lli.kd
    .uniform_work_group_size: 1
    .uses_dynamic_stack: false
    .vgpr_count:     31
    .vgpr_spill_count: 0
    .wavefront_size: 64
  - .agpr_count:     0
    .args:
      - .offset:         0
        .size:           4
        .value_kind:     by_value
      - .offset:         4
        .size:           4
        .value_kind:     by_value
      - .offset:         8
        .size:           4
        .value_kind:     by_value
      - .offset:         12
        .size:           4
        .value_kind:     by_value
      - .address_space:  global
        .offset:         16
        .size:           8
        .value_kind:     global_buffer
      - .offset:         24
        .size:           8
        .value_kind:     by_value
      - .address_space:  global
        .offset:         32
        .size:           8
        .value_kind:     global_buffer
      - .offset:         40
        .size:           8
        .value_kind:     by_value
      - .offset:         48
        .size:           8
        .value_kind:     by_value
      - .address_space:  global
        .offset:         56
        .size:           8
        .value_kind:     global_buffer
      - .offset:         64
        .size:           8
        .value_kind:     by_value
      - .offset:         72
        .size:           8
        .value_kind:     by_value
      - .address_space:  global
        .offset:         80
        .size:           8
        .value_kind:     global_buffer
      - .offset:         88
        .size:           8
        .value_kind:     by_value
      - .offset:         96
        .size:           8
        .value_kind:     by_value
      - .offset:         104
        .size:           4
        .value_kind:     by_value
    .group_segment_fixed_size: 16384
    .kernarg_segment_align: 8
    .kernarg_segment_size: 108
    .language:       OpenCL C
    .language_version:
      - 2
      - 0
    .max_flat_workgroup_size: 1024
    .name:           _ZL23rocblas_trmm_rTx_kernelILi32ELb1EdPKdKS1_KPdEv13rocblas_fill_17rocblas_diagonal_iiT2_lPT3_llS9_llPT4_lli
    .private_segment_fixed_size: 0
    .sgpr_count:     36
    .sgpr_spill_count: 0
    .symbol:         _ZL23rocblas_trmm_rTx_kernelILi32ELb1EdPKdKS1_KPdEv13rocblas_fill_17rocblas_diagonal_iiT2_lPT3_llS9_llPT4_lli.kd
    .uniform_work_group_size: 1
    .uses_dynamic_stack: false
    .vgpr_count:     31
    .vgpr_spill_count: 0
    .wavefront_size: 64
  - .agpr_count:     0
    .args:
      - .offset:         0
        .size:           4
        .value_kind:     by_value
      - .offset:         4
        .size:           4
        .value_kind:     by_value
      - .offset:         8
        .size:           4
        .value_kind:     by_value
      - .offset:         12
        .size:           4
        .value_kind:     by_value
      - .offset:         16
        .size:           8
        .value_kind:     by_value
      - .offset:         24
        .size:           8
        .value_kind:     by_value
      - .address_space:  global
        .offset:         32
        .size:           8
        .value_kind:     global_buffer
      - .offset:         40
        .size:           8
        .value_kind:     by_value
      - .offset:         48
        .size:           8
        .value_kind:     by_value
      - .address_space:  global
        .offset:         56
        .size:           8
        .value_kind:     global_buffer
      - .offset:         64
        .size:           8
        .value_kind:     by_value
      - .offset:         72
        .size:           8
        .value_kind:     by_value
      - .address_space:  global
        .offset:         80
        .size:           8
        .value_kind:     global_buffer
      - .offset:         88
        .size:           8
        .value_kind:     by_value
      - .offset:         96
        .size:           8
        .value_kind:     by_value
      - .offset:         104
        .size:           4
        .value_kind:     by_value
    .group_segment_fixed_size: 16384
    .kernarg_segment_align: 8
    .kernarg_segment_size: 108
    .language:       OpenCL C
    .language_version:
      - 2
      - 0
    .max_flat_workgroup_size: 1024
    .name:           _ZL23rocblas_trmm_rTx_kernelILi32ELb1EddKPKdKPdEv13rocblas_fill_17rocblas_diagonal_iiT2_lPT3_llS9_llPT4_lli
    .private_segment_fixed_size: 0
    .sgpr_count:     36
    .sgpr_spill_count: 0
    .symbol:         _ZL23rocblas_trmm_rTx_kernelILi32ELb1EddKPKdKPdEv13rocblas_fill_17rocblas_diagonal_iiT2_lPT3_llS9_llPT4_lli.kd
    .uniform_work_group_size: 1
    .uses_dynamic_stack: false
    .vgpr_count:     31
    .vgpr_spill_count: 0
    .wavefront_size: 64
  - .agpr_count:     0
    .args:
      - .offset:         0
        .size:           4
        .value_kind:     by_value
      - .offset:         4
        .size:           4
        .value_kind:     by_value
      - .offset:         8
        .size:           4
        .value_kind:     by_value
      - .offset:         12
        .size:           4
        .value_kind:     by_value
      - .address_space:  global
        .offset:         16
        .size:           8
        .value_kind:     global_buffer
      - .offset:         24
        .size:           8
        .value_kind:     by_value
      - .address_space:  global
        .offset:         32
        .size:           8
        .value_kind:     global_buffer
      - .offset:         40
        .size:           8
        .value_kind:     by_value
      - .offset:         48
        .size:           8
        .value_kind:     by_value
      - .address_space:  global
        .offset:         56
        .size:           8
        .value_kind:     global_buffer
      - .offset:         64
        .size:           8
        .value_kind:     by_value
      - .offset:         72
        .size:           8
        .value_kind:     by_value
      - .address_space:  global
        .offset:         80
        .size:           8
        .value_kind:     global_buffer
      - .offset:         88
        .size:           8
        .value_kind:     by_value
      - .offset:         96
        .size:           8
        .value_kind:     by_value
      - .offset:         104
        .size:           4
        .value_kind:     by_value
    .group_segment_fixed_size: 4096
    .kernarg_segment_align: 8
    .kernarg_segment_size: 108
    .language:       OpenCL C
    .language_version:
      - 2
      - 0
    .max_flat_workgroup_size: 256
    .name:           _ZL23rocblas_trmm_lNx_kernelILi16E19rocblas_complex_numIfEPKS1_KS3_KPS1_Ev13rocblas_fill_17rocblas_diagonal_iiT1_lPT2_llSB_llPT3_lli
    .private_segment_fixed_size: 0
    .sgpr_count:     36
    .sgpr_spill_count: 0
    .symbol:         _ZL23rocblas_trmm_lNx_kernelILi16E19rocblas_complex_numIfEPKS1_KS3_KPS1_Ev13rocblas_fill_17rocblas_diagonal_iiT1_lPT2_llSB_llPT3_lli.kd
    .uniform_work_group_size: 1
    .uses_dynamic_stack: false
    .vgpr_count:     58
    .vgpr_spill_count: 0
    .wavefront_size: 64
  - .agpr_count:     0
    .args:
      - .offset:         0
        .size:           4
        .value_kind:     by_value
      - .offset:         4
        .size:           4
        .value_kind:     by_value
      - .offset:         8
        .size:           4
        .value_kind:     by_value
      - .offset:         12
        .size:           4
        .value_kind:     by_value
      - .offset:         16
        .size:           8
        .value_kind:     by_value
      - .offset:         24
        .size:           8
        .value_kind:     by_value
      - .address_space:  global
        .offset:         32
        .size:           8
        .value_kind:     global_buffer
      - .offset:         40
        .size:           8
        .value_kind:     by_value
      - .offset:         48
        .size:           8
        .value_kind:     by_value
      - .address_space:  global
        .offset:         56
        .size:           8
        .value_kind:     global_buffer
      - .offset:         64
        .size:           8
        .value_kind:     by_value
      - .offset:         72
        .size:           8
        .value_kind:     by_value
      - .address_space:  global
        .offset:         80
        .size:           8
        .value_kind:     global_buffer
      - .offset:         88
        .size:           8
        .value_kind:     by_value
      - .offset:         96
        .size:           8
        .value_kind:     by_value
      - .offset:         104
        .size:           4
        .value_kind:     by_value
    .group_segment_fixed_size: 4096
    .kernarg_segment_align: 8
    .kernarg_segment_size: 108
    .language:       OpenCL C
    .language_version:
      - 2
      - 0
    .max_flat_workgroup_size: 256
    .name:           _ZL23rocblas_trmm_lNx_kernelILi16E19rocblas_complex_numIfES1_KPKS1_KPS1_Ev13rocblas_fill_17rocblas_diagonal_iiT1_lPT2_llSB_llPT3_lli
    .private_segment_fixed_size: 0
    .sgpr_count:     36
    .sgpr_spill_count: 0
    .symbol:         _ZL23rocblas_trmm_lNx_kernelILi16E19rocblas_complex_numIfES1_KPKS1_KPS1_Ev13rocblas_fill_17rocblas_diagonal_iiT1_lPT2_llSB_llPT3_lli.kd
    .uniform_work_group_size: 1
    .uses_dynamic_stack: false
    .vgpr_count:     58
    .vgpr_spill_count: 0
    .wavefront_size: 64
  - .agpr_count:     0
    .args:
      - .offset:         0
        .size:           4
        .value_kind:     by_value
      - .offset:         4
        .size:           4
        .value_kind:     by_value
      - .offset:         8
        .size:           4
        .value_kind:     by_value
      - .offset:         12
        .size:           4
        .value_kind:     by_value
      - .address_space:  global
        .offset:         16
        .size:           8
        .value_kind:     global_buffer
      - .offset:         24
        .size:           8
        .value_kind:     by_value
      - .address_space:  global
        .offset:         32
        .size:           8
        .value_kind:     global_buffer
      - .offset:         40
        .size:           8
        .value_kind:     by_value
      - .offset:         48
        .size:           8
        .value_kind:     by_value
      - .address_space:  global
        .offset:         56
        .size:           8
        .value_kind:     global_buffer
      - .offset:         64
        .size:           8
        .value_kind:     by_value
      - .offset:         72
        .size:           8
        .value_kind:     by_value
      - .address_space:  global
        .offset:         80
        .size:           8
        .value_kind:     global_buffer
      - .offset:         88
        .size:           8
        .value_kind:     by_value
      - .offset:         96
        .size:           8
        .value_kind:     by_value
      - .offset:         104
        .size:           4
        .value_kind:     by_value
    .group_segment_fixed_size: 4096
    .kernarg_segment_align: 8
    .kernarg_segment_size: 108
    .language:       OpenCL C
    .language_version:
      - 2
      - 0
    .max_flat_workgroup_size: 256
    .name:           _ZL23rocblas_trmm_lTx_kernelILi16ELb0E19rocblas_complex_numIfEPKS1_KS3_KPS1_Ev13rocblas_fill_17rocblas_diagonal_iiT2_lPT3_llSB_llPT4_lli
    .private_segment_fixed_size: 0
    .sgpr_count:     36
    .sgpr_spill_count: 0
    .symbol:         _ZL23rocblas_trmm_lTx_kernelILi16ELb0E19rocblas_complex_numIfEPKS1_KS3_KPS1_Ev13rocblas_fill_17rocblas_diagonal_iiT2_lPT3_llSB_llPT4_lli.kd
    .uniform_work_group_size: 1
    .uses_dynamic_stack: false
    .vgpr_count:     58
    .vgpr_spill_count: 0
    .wavefront_size: 64
  - .agpr_count:     0
    .args:
      - .offset:         0
        .size:           4
        .value_kind:     by_value
      - .offset:         4
        .size:           4
        .value_kind:     by_value
      - .offset:         8
        .size:           4
        .value_kind:     by_value
      - .offset:         12
        .size:           4
        .value_kind:     by_value
      - .offset:         16
        .size:           8
        .value_kind:     by_value
      - .offset:         24
        .size:           8
        .value_kind:     by_value
      - .address_space:  global
        .offset:         32
        .size:           8
        .value_kind:     global_buffer
      - .offset:         40
        .size:           8
        .value_kind:     by_value
      - .offset:         48
        .size:           8
        .value_kind:     by_value
      - .address_space:  global
        .offset:         56
        .size:           8
        .value_kind:     global_buffer
      - .offset:         64
        .size:           8
        .value_kind:     by_value
      - .offset:         72
        .size:           8
        .value_kind:     by_value
      - .address_space:  global
        .offset:         80
        .size:           8
        .value_kind:     global_buffer
      - .offset:         88
        .size:           8
        .value_kind:     by_value
      - .offset:         96
        .size:           8
        .value_kind:     by_value
      - .offset:         104
        .size:           4
        .value_kind:     by_value
    .group_segment_fixed_size: 4096
    .kernarg_segment_align: 8
    .kernarg_segment_size: 108
    .language:       OpenCL C
    .language_version:
      - 2
      - 0
    .max_flat_workgroup_size: 256
    .name:           _ZL23rocblas_trmm_lTx_kernelILi16ELb0E19rocblas_complex_numIfES1_KPKS1_KPS1_Ev13rocblas_fill_17rocblas_diagonal_iiT2_lPT3_llSB_llPT4_lli
    .private_segment_fixed_size: 0
    .sgpr_count:     36
    .sgpr_spill_count: 0
    .symbol:         _ZL23rocblas_trmm_lTx_kernelILi16ELb0E19rocblas_complex_numIfES1_KPKS1_KPS1_Ev13rocblas_fill_17rocblas_diagonal_iiT2_lPT3_llSB_llPT4_lli.kd
    .uniform_work_group_size: 1
    .uses_dynamic_stack: false
    .vgpr_count:     58
    .vgpr_spill_count: 0
    .wavefront_size: 64
  - .agpr_count:     0
    .args:
      - .offset:         0
        .size:           4
        .value_kind:     by_value
      - .offset:         4
        .size:           4
        .value_kind:     by_value
      - .offset:         8
        .size:           4
        .value_kind:     by_value
      - .offset:         12
        .size:           4
        .value_kind:     by_value
      - .address_space:  global
        .offset:         16
        .size:           8
        .value_kind:     global_buffer
      - .offset:         24
        .size:           8
        .value_kind:     by_value
      - .address_space:  global
        .offset:         32
        .size:           8
        .value_kind:     global_buffer
      - .offset:         40
        .size:           8
        .value_kind:     by_value
      - .offset:         48
        .size:           8
        .value_kind:     by_value
      - .address_space:  global
        .offset:         56
        .size:           8
        .value_kind:     global_buffer
      - .offset:         64
        .size:           8
        .value_kind:     by_value
      - .offset:         72
        .size:           8
        .value_kind:     by_value
      - .address_space:  global
        .offset:         80
        .size:           8
        .value_kind:     global_buffer
      - .offset:         88
        .size:           8
        .value_kind:     by_value
      - .offset:         96
        .size:           8
        .value_kind:     by_value
      - .offset:         104
        .size:           4
        .value_kind:     by_value
    .group_segment_fixed_size: 4096
    .kernarg_segment_align: 8
    .kernarg_segment_size: 108
    .language:       OpenCL C
    .language_version:
      - 2
      - 0
    .max_flat_workgroup_size: 256
    .name:           _ZL23rocblas_trmm_lTx_kernelILi16ELb1E19rocblas_complex_numIfEPKS1_KS3_KPS1_Ev13rocblas_fill_17rocblas_diagonal_iiT2_lPT3_llSB_llPT4_lli
    .private_segment_fixed_size: 0
    .sgpr_count:     36
    .sgpr_spill_count: 0
    .symbol:         _ZL23rocblas_trmm_lTx_kernelILi16ELb1E19rocblas_complex_numIfEPKS1_KS3_KPS1_Ev13rocblas_fill_17rocblas_diagonal_iiT2_lPT3_llSB_llPT4_lli.kd
    .uniform_work_group_size: 1
    .uses_dynamic_stack: false
    .vgpr_count:     58
    .vgpr_spill_count: 0
    .wavefront_size: 64
  - .agpr_count:     0
    .args:
      - .offset:         0
        .size:           4
        .value_kind:     by_value
      - .offset:         4
        .size:           4
        .value_kind:     by_value
      - .offset:         8
        .size:           4
        .value_kind:     by_value
      - .offset:         12
        .size:           4
        .value_kind:     by_value
      - .offset:         16
        .size:           8
        .value_kind:     by_value
      - .offset:         24
        .size:           8
        .value_kind:     by_value
      - .address_space:  global
        .offset:         32
        .size:           8
        .value_kind:     global_buffer
      - .offset:         40
        .size:           8
        .value_kind:     by_value
      - .offset:         48
        .size:           8
        .value_kind:     by_value
      - .address_space:  global
        .offset:         56
        .size:           8
        .value_kind:     global_buffer
      - .offset:         64
        .size:           8
        .value_kind:     by_value
      - .offset:         72
        .size:           8
        .value_kind:     by_value
      - .address_space:  global
        .offset:         80
        .size:           8
        .value_kind:     global_buffer
      - .offset:         88
        .size:           8
        .value_kind:     by_value
      - .offset:         96
        .size:           8
        .value_kind:     by_value
      - .offset:         104
        .size:           4
        .value_kind:     by_value
    .group_segment_fixed_size: 4096
    .kernarg_segment_align: 8
    .kernarg_segment_size: 108
    .language:       OpenCL C
    .language_version:
      - 2
      - 0
    .max_flat_workgroup_size: 256
    .name:           _ZL23rocblas_trmm_lTx_kernelILi16ELb1E19rocblas_complex_numIfES1_KPKS1_KPS1_Ev13rocblas_fill_17rocblas_diagonal_iiT2_lPT3_llSB_llPT4_lli
    .private_segment_fixed_size: 0
    .sgpr_count:     36
    .sgpr_spill_count: 0
    .symbol:         _ZL23rocblas_trmm_lTx_kernelILi16ELb1E19rocblas_complex_numIfES1_KPKS1_KPS1_Ev13rocblas_fill_17rocblas_diagonal_iiT2_lPT3_llSB_llPT4_lli.kd
    .uniform_work_group_size: 1
    .uses_dynamic_stack: false
    .vgpr_count:     58
    .vgpr_spill_count: 0
    .wavefront_size: 64
  - .agpr_count:     0
    .args:
      - .offset:         0
        .size:           4
        .value_kind:     by_value
      - .offset:         4
        .size:           4
        .value_kind:     by_value
      - .offset:         8
        .size:           4
        .value_kind:     by_value
      - .offset:         12
        .size:           4
        .value_kind:     by_value
      - .address_space:  global
        .offset:         16
        .size:           8
        .value_kind:     global_buffer
      - .offset:         24
        .size:           8
        .value_kind:     by_value
      - .address_space:  global
        .offset:         32
        .size:           8
        .value_kind:     global_buffer
      - .offset:         40
        .size:           8
        .value_kind:     by_value
      - .offset:         48
        .size:           8
        .value_kind:     by_value
      - .address_space:  global
        .offset:         56
        .size:           8
        .value_kind:     global_buffer
      - .offset:         64
        .size:           8
        .value_kind:     by_value
      - .offset:         72
        .size:           8
        .value_kind:     by_value
      - .address_space:  global
        .offset:         80
        .size:           8
        .value_kind:     global_buffer
      - .offset:         88
        .size:           8
        .value_kind:     by_value
      - .offset:         96
        .size:           8
        .value_kind:     by_value
      - .offset:         104
        .size:           4
        .value_kind:     by_value
    .group_segment_fixed_size: 4096
    .kernarg_segment_align: 8
    .kernarg_segment_size: 108
    .language:       OpenCL C
    .language_version:
      - 2
      - 0
    .max_flat_workgroup_size: 256
    .name:           _ZL23rocblas_trmm_rNx_kernelILi16E19rocblas_complex_numIfEPKS1_KS3_KPS1_Ev13rocblas_fill_17rocblas_diagonal_iiT1_lPT2_llSB_llPT3_lli
    .private_segment_fixed_size: 0
    .sgpr_count:     36
    .sgpr_spill_count: 0
    .symbol:         _ZL23rocblas_trmm_rNx_kernelILi16E19rocblas_complex_numIfEPKS1_KS3_KPS1_Ev13rocblas_fill_17rocblas_diagonal_iiT1_lPT2_llSB_llPT3_lli.kd
    .uniform_work_group_size: 1
    .uses_dynamic_stack: false
    .vgpr_count:     59
    .vgpr_spill_count: 0
    .wavefront_size: 64
  - .agpr_count:     0
    .args:
      - .offset:         0
        .size:           4
        .value_kind:     by_value
      - .offset:         4
        .size:           4
        .value_kind:     by_value
      - .offset:         8
        .size:           4
        .value_kind:     by_value
      - .offset:         12
        .size:           4
        .value_kind:     by_value
      - .offset:         16
        .size:           8
        .value_kind:     by_value
      - .offset:         24
        .size:           8
        .value_kind:     by_value
      - .address_space:  global
        .offset:         32
        .size:           8
        .value_kind:     global_buffer
      - .offset:         40
        .size:           8
        .value_kind:     by_value
      - .offset:         48
        .size:           8
        .value_kind:     by_value
      - .address_space:  global
        .offset:         56
        .size:           8
        .value_kind:     global_buffer
      - .offset:         64
        .size:           8
        .value_kind:     by_value
      - .offset:         72
        .size:           8
        .value_kind:     by_value
      - .address_space:  global
        .offset:         80
        .size:           8
        .value_kind:     global_buffer
      - .offset:         88
        .size:           8
        .value_kind:     by_value
      - .offset:         96
        .size:           8
        .value_kind:     by_value
      - .offset:         104
        .size:           4
        .value_kind:     by_value
    .group_segment_fixed_size: 4096
    .kernarg_segment_align: 8
    .kernarg_segment_size: 108
    .language:       OpenCL C
    .language_version:
      - 2
      - 0
    .max_flat_workgroup_size: 256
    .name:           _ZL23rocblas_trmm_rNx_kernelILi16E19rocblas_complex_numIfES1_KPKS1_KPS1_Ev13rocblas_fill_17rocblas_diagonal_iiT1_lPT2_llSB_llPT3_lli
    .private_segment_fixed_size: 0
    .sgpr_count:     36
    .sgpr_spill_count: 0
    .symbol:         _ZL23rocblas_trmm_rNx_kernelILi16E19rocblas_complex_numIfES1_KPKS1_KPS1_Ev13rocblas_fill_17rocblas_diagonal_iiT1_lPT2_llSB_llPT3_lli.kd
    .uniform_work_group_size: 1
    .uses_dynamic_stack: false
    .vgpr_count:     59
    .vgpr_spill_count: 0
    .wavefront_size: 64
  - .agpr_count:     0
    .args:
      - .offset:         0
        .size:           4
        .value_kind:     by_value
      - .offset:         4
        .size:           4
        .value_kind:     by_value
      - .offset:         8
        .size:           4
        .value_kind:     by_value
      - .offset:         12
        .size:           4
        .value_kind:     by_value
      - .address_space:  global
        .offset:         16
        .size:           8
        .value_kind:     global_buffer
      - .offset:         24
        .size:           8
        .value_kind:     by_value
      - .address_space:  global
        .offset:         32
        .size:           8
        .value_kind:     global_buffer
      - .offset:         40
        .size:           8
        .value_kind:     by_value
      - .offset:         48
        .size:           8
        .value_kind:     by_value
      - .address_space:  global
        .offset:         56
        .size:           8
        .value_kind:     global_buffer
      - .offset:         64
        .size:           8
        .value_kind:     by_value
      - .offset:         72
        .size:           8
        .value_kind:     by_value
      - .address_space:  global
        .offset:         80
        .size:           8
        .value_kind:     global_buffer
      - .offset:         88
        .size:           8
        .value_kind:     by_value
      - .offset:         96
        .size:           8
        .value_kind:     by_value
      - .offset:         104
        .size:           4
        .value_kind:     by_value
    .group_segment_fixed_size: 4096
    .kernarg_segment_align: 8
    .kernarg_segment_size: 108
    .language:       OpenCL C
    .language_version:
      - 2
      - 0
    .max_flat_workgroup_size: 256
    .name:           _ZL23rocblas_trmm_rTx_kernelILi16ELb0E19rocblas_complex_numIfEPKS1_KS3_KPS1_Ev13rocblas_fill_17rocblas_diagonal_iiT2_lPT3_llSB_llPT4_lli
    .private_segment_fixed_size: 0
    .sgpr_count:     36
    .sgpr_spill_count: 0
    .symbol:         _ZL23rocblas_trmm_rTx_kernelILi16ELb0E19rocblas_complex_numIfEPKS1_KS3_KPS1_Ev13rocblas_fill_17rocblas_diagonal_iiT2_lPT3_llSB_llPT4_lli.kd
    .uniform_work_group_size: 1
    .uses_dynamic_stack: false
    .vgpr_count:     60
    .vgpr_spill_count: 0
    .wavefront_size: 64
  - .agpr_count:     0
    .args:
      - .offset:         0
        .size:           4
        .value_kind:     by_value
      - .offset:         4
        .size:           4
        .value_kind:     by_value
      - .offset:         8
        .size:           4
        .value_kind:     by_value
      - .offset:         12
        .size:           4
        .value_kind:     by_value
      - .offset:         16
        .size:           8
        .value_kind:     by_value
      - .offset:         24
        .size:           8
        .value_kind:     by_value
      - .address_space:  global
        .offset:         32
        .size:           8
        .value_kind:     global_buffer
      - .offset:         40
        .size:           8
        .value_kind:     by_value
      - .offset:         48
        .size:           8
        .value_kind:     by_value
      - .address_space:  global
        .offset:         56
        .size:           8
        .value_kind:     global_buffer
      - .offset:         64
        .size:           8
        .value_kind:     by_value
      - .offset:         72
        .size:           8
        .value_kind:     by_value
      - .address_space:  global
        .offset:         80
        .size:           8
        .value_kind:     global_buffer
      - .offset:         88
        .size:           8
        .value_kind:     by_value
      - .offset:         96
        .size:           8
        .value_kind:     by_value
      - .offset:         104
        .size:           4
        .value_kind:     by_value
    .group_segment_fixed_size: 4096
    .kernarg_segment_align: 8
    .kernarg_segment_size: 108
    .language:       OpenCL C
    .language_version:
      - 2
      - 0
    .max_flat_workgroup_size: 256
    .name:           _ZL23rocblas_trmm_rTx_kernelILi16ELb0E19rocblas_complex_numIfES1_KPKS1_KPS1_Ev13rocblas_fill_17rocblas_diagonal_iiT2_lPT3_llSB_llPT4_lli
    .private_segment_fixed_size: 0
    .sgpr_count:     36
    .sgpr_spill_count: 0
    .symbol:         _ZL23rocblas_trmm_rTx_kernelILi16ELb0E19rocblas_complex_numIfES1_KPKS1_KPS1_Ev13rocblas_fill_17rocblas_diagonal_iiT2_lPT3_llSB_llPT4_lli.kd
    .uniform_work_group_size: 1
    .uses_dynamic_stack: false
    .vgpr_count:     60
    .vgpr_spill_count: 0
    .wavefront_size: 64
  - .agpr_count:     0
    .args:
      - .offset:         0
        .size:           4
        .value_kind:     by_value
      - .offset:         4
        .size:           4
        .value_kind:     by_value
      - .offset:         8
        .size:           4
        .value_kind:     by_value
      - .offset:         12
        .size:           4
        .value_kind:     by_value
      - .address_space:  global
        .offset:         16
        .size:           8
        .value_kind:     global_buffer
      - .offset:         24
        .size:           8
        .value_kind:     by_value
      - .address_space:  global
        .offset:         32
        .size:           8
        .value_kind:     global_buffer
      - .offset:         40
        .size:           8
        .value_kind:     by_value
      - .offset:         48
        .size:           8
        .value_kind:     by_value
      - .address_space:  global
        .offset:         56
        .size:           8
        .value_kind:     global_buffer
      - .offset:         64
        .size:           8
        .value_kind:     by_value
      - .offset:         72
        .size:           8
        .value_kind:     by_value
      - .address_space:  global
        .offset:         80
        .size:           8
        .value_kind:     global_buffer
      - .offset:         88
        .size:           8
        .value_kind:     by_value
      - .offset:         96
        .size:           8
        .value_kind:     by_value
      - .offset:         104
        .size:           4
        .value_kind:     by_value
    .group_segment_fixed_size: 4096
    .kernarg_segment_align: 8
    .kernarg_segment_size: 108
    .language:       OpenCL C
    .language_version:
      - 2
      - 0
    .max_flat_workgroup_size: 256
    .name:           _ZL23rocblas_trmm_rTx_kernelILi16ELb1E19rocblas_complex_numIfEPKS1_KS3_KPS1_Ev13rocblas_fill_17rocblas_diagonal_iiT2_lPT3_llSB_llPT4_lli
    .private_segment_fixed_size: 0
    .sgpr_count:     36
    .sgpr_spill_count: 0
    .symbol:         _ZL23rocblas_trmm_rTx_kernelILi16ELb1E19rocblas_complex_numIfEPKS1_KS3_KPS1_Ev13rocblas_fill_17rocblas_diagonal_iiT2_lPT3_llSB_llPT4_lli.kd
    .uniform_work_group_size: 1
    .uses_dynamic_stack: false
    .vgpr_count:     60
    .vgpr_spill_count: 0
    .wavefront_size: 64
  - .agpr_count:     0
    .args:
      - .offset:         0
        .size:           4
        .value_kind:     by_value
      - .offset:         4
        .size:           4
        .value_kind:     by_value
      - .offset:         8
        .size:           4
        .value_kind:     by_value
      - .offset:         12
        .size:           4
        .value_kind:     by_value
      - .offset:         16
        .size:           8
        .value_kind:     by_value
      - .offset:         24
        .size:           8
        .value_kind:     by_value
      - .address_space:  global
        .offset:         32
        .size:           8
        .value_kind:     global_buffer
      - .offset:         40
        .size:           8
        .value_kind:     by_value
      - .offset:         48
        .size:           8
        .value_kind:     by_value
      - .address_space:  global
        .offset:         56
        .size:           8
        .value_kind:     global_buffer
      - .offset:         64
        .size:           8
        .value_kind:     by_value
      - .offset:         72
        .size:           8
        .value_kind:     by_value
      - .address_space:  global
        .offset:         80
        .size:           8
        .value_kind:     global_buffer
      - .offset:         88
        .size:           8
        .value_kind:     by_value
      - .offset:         96
        .size:           8
        .value_kind:     by_value
      - .offset:         104
        .size:           4
        .value_kind:     by_value
    .group_segment_fixed_size: 4096
    .kernarg_segment_align: 8
    .kernarg_segment_size: 108
    .language:       OpenCL C
    .language_version:
      - 2
      - 0
    .max_flat_workgroup_size: 256
    .name:           _ZL23rocblas_trmm_rTx_kernelILi16ELb1E19rocblas_complex_numIfES1_KPKS1_KPS1_Ev13rocblas_fill_17rocblas_diagonal_iiT2_lPT3_llSB_llPT4_lli
    .private_segment_fixed_size: 0
    .sgpr_count:     36
    .sgpr_spill_count: 0
    .symbol:         _ZL23rocblas_trmm_rTx_kernelILi16ELb1E19rocblas_complex_numIfES1_KPKS1_KPS1_Ev13rocblas_fill_17rocblas_diagonal_iiT2_lPT3_llSB_llPT4_lli.kd
    .uniform_work_group_size: 1
    .uses_dynamic_stack: false
    .vgpr_count:     60
    .vgpr_spill_count: 0
    .wavefront_size: 64
  - .agpr_count:     0
    .args:
      - .offset:         0
        .size:           4
        .value_kind:     by_value
      - .offset:         4
        .size:           4
        .value_kind:     by_value
      - .offset:         8
        .size:           4
        .value_kind:     by_value
      - .offset:         12
        .size:           4
        .value_kind:     by_value
      - .address_space:  global
        .offset:         16
        .size:           8
        .value_kind:     global_buffer
      - .offset:         24
        .size:           8
        .value_kind:     by_value
      - .address_space:  global
        .offset:         32
        .size:           8
        .value_kind:     global_buffer
      - .offset:         40
        .size:           8
        .value_kind:     by_value
      - .offset:         48
        .size:           8
        .value_kind:     by_value
      - .address_space:  global
        .offset:         56
        .size:           8
        .value_kind:     global_buffer
      - .offset:         64
        .size:           8
        .value_kind:     by_value
      - .offset:         72
        .size:           8
        .value_kind:     by_value
      - .address_space:  global
        .offset:         80
        .size:           8
        .value_kind:     global_buffer
      - .offset:         88
        .size:           8
        .value_kind:     by_value
      - .offset:         96
        .size:           8
        .value_kind:     by_value
      - .offset:         104
        .size:           4
        .value_kind:     by_value
    .group_segment_fixed_size: 8192
    .kernarg_segment_align: 8
    .kernarg_segment_size: 108
    .language:       OpenCL C
    .language_version:
      - 2
      - 0
    .max_flat_workgroup_size: 256
    .name:           _ZL23rocblas_trmm_lNx_kernelILi16E19rocblas_complex_numIdEPKS1_KS3_KPS1_Ev13rocblas_fill_17rocblas_diagonal_iiT1_lPT2_llSB_llPT3_lli
    .private_segment_fixed_size: 0
    .sgpr_count:     42
    .sgpr_spill_count: 0
    .symbol:         _ZL23rocblas_trmm_lNx_kernelILi16E19rocblas_complex_numIdEPKS1_KS3_KPS1_Ev13rocblas_fill_17rocblas_diagonal_iiT1_lPT2_llSB_llPT3_lli.kd
    .uniform_work_group_size: 1
    .uses_dynamic_stack: false
    .vgpr_count:     75
    .vgpr_spill_count: 0
    .wavefront_size: 64
  - .agpr_count:     0
    .args:
      - .offset:         0
        .size:           4
        .value_kind:     by_value
      - .offset:         4
        .size:           4
        .value_kind:     by_value
      - .offset:         8
        .size:           4
        .value_kind:     by_value
      - .offset:         12
        .size:           4
        .value_kind:     by_value
      - .offset:         16
        .size:           16
        .value_kind:     by_value
      - .offset:         32
        .size:           8
        .value_kind:     by_value
      - .address_space:  global
        .offset:         40
        .size:           8
        .value_kind:     global_buffer
      - .offset:         48
        .size:           8
        .value_kind:     by_value
      - .offset:         56
        .size:           8
        .value_kind:     by_value
      - .address_space:  global
        .offset:         64
        .size:           8
        .value_kind:     global_buffer
      - .offset:         72
        .size:           8
        .value_kind:     by_value
      - .offset:         80
        .size:           8
        .value_kind:     by_value
      - .address_space:  global
        .offset:         88
        .size:           8
        .value_kind:     global_buffer
      - .offset:         96
        .size:           8
        .value_kind:     by_value
      - .offset:         104
        .size:           8
        .value_kind:     by_value
      - .offset:         112
        .size:           4
        .value_kind:     by_value
    .group_segment_fixed_size: 8192
    .kernarg_segment_align: 8
    .kernarg_segment_size: 116
    .language:       OpenCL C
    .language_version:
      - 2
      - 0
    .max_flat_workgroup_size: 256
    .name:           _ZL23rocblas_trmm_lNx_kernelILi16E19rocblas_complex_numIdES1_KPKS1_KPS1_Ev13rocblas_fill_17rocblas_diagonal_iiT1_lPT2_llSB_llPT3_lli
    .private_segment_fixed_size: 0
    .sgpr_count:     42
    .sgpr_spill_count: 0
    .symbol:         _ZL23rocblas_trmm_lNx_kernelILi16E19rocblas_complex_numIdES1_KPKS1_KPS1_Ev13rocblas_fill_17rocblas_diagonal_iiT1_lPT2_llSB_llPT3_lli.kd
    .uniform_work_group_size: 1
    .uses_dynamic_stack: false
    .vgpr_count:     75
    .vgpr_spill_count: 0
    .wavefront_size: 64
  - .agpr_count:     0
    .args:
      - .offset:         0
        .size:           4
        .value_kind:     by_value
      - .offset:         4
        .size:           4
        .value_kind:     by_value
      - .offset:         8
        .size:           4
        .value_kind:     by_value
      - .offset:         12
        .size:           4
        .value_kind:     by_value
      - .address_space:  global
        .offset:         16
        .size:           8
        .value_kind:     global_buffer
      - .offset:         24
        .size:           8
        .value_kind:     by_value
      - .address_space:  global
        .offset:         32
        .size:           8
        .value_kind:     global_buffer
      - .offset:         40
        .size:           8
        .value_kind:     by_value
      - .offset:         48
        .size:           8
        .value_kind:     by_value
      - .address_space:  global
        .offset:         56
        .size:           8
        .value_kind:     global_buffer
      - .offset:         64
        .size:           8
        .value_kind:     by_value
      - .offset:         72
        .size:           8
        .value_kind:     by_value
      - .address_space:  global
        .offset:         80
        .size:           8
        .value_kind:     global_buffer
      - .offset:         88
        .size:           8
        .value_kind:     by_value
      - .offset:         96
        .size:           8
        .value_kind:     by_value
      - .offset:         104
        .size:           4
        .value_kind:     by_value
    .group_segment_fixed_size: 8192
    .kernarg_segment_align: 8
    .kernarg_segment_size: 108
    .language:       OpenCL C
    .language_version:
      - 2
      - 0
    .max_flat_workgroup_size: 256
    .name:           _ZL23rocblas_trmm_lTx_kernelILi16ELb0E19rocblas_complex_numIdEPKS1_KS3_KPS1_Ev13rocblas_fill_17rocblas_diagonal_iiT2_lPT3_llSB_llPT4_lli
    .private_segment_fixed_size: 0
    .sgpr_count:     40
    .sgpr_spill_count: 0
    .symbol:         _ZL23rocblas_trmm_lTx_kernelILi16ELb0E19rocblas_complex_numIdEPKS1_KS3_KPS1_Ev13rocblas_fill_17rocblas_diagonal_iiT2_lPT3_llSB_llPT4_lli.kd
    .uniform_work_group_size: 1
    .uses_dynamic_stack: false
    .vgpr_count:     75
    .vgpr_spill_count: 0
    .wavefront_size: 64
  - .agpr_count:     0
    .args:
      - .offset:         0
        .size:           4
        .value_kind:     by_value
      - .offset:         4
        .size:           4
        .value_kind:     by_value
      - .offset:         8
        .size:           4
        .value_kind:     by_value
      - .offset:         12
        .size:           4
        .value_kind:     by_value
      - .offset:         16
        .size:           16
        .value_kind:     by_value
      - .offset:         32
        .size:           8
        .value_kind:     by_value
      - .address_space:  global
        .offset:         40
        .size:           8
        .value_kind:     global_buffer
      - .offset:         48
        .size:           8
        .value_kind:     by_value
      - .offset:         56
        .size:           8
        .value_kind:     by_value
      - .address_space:  global
        .offset:         64
        .size:           8
        .value_kind:     global_buffer
      - .offset:         72
        .size:           8
        .value_kind:     by_value
      - .offset:         80
        .size:           8
        .value_kind:     by_value
      - .address_space:  global
        .offset:         88
        .size:           8
        .value_kind:     global_buffer
      - .offset:         96
        .size:           8
        .value_kind:     by_value
      - .offset:         104
        .size:           8
        .value_kind:     by_value
      - .offset:         112
        .size:           4
        .value_kind:     by_value
    .group_segment_fixed_size: 8192
    .kernarg_segment_align: 8
    .kernarg_segment_size: 116
    .language:       OpenCL C
    .language_version:
      - 2
      - 0
    .max_flat_workgroup_size: 256
    .name:           _ZL23rocblas_trmm_lTx_kernelILi16ELb0E19rocblas_complex_numIdES1_KPKS1_KPS1_Ev13rocblas_fill_17rocblas_diagonal_iiT2_lPT3_llSB_llPT4_lli
    .private_segment_fixed_size: 0
    .sgpr_count:     40
    .sgpr_spill_count: 0
    .symbol:         _ZL23rocblas_trmm_lTx_kernelILi16ELb0E19rocblas_complex_numIdES1_KPKS1_KPS1_Ev13rocblas_fill_17rocblas_diagonal_iiT2_lPT3_llSB_llPT4_lli.kd
    .uniform_work_group_size: 1
    .uses_dynamic_stack: false
    .vgpr_count:     75
    .vgpr_spill_count: 0
    .wavefront_size: 64
  - .agpr_count:     0
    .args:
      - .offset:         0
        .size:           4
        .value_kind:     by_value
      - .offset:         4
        .size:           4
        .value_kind:     by_value
      - .offset:         8
        .size:           4
        .value_kind:     by_value
      - .offset:         12
        .size:           4
        .value_kind:     by_value
      - .address_space:  global
        .offset:         16
        .size:           8
        .value_kind:     global_buffer
      - .offset:         24
        .size:           8
        .value_kind:     by_value
      - .address_space:  global
        .offset:         32
        .size:           8
        .value_kind:     global_buffer
      - .offset:         40
        .size:           8
        .value_kind:     by_value
      - .offset:         48
        .size:           8
        .value_kind:     by_value
      - .address_space:  global
        .offset:         56
        .size:           8
        .value_kind:     global_buffer
      - .offset:         64
        .size:           8
        .value_kind:     by_value
      - .offset:         72
        .size:           8
        .value_kind:     by_value
      - .address_space:  global
        .offset:         80
        .size:           8
        .value_kind:     global_buffer
      - .offset:         88
        .size:           8
        .value_kind:     by_value
      - .offset:         96
        .size:           8
        .value_kind:     by_value
      - .offset:         104
        .size:           4
        .value_kind:     by_value
    .group_segment_fixed_size: 8192
    .kernarg_segment_align: 8
    .kernarg_segment_size: 108
    .language:       OpenCL C
    .language_version:
      - 2
      - 0
    .max_flat_workgroup_size: 256
    .name:           _ZL23rocblas_trmm_lTx_kernelILi16ELb1E19rocblas_complex_numIdEPKS1_KS3_KPS1_Ev13rocblas_fill_17rocblas_diagonal_iiT2_lPT3_llSB_llPT4_lli
    .private_segment_fixed_size: 0
    .sgpr_count:     40
    .sgpr_spill_count: 0
    .symbol:         _ZL23rocblas_trmm_lTx_kernelILi16ELb1E19rocblas_complex_numIdEPKS1_KS3_KPS1_Ev13rocblas_fill_17rocblas_diagonal_iiT2_lPT3_llSB_llPT4_lli.kd
    .uniform_work_group_size: 1
    .uses_dynamic_stack: false
    .vgpr_count:     75
    .vgpr_spill_count: 0
    .wavefront_size: 64
  - .agpr_count:     0
    .args:
      - .offset:         0
        .size:           4
        .value_kind:     by_value
      - .offset:         4
        .size:           4
        .value_kind:     by_value
      - .offset:         8
        .size:           4
        .value_kind:     by_value
      - .offset:         12
        .size:           4
        .value_kind:     by_value
      - .offset:         16
        .size:           16
        .value_kind:     by_value
      - .offset:         32
        .size:           8
        .value_kind:     by_value
      - .address_space:  global
        .offset:         40
        .size:           8
        .value_kind:     global_buffer
      - .offset:         48
        .size:           8
        .value_kind:     by_value
      - .offset:         56
        .size:           8
        .value_kind:     by_value
      - .address_space:  global
        .offset:         64
        .size:           8
        .value_kind:     global_buffer
      - .offset:         72
        .size:           8
        .value_kind:     by_value
      - .offset:         80
        .size:           8
        .value_kind:     by_value
      - .address_space:  global
        .offset:         88
        .size:           8
        .value_kind:     global_buffer
      - .offset:         96
        .size:           8
        .value_kind:     by_value
      - .offset:         104
        .size:           8
        .value_kind:     by_value
      - .offset:         112
        .size:           4
        .value_kind:     by_value
    .group_segment_fixed_size: 8192
    .kernarg_segment_align: 8
    .kernarg_segment_size: 116
    .language:       OpenCL C
    .language_version:
      - 2
      - 0
    .max_flat_workgroup_size: 256
    .name:           _ZL23rocblas_trmm_lTx_kernelILi16ELb1E19rocblas_complex_numIdES1_KPKS1_KPS1_Ev13rocblas_fill_17rocblas_diagonal_iiT2_lPT3_llSB_llPT4_lli
    .private_segment_fixed_size: 0
    .sgpr_count:     40
    .sgpr_spill_count: 0
    .symbol:         _ZL23rocblas_trmm_lTx_kernelILi16ELb1E19rocblas_complex_numIdES1_KPKS1_KPS1_Ev13rocblas_fill_17rocblas_diagonal_iiT2_lPT3_llSB_llPT4_lli.kd
    .uniform_work_group_size: 1
    .uses_dynamic_stack: false
    .vgpr_count:     75
    .vgpr_spill_count: 0
    .wavefront_size: 64
  - .agpr_count:     0
    .args:
      - .offset:         0
        .size:           4
        .value_kind:     by_value
      - .offset:         4
        .size:           4
        .value_kind:     by_value
      - .offset:         8
        .size:           4
        .value_kind:     by_value
      - .offset:         12
        .size:           4
        .value_kind:     by_value
      - .address_space:  global
        .offset:         16
        .size:           8
        .value_kind:     global_buffer
      - .offset:         24
        .size:           8
        .value_kind:     by_value
      - .address_space:  global
        .offset:         32
        .size:           8
        .value_kind:     global_buffer
      - .offset:         40
        .size:           8
        .value_kind:     by_value
      - .offset:         48
        .size:           8
        .value_kind:     by_value
      - .address_space:  global
        .offset:         56
        .size:           8
        .value_kind:     global_buffer
      - .offset:         64
        .size:           8
        .value_kind:     by_value
      - .offset:         72
        .size:           8
        .value_kind:     by_value
      - .address_space:  global
        .offset:         80
        .size:           8
        .value_kind:     global_buffer
      - .offset:         88
        .size:           8
        .value_kind:     by_value
      - .offset:         96
        .size:           8
        .value_kind:     by_value
      - .offset:         104
        .size:           4
        .value_kind:     by_value
    .group_segment_fixed_size: 8192
    .kernarg_segment_align: 8
    .kernarg_segment_size: 108
    .language:       OpenCL C
    .language_version:
      - 2
      - 0
    .max_flat_workgroup_size: 256
    .name:           _ZL23rocblas_trmm_rNx_kernelILi16E19rocblas_complex_numIdEPKS1_KS3_KPS1_Ev13rocblas_fill_17rocblas_diagonal_iiT1_lPT2_llSB_llPT3_lli
    .private_segment_fixed_size: 0
    .sgpr_count:     42
    .sgpr_spill_count: 0
    .symbol:         _ZL23rocblas_trmm_rNx_kernelILi16E19rocblas_complex_numIdEPKS1_KS3_KPS1_Ev13rocblas_fill_17rocblas_diagonal_iiT1_lPT2_llSB_llPT3_lli.kd
    .uniform_work_group_size: 1
    .uses_dynamic_stack: false
    .vgpr_count:     75
    .vgpr_spill_count: 0
    .wavefront_size: 64
  - .agpr_count:     0
    .args:
      - .offset:         0
        .size:           4
        .value_kind:     by_value
      - .offset:         4
        .size:           4
        .value_kind:     by_value
      - .offset:         8
        .size:           4
        .value_kind:     by_value
      - .offset:         12
        .size:           4
        .value_kind:     by_value
      - .offset:         16
        .size:           16
        .value_kind:     by_value
      - .offset:         32
        .size:           8
        .value_kind:     by_value
      - .address_space:  global
        .offset:         40
        .size:           8
        .value_kind:     global_buffer
      - .offset:         48
        .size:           8
        .value_kind:     by_value
      - .offset:         56
        .size:           8
        .value_kind:     by_value
      - .address_space:  global
        .offset:         64
        .size:           8
        .value_kind:     global_buffer
      - .offset:         72
        .size:           8
        .value_kind:     by_value
      - .offset:         80
        .size:           8
        .value_kind:     by_value
      - .address_space:  global
        .offset:         88
        .size:           8
        .value_kind:     global_buffer
      - .offset:         96
        .size:           8
        .value_kind:     by_value
      - .offset:         104
        .size:           8
        .value_kind:     by_value
      - .offset:         112
        .size:           4
        .value_kind:     by_value
    .group_segment_fixed_size: 8192
    .kernarg_segment_align: 8
    .kernarg_segment_size: 116
    .language:       OpenCL C
    .language_version:
      - 2
      - 0
    .max_flat_workgroup_size: 256
    .name:           _ZL23rocblas_trmm_rNx_kernelILi16E19rocblas_complex_numIdES1_KPKS1_KPS1_Ev13rocblas_fill_17rocblas_diagonal_iiT1_lPT2_llSB_llPT3_lli
    .private_segment_fixed_size: 0
    .sgpr_count:     42
    .sgpr_spill_count: 0
    .symbol:         _ZL23rocblas_trmm_rNx_kernelILi16E19rocblas_complex_numIdES1_KPKS1_KPS1_Ev13rocblas_fill_17rocblas_diagonal_iiT1_lPT2_llSB_llPT3_lli.kd
    .uniform_work_group_size: 1
    .uses_dynamic_stack: false
    .vgpr_count:     75
    .vgpr_spill_count: 0
    .wavefront_size: 64
  - .agpr_count:     0
    .args:
      - .offset:         0
        .size:           4
        .value_kind:     by_value
      - .offset:         4
        .size:           4
        .value_kind:     by_value
      - .offset:         8
        .size:           4
        .value_kind:     by_value
      - .offset:         12
        .size:           4
        .value_kind:     by_value
      - .address_space:  global
        .offset:         16
        .size:           8
        .value_kind:     global_buffer
      - .offset:         24
        .size:           8
        .value_kind:     by_value
      - .address_space:  global
        .offset:         32
        .size:           8
        .value_kind:     global_buffer
      - .offset:         40
        .size:           8
        .value_kind:     by_value
      - .offset:         48
        .size:           8
        .value_kind:     by_value
      - .address_space:  global
        .offset:         56
        .size:           8
        .value_kind:     global_buffer
      - .offset:         64
        .size:           8
        .value_kind:     by_value
      - .offset:         72
        .size:           8
        .value_kind:     by_value
      - .address_space:  global
        .offset:         80
        .size:           8
        .value_kind:     global_buffer
      - .offset:         88
        .size:           8
        .value_kind:     by_value
      - .offset:         96
        .size:           8
        .value_kind:     by_value
      - .offset:         104
        .size:           4
        .value_kind:     by_value
    .group_segment_fixed_size: 8192
    .kernarg_segment_align: 8
    .kernarg_segment_size: 108
    .language:       OpenCL C
    .language_version:
      - 2
      - 0
    .max_flat_workgroup_size: 256
    .name:           _ZL23rocblas_trmm_rTx_kernelILi16ELb0E19rocblas_complex_numIdEPKS1_KS3_KPS1_Ev13rocblas_fill_17rocblas_diagonal_iiT2_lPT3_llSB_llPT4_lli
    .private_segment_fixed_size: 0
    .sgpr_count:     42
    .sgpr_spill_count: 0
    .symbol:         _ZL23rocblas_trmm_rTx_kernelILi16ELb0E19rocblas_complex_numIdEPKS1_KS3_KPS1_Ev13rocblas_fill_17rocblas_diagonal_iiT2_lPT3_llSB_llPT4_lli.kd
    .uniform_work_group_size: 1
    .uses_dynamic_stack: false
    .vgpr_count:     76
    .vgpr_spill_count: 0
    .wavefront_size: 64
  - .agpr_count:     0
    .args:
      - .offset:         0
        .size:           4
        .value_kind:     by_value
      - .offset:         4
        .size:           4
        .value_kind:     by_value
      - .offset:         8
        .size:           4
        .value_kind:     by_value
      - .offset:         12
        .size:           4
        .value_kind:     by_value
      - .offset:         16
        .size:           16
        .value_kind:     by_value
      - .offset:         32
        .size:           8
        .value_kind:     by_value
      - .address_space:  global
        .offset:         40
        .size:           8
        .value_kind:     global_buffer
      - .offset:         48
        .size:           8
        .value_kind:     by_value
      - .offset:         56
        .size:           8
        .value_kind:     by_value
      - .address_space:  global
        .offset:         64
        .size:           8
        .value_kind:     global_buffer
      - .offset:         72
        .size:           8
        .value_kind:     by_value
      - .offset:         80
        .size:           8
        .value_kind:     by_value
      - .address_space:  global
        .offset:         88
        .size:           8
        .value_kind:     global_buffer
      - .offset:         96
        .size:           8
        .value_kind:     by_value
      - .offset:         104
        .size:           8
        .value_kind:     by_value
      - .offset:         112
        .size:           4
        .value_kind:     by_value
    .group_segment_fixed_size: 8192
    .kernarg_segment_align: 8
    .kernarg_segment_size: 116
    .language:       OpenCL C
    .language_version:
      - 2
      - 0
    .max_flat_workgroup_size: 256
    .name:           _ZL23rocblas_trmm_rTx_kernelILi16ELb0E19rocblas_complex_numIdES1_KPKS1_KPS1_Ev13rocblas_fill_17rocblas_diagonal_iiT2_lPT3_llSB_llPT4_lli
    .private_segment_fixed_size: 0
    .sgpr_count:     42
    .sgpr_spill_count: 0
    .symbol:         _ZL23rocblas_trmm_rTx_kernelILi16ELb0E19rocblas_complex_numIdES1_KPKS1_KPS1_Ev13rocblas_fill_17rocblas_diagonal_iiT2_lPT3_llSB_llPT4_lli.kd
    .uniform_work_group_size: 1
    .uses_dynamic_stack: false
    .vgpr_count:     76
    .vgpr_spill_count: 0
    .wavefront_size: 64
  - .agpr_count:     0
    .args:
      - .offset:         0
        .size:           4
        .value_kind:     by_value
      - .offset:         4
        .size:           4
        .value_kind:     by_value
      - .offset:         8
        .size:           4
        .value_kind:     by_value
      - .offset:         12
        .size:           4
        .value_kind:     by_value
      - .address_space:  global
        .offset:         16
        .size:           8
        .value_kind:     global_buffer
      - .offset:         24
        .size:           8
        .value_kind:     by_value
      - .address_space:  global
        .offset:         32
        .size:           8
        .value_kind:     global_buffer
      - .offset:         40
        .size:           8
        .value_kind:     by_value
      - .offset:         48
        .size:           8
        .value_kind:     by_value
      - .address_space:  global
        .offset:         56
        .size:           8
        .value_kind:     global_buffer
      - .offset:         64
        .size:           8
        .value_kind:     by_value
      - .offset:         72
        .size:           8
        .value_kind:     by_value
      - .address_space:  global
        .offset:         80
        .size:           8
        .value_kind:     global_buffer
      - .offset:         88
        .size:           8
        .value_kind:     by_value
      - .offset:         96
        .size:           8
        .value_kind:     by_value
      - .offset:         104
        .size:           4
        .value_kind:     by_value
    .group_segment_fixed_size: 8192
    .kernarg_segment_align: 8
    .kernarg_segment_size: 108
    .language:       OpenCL C
    .language_version:
      - 2
      - 0
    .max_flat_workgroup_size: 256
    .name:           _ZL23rocblas_trmm_rTx_kernelILi16ELb1E19rocblas_complex_numIdEPKS1_KS3_KPS1_Ev13rocblas_fill_17rocblas_diagonal_iiT2_lPT3_llSB_llPT4_lli
    .private_segment_fixed_size: 0
    .sgpr_count:     42
    .sgpr_spill_count: 0
    .symbol:         _ZL23rocblas_trmm_rTx_kernelILi16ELb1E19rocblas_complex_numIdEPKS1_KS3_KPS1_Ev13rocblas_fill_17rocblas_diagonal_iiT2_lPT3_llSB_llPT4_lli.kd
    .uniform_work_group_size: 1
    .uses_dynamic_stack: false
    .vgpr_count:     76
    .vgpr_spill_count: 0
    .wavefront_size: 64
  - .agpr_count:     0
    .args:
      - .offset:         0
        .size:           4
        .value_kind:     by_value
      - .offset:         4
        .size:           4
        .value_kind:     by_value
      - .offset:         8
        .size:           4
        .value_kind:     by_value
      - .offset:         12
        .size:           4
        .value_kind:     by_value
      - .offset:         16
        .size:           16
        .value_kind:     by_value
      - .offset:         32
        .size:           8
        .value_kind:     by_value
      - .address_space:  global
        .offset:         40
        .size:           8
        .value_kind:     global_buffer
      - .offset:         48
        .size:           8
        .value_kind:     by_value
      - .offset:         56
        .size:           8
        .value_kind:     by_value
      - .address_space:  global
        .offset:         64
        .size:           8
        .value_kind:     global_buffer
      - .offset:         72
        .size:           8
        .value_kind:     by_value
      - .offset:         80
        .size:           8
        .value_kind:     by_value
      - .address_space:  global
        .offset:         88
        .size:           8
        .value_kind:     global_buffer
      - .offset:         96
        .size:           8
        .value_kind:     by_value
      - .offset:         104
        .size:           8
        .value_kind:     by_value
      - .offset:         112
        .size:           4
        .value_kind:     by_value
    .group_segment_fixed_size: 8192
    .kernarg_segment_align: 8
    .kernarg_segment_size: 116
    .language:       OpenCL C
    .language_version:
      - 2
      - 0
    .max_flat_workgroup_size: 256
    .name:           _ZL23rocblas_trmm_rTx_kernelILi16ELb1E19rocblas_complex_numIdES1_KPKS1_KPS1_Ev13rocblas_fill_17rocblas_diagonal_iiT2_lPT3_llSB_llPT4_lli
    .private_segment_fixed_size: 0
    .sgpr_count:     42
    .sgpr_spill_count: 0
    .symbol:         _ZL23rocblas_trmm_rTx_kernelILi16ELb1E19rocblas_complex_numIdES1_KPKS1_KPS1_Ev13rocblas_fill_17rocblas_diagonal_iiT2_lPT3_llSB_llPT4_lli.kd
    .uniform_work_group_size: 1
    .uses_dynamic_stack: false
    .vgpr_count:     76
    .vgpr_spill_count: 0
    .wavefront_size: 64
  - .agpr_count:     0
    .args:
      - .offset:         0
        .size:           4
        .value_kind:     by_value
      - .offset:         4
        .size:           4
        .value_kind:     by_value
      - .address_space:  global
        .offset:         8
        .size:           8
        .value_kind:     global_buffer
      - .offset:         16
        .size:           8
        .value_kind:     by_value
      - .address_space:  global
        .offset:         24
        .size:           8
        .value_kind:     global_buffer
      - .offset:         32
        .size:           8
        .value_kind:     by_value
      - .offset:         40
        .size:           8
        .value_kind:     by_value
      - .offset:         48
        .size:           4
        .value_kind:     by_value
      - .offset:         56
        .size:           4
        .value_kind:     hidden_block_count_x
      - .offset:         60
        .size:           4
        .value_kind:     hidden_block_count_y
      - .offset:         64
        .size:           4
        .value_kind:     hidden_block_count_z
      - .offset:         68
        .size:           2
        .value_kind:     hidden_group_size_x
      - .offset:         70
        .size:           2
        .value_kind:     hidden_group_size_y
      - .offset:         72
        .size:           2
        .value_kind:     hidden_group_size_z
      - .offset:         74
        .size:           2
        .value_kind:     hidden_remainder_x
      - .offset:         76
        .size:           2
        .value_kind:     hidden_remainder_y
      - .offset:         78
        .size:           2
        .value_kind:     hidden_remainder_z
      - .offset:         96
        .size:           8
        .value_kind:     hidden_global_offset_x
      - .offset:         104
        .size:           8
        .value_kind:     hidden_global_offset_y
      - .offset:         112
        .size:           8
        .value_kind:     hidden_global_offset_z
      - .offset:         120
        .size:           2
        .value_kind:     hidden_grid_dims
    .group_segment_fixed_size: 0
    .kernarg_segment_align: 8
    .kernarg_segment_size: 312
    .language:       OpenCL C
    .language_version:
      - 2
      - 0
    .max_flat_workgroup_size: 256
    .name:           _ZL44rocblas_set_matrix_zero_if_alpha_zero_kernelILi16ELi16EPKfPKPfEviiT1_lT2_lli
    .private_segment_fixed_size: 0
    .sgpr_count:     26
    .sgpr_spill_count: 0
    .symbol:         _ZL44rocblas_set_matrix_zero_if_alpha_zero_kernelILi16ELi16EPKfPKPfEviiT1_lT2_lli.kd
    .uniform_work_group_size: 1
    .uses_dynamic_stack: false
    .vgpr_count:     27
    .vgpr_spill_count: 0
    .wavefront_size: 64
  - .agpr_count:     0
    .args:
      - .offset:         0
        .size:           4
        .value_kind:     by_value
      - .offset:         4
        .size:           4
        .value_kind:     by_value
      - .offset:         8
        .size:           4
        .value_kind:     by_value
      - .offset:         16
        .size:           8
        .value_kind:     by_value
      - .address_space:  global
        .offset:         24
        .size:           8
        .value_kind:     global_buffer
      - .offset:         32
        .size:           8
        .value_kind:     by_value
      - .offset:         40
        .size:           8
        .value_kind:     by_value
      - .offset:         48
        .size:           4
        .value_kind:     by_value
      - .offset:         56
        .size:           4
        .value_kind:     hidden_block_count_x
      - .offset:         60
        .size:           4
        .value_kind:     hidden_block_count_y
      - .offset:         64
        .size:           4
        .value_kind:     hidden_block_count_z
      - .offset:         68
        .size:           2
        .value_kind:     hidden_group_size_x
      - .offset:         70
        .size:           2
        .value_kind:     hidden_group_size_y
      - .offset:         72
        .size:           2
        .value_kind:     hidden_group_size_z
      - .offset:         74
        .size:           2
        .value_kind:     hidden_remainder_x
      - .offset:         76
        .size:           2
        .value_kind:     hidden_remainder_y
      - .offset:         78
        .size:           2
        .value_kind:     hidden_remainder_z
      - .offset:         96
        .size:           8
        .value_kind:     hidden_global_offset_x
      - .offset:         104
        .size:           8
        .value_kind:     hidden_global_offset_y
      - .offset:         112
        .size:           8
        .value_kind:     hidden_global_offset_z
      - .offset:         120
        .size:           2
        .value_kind:     hidden_grid_dims
    .group_segment_fixed_size: 0
    .kernarg_segment_align: 8
    .kernarg_segment_size: 312
    .language:       OpenCL C
    .language_version:
      - 2
      - 0
    .max_flat_workgroup_size: 256
    .name:           _ZL44rocblas_set_matrix_zero_if_alpha_zero_kernelILi16ELi16EfPKPfEviiT1_lT2_lli
    .private_segment_fixed_size: 0
    .sgpr_count:     26
    .sgpr_spill_count: 0
    .symbol:         _ZL44rocblas_set_matrix_zero_if_alpha_zero_kernelILi16ELi16EfPKPfEviiT1_lT2_lli.kd
    .uniform_work_group_size: 1
    .uses_dynamic_stack: false
    .vgpr_count:     27
    .vgpr_spill_count: 0
    .wavefront_size: 64
  - .agpr_count:     0
    .args:
      - .offset:         0
        .size:           4
        .value_kind:     by_value
      - .offset:         4
        .size:           4
        .value_kind:     by_value
      - .address_space:  global
        .offset:         8
        .size:           8
        .value_kind:     global_buffer
      - .offset:         16
        .size:           8
        .value_kind:     by_value
      - .address_space:  global
        .offset:         24
        .size:           8
        .value_kind:     global_buffer
      - .offset:         32
        .size:           8
        .value_kind:     by_value
      - .offset:         40
        .size:           8
        .value_kind:     by_value
      - .offset:         48
        .size:           4
        .value_kind:     by_value
      - .offset:         56
        .size:           4
        .value_kind:     hidden_block_count_x
      - .offset:         60
        .size:           4
        .value_kind:     hidden_block_count_y
      - .offset:         64
        .size:           4
        .value_kind:     hidden_block_count_z
      - .offset:         68
        .size:           2
        .value_kind:     hidden_group_size_x
      - .offset:         70
        .size:           2
        .value_kind:     hidden_group_size_y
      - .offset:         72
        .size:           2
        .value_kind:     hidden_group_size_z
      - .offset:         74
        .size:           2
        .value_kind:     hidden_remainder_x
      - .offset:         76
        .size:           2
        .value_kind:     hidden_remainder_y
      - .offset:         78
        .size:           2
        .value_kind:     hidden_remainder_z
      - .offset:         96
        .size:           8
        .value_kind:     hidden_global_offset_x
      - .offset:         104
        .size:           8
        .value_kind:     hidden_global_offset_y
      - .offset:         112
        .size:           8
        .value_kind:     hidden_global_offset_z
      - .offset:         120
        .size:           2
        .value_kind:     hidden_grid_dims
    .group_segment_fixed_size: 0
    .kernarg_segment_align: 8
    .kernarg_segment_size: 312
    .language:       OpenCL C
    .language_version:
      - 2
      - 0
    .max_flat_workgroup_size: 256
    .name:           _ZL44rocblas_set_matrix_zero_if_alpha_zero_kernelILi16ELi16EPKfPfEviiT1_lT2_lli
    .private_segment_fixed_size: 0
    .sgpr_count:     28
    .sgpr_spill_count: 0
    .symbol:         _ZL44rocblas_set_matrix_zero_if_alpha_zero_kernelILi16ELi16EPKfPfEviiT1_lT2_lli.kd
    .uniform_work_group_size: 1
    .uses_dynamic_stack: false
    .vgpr_count:     27
    .vgpr_spill_count: 0
    .wavefront_size: 64
  - .agpr_count:     0
    .args:
      - .offset:         0
        .size:           4
        .value_kind:     by_value
      - .offset:         4
        .size:           4
        .value_kind:     by_value
      - .offset:         8
        .size:           4
        .value_kind:     by_value
      - .offset:         16
        .size:           8
        .value_kind:     by_value
      - .address_space:  global
        .offset:         24
        .size:           8
        .value_kind:     global_buffer
      - .offset:         32
        .size:           8
        .value_kind:     by_value
      - .offset:         40
        .size:           8
        .value_kind:     by_value
      - .offset:         48
        .size:           4
        .value_kind:     by_value
      - .offset:         56
        .size:           4
        .value_kind:     hidden_block_count_x
      - .offset:         60
        .size:           4
        .value_kind:     hidden_block_count_y
      - .offset:         64
        .size:           4
        .value_kind:     hidden_block_count_z
      - .offset:         68
        .size:           2
        .value_kind:     hidden_group_size_x
      - .offset:         70
        .size:           2
        .value_kind:     hidden_group_size_y
      - .offset:         72
        .size:           2
        .value_kind:     hidden_group_size_z
      - .offset:         74
        .size:           2
        .value_kind:     hidden_remainder_x
      - .offset:         76
        .size:           2
        .value_kind:     hidden_remainder_y
      - .offset:         78
        .size:           2
        .value_kind:     hidden_remainder_z
      - .offset:         96
        .size:           8
        .value_kind:     hidden_global_offset_x
      - .offset:         104
        .size:           8
        .value_kind:     hidden_global_offset_y
      - .offset:         112
        .size:           8
        .value_kind:     hidden_global_offset_z
      - .offset:         120
        .size:           2
        .value_kind:     hidden_grid_dims
    .group_segment_fixed_size: 0
    .kernarg_segment_align: 8
    .kernarg_segment_size: 312
    .language:       OpenCL C
    .language_version:
      - 2
      - 0
    .max_flat_workgroup_size: 256
    .name:           _ZL44rocblas_set_matrix_zero_if_alpha_zero_kernelILi16ELi16EfPfEviiT1_lT2_lli
    .private_segment_fixed_size: 0
    .sgpr_count:     28
    .sgpr_spill_count: 0
    .symbol:         _ZL44rocblas_set_matrix_zero_if_alpha_zero_kernelILi16ELi16EfPfEviiT1_lT2_lli.kd
    .uniform_work_group_size: 1
    .uses_dynamic_stack: false
    .vgpr_count:     27
    .vgpr_spill_count: 0
    .wavefront_size: 64
  - .agpr_count:     0
    .args:
      - .offset:         0
        .size:           4
        .value_kind:     by_value
      - .offset:         4
        .size:           4
        .value_kind:     by_value
      - .address_space:  global
        .offset:         8
        .size:           8
        .value_kind:     global_buffer
      - .offset:         16
        .size:           8
        .value_kind:     by_value
      - .address_space:  global
        .offset:         24
        .size:           8
        .value_kind:     global_buffer
      - .offset:         32
        .size:           8
        .value_kind:     by_value
      - .offset:         40
        .size:           8
        .value_kind:     by_value
      - .offset:         48
        .size:           4
        .value_kind:     by_value
      - .offset:         56
        .size:           4
        .value_kind:     hidden_block_count_x
      - .offset:         60
        .size:           4
        .value_kind:     hidden_block_count_y
      - .offset:         64
        .size:           4
        .value_kind:     hidden_block_count_z
      - .offset:         68
        .size:           2
        .value_kind:     hidden_group_size_x
      - .offset:         70
        .size:           2
        .value_kind:     hidden_group_size_y
      - .offset:         72
        .size:           2
        .value_kind:     hidden_group_size_z
      - .offset:         74
        .size:           2
        .value_kind:     hidden_remainder_x
      - .offset:         76
        .size:           2
        .value_kind:     hidden_remainder_y
      - .offset:         78
        .size:           2
        .value_kind:     hidden_remainder_z
      - .offset:         96
        .size:           8
        .value_kind:     hidden_global_offset_x
      - .offset:         104
        .size:           8
        .value_kind:     hidden_global_offset_y
      - .offset:         112
        .size:           8
        .value_kind:     hidden_global_offset_z
      - .offset:         120
        .size:           2
        .value_kind:     hidden_grid_dims
    .group_segment_fixed_size: 0
    .kernarg_segment_align: 8
    .kernarg_segment_size: 312
    .language:       OpenCL C
    .language_version:
      - 2
      - 0
    .max_flat_workgroup_size: 256
    .name:           _ZL44rocblas_set_matrix_zero_if_alpha_zero_kernelILi16ELi16EPKdPdEviiT1_lT2_lli
    .private_segment_fixed_size: 0
    .sgpr_count:     24
    .sgpr_spill_count: 0
    .symbol:         _ZL44rocblas_set_matrix_zero_if_alpha_zero_kernelILi16ELi16EPKdPdEviiT1_lT2_lli.kd
    .uniform_work_group_size: 1
    .uses_dynamic_stack: false
    .vgpr_count:     8
    .vgpr_spill_count: 0
    .wavefront_size: 64
  - .agpr_count:     0
    .args:
      - .offset:         0
        .size:           4
        .value_kind:     by_value
      - .offset:         4
        .size:           4
        .value_kind:     by_value
      - .offset:         8
        .size:           8
        .value_kind:     by_value
      - .offset:         16
        .size:           8
        .value_kind:     by_value
      - .address_space:  global
        .offset:         24
        .size:           8
        .value_kind:     global_buffer
      - .offset:         32
        .size:           8
        .value_kind:     by_value
      - .offset:         40
        .size:           8
        .value_kind:     by_value
      - .offset:         48
        .size:           4
        .value_kind:     by_value
      - .offset:         56
        .size:           4
        .value_kind:     hidden_block_count_x
      - .offset:         60
        .size:           4
        .value_kind:     hidden_block_count_y
      - .offset:         64
        .size:           4
        .value_kind:     hidden_block_count_z
      - .offset:         68
        .size:           2
        .value_kind:     hidden_group_size_x
      - .offset:         70
        .size:           2
        .value_kind:     hidden_group_size_y
      - .offset:         72
        .size:           2
        .value_kind:     hidden_group_size_z
      - .offset:         74
        .size:           2
        .value_kind:     hidden_remainder_x
      - .offset:         76
        .size:           2
        .value_kind:     hidden_remainder_y
      - .offset:         78
        .size:           2
        .value_kind:     hidden_remainder_z
      - .offset:         96
        .size:           8
        .value_kind:     hidden_global_offset_x
      - .offset:         104
        .size:           8
        .value_kind:     hidden_global_offset_y
      - .offset:         112
        .size:           8
        .value_kind:     hidden_global_offset_z
      - .offset:         120
        .size:           2
        .value_kind:     hidden_grid_dims
    .group_segment_fixed_size: 0
    .kernarg_segment_align: 8
    .kernarg_segment_size: 312
    .language:       OpenCL C
    .language_version:
      - 2
      - 0
    .max_flat_workgroup_size: 256
    .name:           _ZL44rocblas_set_matrix_zero_if_alpha_zero_kernelILi16ELi16EdPdEviiT1_lT2_lli
    .private_segment_fixed_size: 0
    .sgpr_count:     20
    .sgpr_spill_count: 0
    .symbol:         _ZL44rocblas_set_matrix_zero_if_alpha_zero_kernelILi16ELi16EdPdEviiT1_lT2_lli.kd
    .uniform_work_group_size: 1
    .uses_dynamic_stack: false
    .vgpr_count:     8
    .vgpr_spill_count: 0
    .wavefront_size: 64
  - .agpr_count:     0
    .args:
      - .offset:         0
        .size:           4
        .value_kind:     by_value
      - .offset:         4
        .size:           4
        .value_kind:     by_value
      - .address_space:  global
        .offset:         8
        .size:           8
        .value_kind:     global_buffer
      - .offset:         16
        .size:           8
        .value_kind:     by_value
      - .address_space:  global
        .offset:         24
        .size:           8
        .value_kind:     global_buffer
      - .offset:         32
        .size:           8
        .value_kind:     by_value
      - .offset:         40
        .size:           8
        .value_kind:     by_value
      - .offset:         48
        .size:           4
        .value_kind:     by_value
      - .offset:         56
        .size:           4
        .value_kind:     hidden_block_count_x
      - .offset:         60
        .size:           4
        .value_kind:     hidden_block_count_y
      - .offset:         64
        .size:           4
        .value_kind:     hidden_block_count_z
      - .offset:         68
        .size:           2
        .value_kind:     hidden_group_size_x
      - .offset:         70
        .size:           2
        .value_kind:     hidden_group_size_y
      - .offset:         72
        .size:           2
        .value_kind:     hidden_group_size_z
      - .offset:         74
        .size:           2
        .value_kind:     hidden_remainder_x
      - .offset:         76
        .size:           2
        .value_kind:     hidden_remainder_y
      - .offset:         78
        .size:           2
        .value_kind:     hidden_remainder_z
      - .offset:         96
        .size:           8
        .value_kind:     hidden_global_offset_x
      - .offset:         104
        .size:           8
        .value_kind:     hidden_global_offset_y
      - .offset:         112
        .size:           8
        .value_kind:     hidden_global_offset_z
      - .offset:         120
        .size:           2
        .value_kind:     hidden_grid_dims
    .group_segment_fixed_size: 0
    .kernarg_segment_align: 8
    .kernarg_segment_size: 312
    .language:       OpenCL C
    .language_version:
      - 2
      - 0
    .max_flat_workgroup_size: 256
    .name:           _ZL44rocblas_set_matrix_zero_if_alpha_zero_kernelILi16ELi16EPKdPKPdEviiT1_lT2_lli
    .private_segment_fixed_size: 0
    .sgpr_count:     24
    .sgpr_spill_count: 0
    .symbol:         _ZL44rocblas_set_matrix_zero_if_alpha_zero_kernelILi16ELi16EPKdPKPdEviiT1_lT2_lli.kd
    .uniform_work_group_size: 1
    .uses_dynamic_stack: false
    .vgpr_count:     8
    .vgpr_spill_count: 0
    .wavefront_size: 64
  - .agpr_count:     0
    .args:
      - .offset:         0
        .size:           4
        .value_kind:     by_value
      - .offset:         4
        .size:           4
        .value_kind:     by_value
      - .offset:         8
        .size:           8
        .value_kind:     by_value
      - .offset:         16
        .size:           8
        .value_kind:     by_value
      - .address_space:  global
        .offset:         24
        .size:           8
        .value_kind:     global_buffer
      - .offset:         32
        .size:           8
        .value_kind:     by_value
      - .offset:         40
        .size:           8
        .value_kind:     by_value
      - .offset:         48
        .size:           4
        .value_kind:     by_value
      - .offset:         56
        .size:           4
        .value_kind:     hidden_block_count_x
      - .offset:         60
        .size:           4
        .value_kind:     hidden_block_count_y
      - .offset:         64
        .size:           4
        .value_kind:     hidden_block_count_z
      - .offset:         68
        .size:           2
        .value_kind:     hidden_group_size_x
      - .offset:         70
        .size:           2
        .value_kind:     hidden_group_size_y
      - .offset:         72
        .size:           2
        .value_kind:     hidden_group_size_z
      - .offset:         74
        .size:           2
        .value_kind:     hidden_remainder_x
      - .offset:         76
        .size:           2
        .value_kind:     hidden_remainder_y
      - .offset:         78
        .size:           2
        .value_kind:     hidden_remainder_z
      - .offset:         96
        .size:           8
        .value_kind:     hidden_global_offset_x
      - .offset:         104
        .size:           8
        .value_kind:     hidden_global_offset_y
      - .offset:         112
        .size:           8
        .value_kind:     hidden_global_offset_z
      - .offset:         120
        .size:           2
        .value_kind:     hidden_grid_dims
    .group_segment_fixed_size: 0
    .kernarg_segment_align: 8
    .kernarg_segment_size: 312
    .language:       OpenCL C
    .language_version:
      - 2
      - 0
    .max_flat_workgroup_size: 256
    .name:           _ZL44rocblas_set_matrix_zero_if_alpha_zero_kernelILi16ELi16EdPKPdEviiT1_lT2_lli
    .private_segment_fixed_size: 0
    .sgpr_count:     20
    .sgpr_spill_count: 0
    .symbol:         _ZL44rocblas_set_matrix_zero_if_alpha_zero_kernelILi16ELi16EdPKPdEviiT1_lT2_lli.kd
    .uniform_work_group_size: 1
    .uses_dynamic_stack: false
    .vgpr_count:     8
    .vgpr_spill_count: 0
    .wavefront_size: 64
  - .agpr_count:     0
    .args:
      - .offset:         0
        .size:           4
        .value_kind:     by_value
      - .offset:         4
        .size:           4
        .value_kind:     by_value
      - .address_space:  global
        .offset:         8
        .size:           8
        .value_kind:     global_buffer
      - .offset:         16
        .size:           8
        .value_kind:     by_value
      - .address_space:  global
        .offset:         24
        .size:           8
        .value_kind:     global_buffer
      - .offset:         32
        .size:           8
        .value_kind:     by_value
      - .offset:         40
        .size:           8
        .value_kind:     by_value
      - .offset:         48
        .size:           4
        .value_kind:     by_value
      - .offset:         56
        .size:           4
        .value_kind:     hidden_block_count_x
      - .offset:         60
        .size:           4
        .value_kind:     hidden_block_count_y
      - .offset:         64
        .size:           4
        .value_kind:     hidden_block_count_z
      - .offset:         68
        .size:           2
        .value_kind:     hidden_group_size_x
      - .offset:         70
        .size:           2
        .value_kind:     hidden_group_size_y
      - .offset:         72
        .size:           2
        .value_kind:     hidden_group_size_z
      - .offset:         74
        .size:           2
        .value_kind:     hidden_remainder_x
      - .offset:         76
        .size:           2
        .value_kind:     hidden_remainder_y
      - .offset:         78
        .size:           2
        .value_kind:     hidden_remainder_z
      - .offset:         96
        .size:           8
        .value_kind:     hidden_global_offset_x
      - .offset:         104
        .size:           8
        .value_kind:     hidden_global_offset_y
      - .offset:         112
        .size:           8
        .value_kind:     hidden_global_offset_z
      - .offset:         120
        .size:           2
        .value_kind:     hidden_grid_dims
    .group_segment_fixed_size: 0
    .kernarg_segment_align: 8
    .kernarg_segment_size: 312
    .language:       OpenCL C
    .language_version:
      - 2
      - 0
    .max_flat_workgroup_size: 256
    .name:           _ZL44rocblas_set_matrix_zero_if_alpha_zero_kernelILi16ELi16EPK19rocblas_complex_numIfEPKPS1_EviiT1_lT2_lli
    .private_segment_fixed_size: 0
    .sgpr_count:     24
    .sgpr_spill_count: 0
    .symbol:         _ZL44rocblas_set_matrix_zero_if_alpha_zero_kernelILi16ELi16EPK19rocblas_complex_numIfEPKPS1_EviiT1_lT2_lli.kd
    .uniform_work_group_size: 1
    .uses_dynamic_stack: false
    .vgpr_count:     8
    .vgpr_spill_count: 0
    .wavefront_size: 64
  - .agpr_count:     0
    .args:
      - .offset:         0
        .size:           4
        .value_kind:     by_value
      - .offset:         4
        .size:           4
        .value_kind:     by_value
      - .offset:         8
        .size:           8
        .value_kind:     by_value
      - .offset:         16
        .size:           8
        .value_kind:     by_value
      - .address_space:  global
        .offset:         24
        .size:           8
        .value_kind:     global_buffer
      - .offset:         32
        .size:           8
        .value_kind:     by_value
      - .offset:         40
        .size:           8
        .value_kind:     by_value
      - .offset:         48
        .size:           4
        .value_kind:     by_value
      - .offset:         56
        .size:           4
        .value_kind:     hidden_block_count_x
      - .offset:         60
        .size:           4
        .value_kind:     hidden_block_count_y
      - .offset:         64
        .size:           4
        .value_kind:     hidden_block_count_z
      - .offset:         68
        .size:           2
        .value_kind:     hidden_group_size_x
      - .offset:         70
        .size:           2
        .value_kind:     hidden_group_size_y
      - .offset:         72
        .size:           2
        .value_kind:     hidden_group_size_z
      - .offset:         74
        .size:           2
        .value_kind:     hidden_remainder_x
      - .offset:         76
        .size:           2
        .value_kind:     hidden_remainder_y
      - .offset:         78
        .size:           2
        .value_kind:     hidden_remainder_z
      - .offset:         96
        .size:           8
        .value_kind:     hidden_global_offset_x
      - .offset:         104
        .size:           8
        .value_kind:     hidden_global_offset_y
      - .offset:         112
        .size:           8
        .value_kind:     hidden_global_offset_z
      - .offset:         120
        .size:           2
        .value_kind:     hidden_grid_dims
    .group_segment_fixed_size: 0
    .kernarg_segment_align: 8
    .kernarg_segment_size: 312
    .language:       OpenCL C
    .language_version:
      - 2
      - 0
    .max_flat_workgroup_size: 256
    .name:           _ZL44rocblas_set_matrix_zero_if_alpha_zero_kernelILi16ELi16E19rocblas_complex_numIfEPKPS1_EviiT1_lT2_lli
    .private_segment_fixed_size: 0
    .sgpr_count:     20
    .sgpr_spill_count: 0
    .symbol:         _ZL44rocblas_set_matrix_zero_if_alpha_zero_kernelILi16ELi16E19rocblas_complex_numIfEPKPS1_EviiT1_lT2_lli.kd
    .uniform_work_group_size: 1
    .uses_dynamic_stack: false
    .vgpr_count:     8
    .vgpr_spill_count: 0
    .wavefront_size: 64
  - .agpr_count:     0
    .args:
      - .offset:         0
        .size:           4
        .value_kind:     by_value
      - .offset:         4
        .size:           4
        .value_kind:     by_value
      - .address_space:  global
        .offset:         8
        .size:           8
        .value_kind:     global_buffer
      - .offset:         16
        .size:           8
        .value_kind:     by_value
      - .address_space:  global
        .offset:         24
        .size:           8
        .value_kind:     global_buffer
      - .offset:         32
        .size:           8
        .value_kind:     by_value
      - .offset:         40
        .size:           8
        .value_kind:     by_value
      - .offset:         48
        .size:           4
        .value_kind:     by_value
      - .offset:         56
        .size:           4
        .value_kind:     hidden_block_count_x
      - .offset:         60
        .size:           4
        .value_kind:     hidden_block_count_y
      - .offset:         64
        .size:           4
        .value_kind:     hidden_block_count_z
      - .offset:         68
        .size:           2
        .value_kind:     hidden_group_size_x
      - .offset:         70
        .size:           2
        .value_kind:     hidden_group_size_y
      - .offset:         72
        .size:           2
        .value_kind:     hidden_group_size_z
      - .offset:         74
        .size:           2
        .value_kind:     hidden_remainder_x
      - .offset:         76
        .size:           2
        .value_kind:     hidden_remainder_y
      - .offset:         78
        .size:           2
        .value_kind:     hidden_remainder_z
      - .offset:         96
        .size:           8
        .value_kind:     hidden_global_offset_x
      - .offset:         104
        .size:           8
        .value_kind:     hidden_global_offset_y
      - .offset:         112
        .size:           8
        .value_kind:     hidden_global_offset_z
      - .offset:         120
        .size:           2
        .value_kind:     hidden_grid_dims
    .group_segment_fixed_size: 0
    .kernarg_segment_align: 8
    .kernarg_segment_size: 312
    .language:       OpenCL C
    .language_version:
      - 2
      - 0
    .max_flat_workgroup_size: 256
    .name:           _ZL44rocblas_set_matrix_zero_if_alpha_zero_kernelILi16ELi16EPK19rocblas_complex_numIfEPS1_EviiT1_lT2_lli
    .private_segment_fixed_size: 0
    .sgpr_count:     24
    .sgpr_spill_count: 0
    .symbol:         _ZL44rocblas_set_matrix_zero_if_alpha_zero_kernelILi16ELi16EPK19rocblas_complex_numIfEPS1_EviiT1_lT2_lli.kd
    .uniform_work_group_size: 1
    .uses_dynamic_stack: false
    .vgpr_count:     8
    .vgpr_spill_count: 0
    .wavefront_size: 64
  - .agpr_count:     0
    .args:
      - .offset:         0
        .size:           4
        .value_kind:     by_value
      - .offset:         4
        .size:           4
        .value_kind:     by_value
      - .offset:         8
        .size:           8
        .value_kind:     by_value
      - .offset:         16
        .size:           8
        .value_kind:     by_value
      - .address_space:  global
        .offset:         24
        .size:           8
        .value_kind:     global_buffer
      - .offset:         32
        .size:           8
        .value_kind:     by_value
      - .offset:         40
        .size:           8
        .value_kind:     by_value
      - .offset:         48
        .size:           4
        .value_kind:     by_value
      - .offset:         56
        .size:           4
        .value_kind:     hidden_block_count_x
      - .offset:         60
        .size:           4
        .value_kind:     hidden_block_count_y
      - .offset:         64
        .size:           4
        .value_kind:     hidden_block_count_z
      - .offset:         68
        .size:           2
        .value_kind:     hidden_group_size_x
      - .offset:         70
        .size:           2
        .value_kind:     hidden_group_size_y
      - .offset:         72
        .size:           2
        .value_kind:     hidden_group_size_z
      - .offset:         74
        .size:           2
        .value_kind:     hidden_remainder_x
      - .offset:         76
        .size:           2
        .value_kind:     hidden_remainder_y
      - .offset:         78
        .size:           2
        .value_kind:     hidden_remainder_z
      - .offset:         96
        .size:           8
        .value_kind:     hidden_global_offset_x
      - .offset:         104
        .size:           8
        .value_kind:     hidden_global_offset_y
      - .offset:         112
        .size:           8
        .value_kind:     hidden_global_offset_z
      - .offset:         120
        .size:           2
        .value_kind:     hidden_grid_dims
    .group_segment_fixed_size: 0
    .kernarg_segment_align: 8
    .kernarg_segment_size: 312
    .language:       OpenCL C
    .language_version:
      - 2
      - 0
    .max_flat_workgroup_size: 256
    .name:           _ZL44rocblas_set_matrix_zero_if_alpha_zero_kernelILi16ELi16E19rocblas_complex_numIfEPS1_EviiT1_lT2_lli
    .private_segment_fixed_size: 0
    .sgpr_count:     20
    .sgpr_spill_count: 0
    .symbol:         _ZL44rocblas_set_matrix_zero_if_alpha_zero_kernelILi16ELi16E19rocblas_complex_numIfEPS1_EviiT1_lT2_lli.kd
    .uniform_work_group_size: 1
    .uses_dynamic_stack: false
    .vgpr_count:     8
    .vgpr_spill_count: 0
    .wavefront_size: 64
  - .agpr_count:     0
    .args:
      - .offset:         0
        .size:           4
        .value_kind:     by_value
      - .offset:         4
        .size:           4
        .value_kind:     by_value
      - .address_space:  global
        .offset:         8
        .size:           8
        .value_kind:     global_buffer
      - .offset:         16
        .size:           8
        .value_kind:     by_value
      - .address_space:  global
        .offset:         24
        .size:           8
        .value_kind:     global_buffer
      - .offset:         32
        .size:           8
        .value_kind:     by_value
      - .offset:         40
        .size:           8
        .value_kind:     by_value
      - .offset:         48
        .size:           4
        .value_kind:     by_value
      - .offset:         56
        .size:           4
        .value_kind:     hidden_block_count_x
      - .offset:         60
        .size:           4
        .value_kind:     hidden_block_count_y
      - .offset:         64
        .size:           4
        .value_kind:     hidden_block_count_z
      - .offset:         68
        .size:           2
        .value_kind:     hidden_group_size_x
      - .offset:         70
        .size:           2
        .value_kind:     hidden_group_size_y
      - .offset:         72
        .size:           2
        .value_kind:     hidden_group_size_z
      - .offset:         74
        .size:           2
        .value_kind:     hidden_remainder_x
      - .offset:         76
        .size:           2
        .value_kind:     hidden_remainder_y
      - .offset:         78
        .size:           2
        .value_kind:     hidden_remainder_z
      - .offset:         96
        .size:           8
        .value_kind:     hidden_global_offset_x
      - .offset:         104
        .size:           8
        .value_kind:     hidden_global_offset_y
      - .offset:         112
        .size:           8
        .value_kind:     hidden_global_offset_z
      - .offset:         120
        .size:           2
        .value_kind:     hidden_grid_dims
    .group_segment_fixed_size: 0
    .kernarg_segment_align: 8
    .kernarg_segment_size: 312
    .language:       OpenCL C
    .language_version:
      - 2
      - 0
    .max_flat_workgroup_size: 256
    .name:           _ZL44rocblas_set_matrix_zero_if_alpha_zero_kernelILi16ELi16EPK19rocblas_complex_numIdEPKPS1_EviiT1_lT2_lli
    .private_segment_fixed_size: 0
    .sgpr_count:     24
    .sgpr_spill_count: 0
    .symbol:         _ZL44rocblas_set_matrix_zero_if_alpha_zero_kernelILi16ELi16EPK19rocblas_complex_numIdEPKPS1_EviiT1_lT2_lli.kd
    .uniform_work_group_size: 1
    .uses_dynamic_stack: false
    .vgpr_count:     10
    .vgpr_spill_count: 0
    .wavefront_size: 64
  - .agpr_count:     0
    .args:
      - .offset:         0
        .size:           4
        .value_kind:     by_value
      - .offset:         4
        .size:           4
        .value_kind:     by_value
      - .offset:         8
        .size:           16
        .value_kind:     by_value
      - .offset:         24
        .size:           8
        .value_kind:     by_value
      - .address_space:  global
        .offset:         32
        .size:           8
        .value_kind:     global_buffer
      - .offset:         40
        .size:           8
        .value_kind:     by_value
      - .offset:         48
        .size:           8
        .value_kind:     by_value
      - .offset:         56
        .size:           4
        .value_kind:     by_value
      - .offset:         64
        .size:           4
        .value_kind:     hidden_block_count_x
      - .offset:         68
        .size:           4
        .value_kind:     hidden_block_count_y
      - .offset:         72
        .size:           4
        .value_kind:     hidden_block_count_z
      - .offset:         76
        .size:           2
        .value_kind:     hidden_group_size_x
      - .offset:         78
        .size:           2
        .value_kind:     hidden_group_size_y
      - .offset:         80
        .size:           2
        .value_kind:     hidden_group_size_z
      - .offset:         82
        .size:           2
        .value_kind:     hidden_remainder_x
      - .offset:         84
        .size:           2
        .value_kind:     hidden_remainder_y
      - .offset:         86
        .size:           2
        .value_kind:     hidden_remainder_z
      - .offset:         104
        .size:           8
        .value_kind:     hidden_global_offset_x
      - .offset:         112
        .size:           8
        .value_kind:     hidden_global_offset_y
      - .offset:         120
        .size:           8
        .value_kind:     hidden_global_offset_z
      - .offset:         128
        .size:           2
        .value_kind:     hidden_grid_dims
    .group_segment_fixed_size: 0
    .kernarg_segment_align: 8
    .kernarg_segment_size: 320
    .language:       OpenCL C
    .language_version:
      - 2
      - 0
    .max_flat_workgroup_size: 256
    .name:           _ZL44rocblas_set_matrix_zero_if_alpha_zero_kernelILi16ELi16E19rocblas_complex_numIdEPKPS1_EviiT1_lT2_lli
    .private_segment_fixed_size: 0
    .sgpr_count:     20
    .sgpr_spill_count: 0
    .symbol:         _ZL44rocblas_set_matrix_zero_if_alpha_zero_kernelILi16ELi16E19rocblas_complex_numIdEPKPS1_EviiT1_lT2_lli.kd
    .uniform_work_group_size: 1
    .uses_dynamic_stack: false
    .vgpr_count:     10
    .vgpr_spill_count: 0
    .wavefront_size: 64
  - .agpr_count:     0
    .args:
      - .offset:         0
        .size:           4
        .value_kind:     by_value
      - .offset:         4
        .size:           4
        .value_kind:     by_value
      - .address_space:  global
        .offset:         8
        .size:           8
        .value_kind:     global_buffer
      - .offset:         16
        .size:           8
        .value_kind:     by_value
      - .address_space:  global
        .offset:         24
        .size:           8
        .value_kind:     global_buffer
      - .offset:         32
        .size:           8
        .value_kind:     by_value
      - .offset:         40
        .size:           8
        .value_kind:     by_value
      - .offset:         48
        .size:           4
        .value_kind:     by_value
      - .offset:         56
        .size:           4
        .value_kind:     hidden_block_count_x
      - .offset:         60
        .size:           4
        .value_kind:     hidden_block_count_y
      - .offset:         64
        .size:           4
        .value_kind:     hidden_block_count_z
      - .offset:         68
        .size:           2
        .value_kind:     hidden_group_size_x
      - .offset:         70
        .size:           2
        .value_kind:     hidden_group_size_y
      - .offset:         72
        .size:           2
        .value_kind:     hidden_group_size_z
      - .offset:         74
        .size:           2
        .value_kind:     hidden_remainder_x
      - .offset:         76
        .size:           2
        .value_kind:     hidden_remainder_y
      - .offset:         78
        .size:           2
        .value_kind:     hidden_remainder_z
      - .offset:         96
        .size:           8
        .value_kind:     hidden_global_offset_x
      - .offset:         104
        .size:           8
        .value_kind:     hidden_global_offset_y
      - .offset:         112
        .size:           8
        .value_kind:     hidden_global_offset_z
      - .offset:         120
        .size:           2
        .value_kind:     hidden_grid_dims
    .group_segment_fixed_size: 0
    .kernarg_segment_align: 8
    .kernarg_segment_size: 312
    .language:       OpenCL C
    .language_version:
      - 2
      - 0
    .max_flat_workgroup_size: 256
    .name:           _ZL44rocblas_set_matrix_zero_if_alpha_zero_kernelILi16ELi16EPK19rocblas_complex_numIdEPS1_EviiT1_lT2_lli
    .private_segment_fixed_size: 0
    .sgpr_count:     24
    .sgpr_spill_count: 0
    .symbol:         _ZL44rocblas_set_matrix_zero_if_alpha_zero_kernelILi16ELi16EPK19rocblas_complex_numIdEPS1_EviiT1_lT2_lli.kd
    .uniform_work_group_size: 1
    .uses_dynamic_stack: false
    .vgpr_count:     10
    .vgpr_spill_count: 0
    .wavefront_size: 64
  - .agpr_count:     0
    .args:
      - .offset:         0
        .size:           4
        .value_kind:     by_value
      - .offset:         4
        .size:           4
        .value_kind:     by_value
      - .offset:         8
        .size:           16
        .value_kind:     by_value
      - .offset:         24
        .size:           8
        .value_kind:     by_value
      - .address_space:  global
        .offset:         32
        .size:           8
        .value_kind:     global_buffer
      - .offset:         40
        .size:           8
        .value_kind:     by_value
      - .offset:         48
        .size:           8
        .value_kind:     by_value
      - .offset:         56
        .size:           4
        .value_kind:     by_value
      - .offset:         64
        .size:           4
        .value_kind:     hidden_block_count_x
      - .offset:         68
        .size:           4
        .value_kind:     hidden_block_count_y
      - .offset:         72
        .size:           4
        .value_kind:     hidden_block_count_z
      - .offset:         76
        .size:           2
        .value_kind:     hidden_group_size_x
      - .offset:         78
        .size:           2
        .value_kind:     hidden_group_size_y
      - .offset:         80
        .size:           2
        .value_kind:     hidden_group_size_z
      - .offset:         82
        .size:           2
        .value_kind:     hidden_remainder_x
      - .offset:         84
        .size:           2
        .value_kind:     hidden_remainder_y
      - .offset:         86
        .size:           2
        .value_kind:     hidden_remainder_z
      - .offset:         104
        .size:           8
        .value_kind:     hidden_global_offset_x
      - .offset:         112
        .size:           8
        .value_kind:     hidden_global_offset_y
      - .offset:         120
        .size:           8
        .value_kind:     hidden_global_offset_z
      - .offset:         128
        .size:           2
        .value_kind:     hidden_grid_dims
    .group_segment_fixed_size: 0
    .kernarg_segment_align: 8
    .kernarg_segment_size: 320
    .language:       OpenCL C
    .language_version:
      - 2
      - 0
    .max_flat_workgroup_size: 256
    .name:           _ZL44rocblas_set_matrix_zero_if_alpha_zero_kernelILi16ELi16E19rocblas_complex_numIdEPS1_EviiT1_lT2_lli
    .private_segment_fixed_size: 0
    .sgpr_count:     20
    .sgpr_spill_count: 0
    .symbol:         _ZL44rocblas_set_matrix_zero_if_alpha_zero_kernelILi16ELi16E19rocblas_complex_numIdEPS1_EviiT1_lT2_lli.kd
    .uniform_work_group_size: 1
    .uses_dynamic_stack: false
    .vgpr_count:     10
    .vgpr_spill_count: 0
    .wavefront_size: 64
amdhsa.target:   amdgcn-amd-amdhsa--gfx90a
amdhsa.version:
  - 1
  - 2
...

	.end_amdgpu_metadata
